;; amdgpu-corpus repo=ggml-org/llama.cpp kind=compiled arch=gfx90a opt=O3
	.text
	.amdgcn_target "amdgcn-amd-amdhsa--gfx90a"
	.amdhsa_code_object_version 6
	.section	.text._ZL15flash_attn_tileILi128ELi128ELi8ELi8ELb0EEvPKcS1_S1_S1_S1_PKiPfP15HIP_vector_typeIfLj2EEffffjfiS5_IjLj3EEiiiiiiiiiiiliiliiiiil,"axG",@progbits,_ZL15flash_attn_tileILi128ELi128ELi8ELi8ELb0EEvPKcS1_S1_S1_S1_PKiPfP15HIP_vector_typeIfLj2EEffffjfiS5_IjLj3EEiiiiiiiiiiiliiliiiiil,comdat
	.globl	_ZL15flash_attn_tileILi128ELi128ELi8ELi8ELb0EEvPKcS1_S1_S1_S1_PKiPfP15HIP_vector_typeIfLj2EEffffjfiS5_IjLj3EEiiiiiiiiiiiliiliiiiil ; -- Begin function _ZL15flash_attn_tileILi128ELi128ELi8ELi8ELb0EEvPKcS1_S1_S1_S1_PKiPfP15HIP_vector_typeIfLj2EEffffjfiS5_IjLj3EEiiiiiiiiiiiliiliiiiil
	.p2align	8
	.type	_ZL15flash_attn_tileILi128ELi128ELi8ELi8ELb0EEvPKcS1_S1_S1_S1_PKiPfP15HIP_vector_typeIfLj2EEffffjfiS5_IjLj3EEiiiiiiiiiiiliiliiiiil,@function
_ZL15flash_attn_tileILi128ELi128ELi8ELi8ELb0EEvPKcS1_S1_S1_S1_PKiPfP15HIP_vector_typeIfLj2EEffffjfiS5_IjLj3EEiiiiiiiiiiiliiliiiiil: ; @_ZL15flash_attn_tileILi128ELi128ELi8ELi8ELb0EEvPKcS1_S1_S1_S1_PKiPfP15HIP_vector_typeIfLj2EEffffjfiS5_IjLj3EEiiiiiiiiiiiliiliiiiil
; %bb.0:
	s_load_dwordx4 s[60:63], s[4:5], 0x5c
	s_load_dwordx2 s[66:67], s[4:5], 0x80
	s_load_dwordx16 s[44:59], s[4:5], 0x0
	s_mov_b64 s[68:69], 0
	s_waitcnt lgkmcnt(0)
	s_ashr_i32 s0, s63, 31
	s_lshr_b32 s0, s0, 29
	s_add_i32 s0, s63, s0
	s_ashr_i32 s0, s0, 3
	v_cvt_f32_u32_e32 v1, s0
	s_sub_i32 s1, 0, s0
	v_rcp_iflag_f32_e32 v1, v1
	v_mul_f32_e32 v1, 0x4f7ffffe, v1
	v_cvt_u32_f32_e32 v1, v1
	v_readfirstlane_b32 s2, v1
	s_mul_i32 s1, s1, s2
	s_mul_hi_u32 s1, s2, s1
	s_add_i32 s2, s2, s1
	s_mul_hi_u32 s1, s8, s2
	s_mul_i32 s2, s1, s0
	s_sub_i32 s2, s8, s2
	s_add_i32 s3, s1, 1
	s_sub_i32 s9, s2, s0
	s_cmp_ge_u32 s2, s0
	s_cselect_b32 s1, s3, s1
	s_cselect_b32 s2, s9, s2
	s_add_i32 s3, s1, 1
	s_cmp_ge_u32 s2, s0
	s_cselect_b32 s33, s3, s1
	s_abs_i32 s0, s67
	v_cvt_f32_u32_e32 v1, s0
	s_lshl_b32 s1, s8, 3
	s_mul_i32 s8, s33, s63
	s_sub_i32 s9, 0, s0
	v_rcp_iflag_f32_e32 v1, v1
	s_sub_i32 s64, s1, s8
	s_abs_i32 s3, s63
	s_xor_b32 s2, s63, s67
	v_mul_f32_e32 v1, 0x4f7ffffe, v1
	v_cvt_u32_f32_e32 v1, v1
	s_ashr_i32 s2, s2, 31
	v_readfirstlane_b32 s1, v1
	s_mul_i32 s9, s9, s1
	s_mul_hi_u32 s8, s1, s9
	s_add_i32 s1, s1, s8
	s_mul_hi_u32 s1, s3, s1
	s_mul_i32 s8, s1, s0
	s_sub_i32 s3, s3, s8
	s_add_i32 s9, s1, 1
	s_sub_i32 s8, s3, s0
	s_cmp_ge_u32 s3, s0
	s_cselect_b32 s1, s9, s1
	s_cselect_b32 s3, s8, s3
	s_add_i32 s8, s1, 1
	s_cmp_ge_u32 s3, s0
	s_cselect_b32 s0, s8, s1
	s_xor_b32 s0, s0, s2
	s_sub_i32 s11, s0, s2
	s_abs_i32 s10, s11
	v_cvt_f32_u32_e32 v1, s10
	s_load_dwordx2 s[8:9], s[4:5], 0xb8
	s_cmp_eq_u64 s[50:51], 0
	v_rcp_iflag_f32_e32 v1, v1
	v_mul_f32_e32 v1, 0x4f7ffffe, v1
	v_cvt_u32_f32_e32 v1, v1
	v_readfirstlane_b32 s12, v1
	s_cbranch_scc1 .LBB0_2
; %bb.1:
	s_waitcnt lgkmcnt(0)
	s_abs_i32 s2, s8
	v_cvt_f32_u32_e32 v1, s2
	s_sub_i32 s13, 0, s2
	s_abs_i32 s8, s33
	s_ashr_i32 s3, s33, 31
	v_rcp_iflag_f32_e32 v1, v1
	s_load_dwordx2 s[0:1], s[4:5], 0xc8
	v_mul_f32_e32 v1, 0x4f7ffffe, v1
	v_cvt_u32_f32_e32 v1, v1
	v_readfirstlane_b32 s14, v1
	s_mul_i32 s13, s13, s14
	s_mul_hi_u32 s13, s14, s13
	s_add_i32 s14, s14, s13
	s_mul_hi_u32 s13, s8, s14
	s_mul_i32 s13, s13, s2
	s_sub_i32 s8, s8, s13
	s_sub_i32 s13, s8, s2
	s_cmp_ge_u32 s8, s2
	s_cselect_b32 s8, s13, s8
	s_sub_i32 s13, s8, s2
	s_cmp_ge_u32 s8, s2
	s_cselect_b32 s2, s13, s8
	s_xor_b32 s2, s2, s3
	s_sub_i32 s2, s2, s3
	s_ashr_i32 s3, s2, 31
	s_waitcnt lgkmcnt(0)
	s_mul_i32 s1, s2, s1
	s_mul_hi_u32 s8, s2, s0
	s_add_i32 s1, s8, s1
	s_mul_i32 s3, s3, s0
	s_add_i32 s1, s1, s3
	s_mul_i32 s2, s2, s0
	s_add_u32 s68, s50, s2
	s_addc_u32 s69, s51, s1
.LBB0_2:
	s_load_dwordx4 s[0:3], s[4:5], 0x70
	v_bfe_u32 v9, v0, 10, 10
	v_lshl_add_u32 v116, s6, 3, v9
	v_mul_hi_u32 v1, s60, v116
	v_add_u32_e32 v1, v116, v1
	s_waitcnt lgkmcnt(0)
	s_mul_i32 s2, s33, s2
	s_ashr_i32 s8, s2, 31
	s_mul_i32 s3, s64, s1
	s_add_u32 s2, s44, s2
	s_addc_u32 s8, s45, s8
	s_ashr_i32 s13, s3, 31
	v_lshrrev_b32_e32 v1, s61, v1
	s_add_u32 s16, s2, s3
	v_mul_lo_u32 v1, v1, s62
	s_addc_u32 s8, s8, s13
	v_sub_u32_e32 v10, v116, v1
	s_ashr_i32 s13, s0, 31
	v_mov_b32_e32 v1, s0
	v_alignbit_b32 v1, s13, v1, 2
	v_mad_u64_u32 v[2:3], s[14:15], v1, v10, 0
	v_mov_b32_e32 v4, v3
	s_lshr_b32 s0, s13, 2
	v_mad_u64_u32 v[4:5], s[14:15], s0, v10, v[4:5]
	v_mov_b32_e32 v3, v4
	v_and_b32_e32 v104, 0x3ff, v0
	v_lshlrev_b64 v[0:1], 2, v[2:3]
	v_mov_b32_e32 v2, s8
	v_add_co_u32_e32 v0, vcc, s16, v0
	v_addc_co_u32_e32 v1, vcc, v2, v1, vcc
	v_lshlrev_b32_e32 v8, 4, v104
	v_add_co_u32_e32 v32, vcc, v0, v8
	s_ashr_i32 s3, s1, 31
	v_addc_co_u32_e32 v33, vcc, 0, v1, vcc
	s_and_b32 s0, s1, -4
	s_mov_b32 s2, s1
	v_mov_b32_e32 v5, s3
	v_add_co_u32_e32 v4, vcc, s0, v32
	global_load_dwordx4 v[0:3], v[32:33], off
	s_lshr_b64 s[14:15], s[2:3], 2
	v_addc_co_u32_e32 v5, vcc, v33, v5, vcc
	global_load_dwordx4 v[4:7], v[4:5], off
	s_lshl_b64 s[14:15], s[14:15], 3
	v_mov_b32_e32 v11, s15
	v_add_co_u32_e32 v12, vcc, s14, v32
	v_addc_co_u32_e32 v13, vcc, v33, v11, vcc
	global_load_dwordx4 v[12:15], v[12:13], off
	v_mov_b32_e32 v11, s1
	v_alignbit_b32 v11, s3, v11, 2
	v_mad_u64_u32 v[16:17], s[14:15], v11, 12, v[32:33]
	v_mov_b32_e32 v18, v17
	s_lshr_b32 s2, s3, 2
	v_mad_u64_u32 v[18:19], s[14:15], s2, 12, v[18:19]
	v_mov_b32_e32 v17, v18
	global_load_dwordx4 v[16:19], v[16:17], off
	s_and_b32 s1, s3, 0x3fffffff
	s_lshl_b64 s[0:1], s[0:1], 2
	v_mov_b32_e32 v21, s1
	v_add_co_u32_e32 v20, vcc, s0, v32
	v_mad_u64_u32 v[24:25], s[0:1], v11, 20, v[32:33]
	v_addc_co_u32_e32 v21, vcc, v33, v21, vcc
	global_load_dwordx4 v[20:23], v[20:21], off
	v_mov_b32_e32 v26, v25
	v_mad_u64_u32 v[26:27], s[0:1], s2, 20, v[26:27]
	v_mov_b32_e32 v25, v26
	global_load_dwordx4 v[24:27], v[24:25], off
	v_mad_u64_u32 v[28:29], s[0:1], v11, 24, v[32:33]
	v_mov_b32_e32 v30, v29
	v_mad_u64_u32 v[30:31], s[0:1], s2, 24, v[30:31]
	v_mad_u64_u32 v[32:33], s[0:1], v11, 28, v[32:33]
	v_mov_b32_e32 v29, v30
	global_load_dwordx4 v[28:31], v[28:29], off
	v_mov_b32_e32 v34, v33
	v_mad_u64_u32 v[34:35], s[0:1], s2, 28, v[34:35]
	v_mov_b32_e32 v33, v34
	global_load_dwordx4 v[32:35], v[32:33], off
	s_load_dword s0, s[4:5], 0x40
	v_lshlrev_b32_e32 v117, 11, v9
	v_lshl_or_b32 v39, v104, 3, v117
	s_cmp_eq_u64 s[54:55], 0
	s_waitcnt vmcnt(7) lgkmcnt(0)
	v_pk_mul_f32 v[0:1], v[0:1], s[0:1] op_sel_hi:[1,0]
	v_pk_mul_f32 v[2:3], v[2:3], s[0:1] op_sel_hi:[1,0]
	v_cvt_f16_f32_e32 v11, v1
	v_cvt_f16_f32_e32 v36, v0
	;; [unrolled: 1-line block ×4, first 2 shown]
	s_waitcnt vmcnt(6)
	v_pk_mul_f32 v[0:1], v[4:5], s[0:1] op_sel_hi:[1,0]
	v_pk_mul_f32 v[2:3], v[6:7], s[0:1] op_sel_hi:[1,0]
	v_cvt_f16_f32_e32 v4, v1
	v_cvt_f16_f32_e32 v3, v3
	;; [unrolled: 1-line block ×4, first 2 shown]
	v_pack_b32_f16 v1, v38, v37
	v_pack_b32_f16 v0, v36, v11
	;; [unrolled: 1-line block ×4, first 2 shown]
	ds_write2_b64 v39, v[0:1], v[2:3] offset1:32
	s_waitcnt vmcnt(5)
	v_pk_mul_f32 v[0:1], v[12:13], s[0:1] op_sel_hi:[1,0]
	v_cvt_f16_f32_e32 v4, v1
	v_cvt_f16_f32_e32 v5, v0
	v_pk_mul_f32 v[0:1], v[14:15], s[0:1] op_sel_hi:[1,0]
	v_cvt_f16_f32_e32 v6, v1
	v_cvt_f16_f32_e32 v7, v0
	s_waitcnt vmcnt(4)
	v_pk_mul_f32 v[0:1], v[16:17], s[0:1] op_sel_hi:[1,0]
	v_pk_mul_f32 v[2:3], v[18:19], s[0:1] op_sel_hi:[1,0]
	v_cvt_f16_f32_e32 v11, v1
	v_cvt_f16_f32_e32 v3, v3
	v_cvt_f16_f32_e32 v2, v2
	v_cvt_f16_f32_e32 v12, v0
	v_pack_b32_f16 v1, v7, v6
	v_pack_b32_f16 v0, v5, v4
	v_pack_b32_f16 v3, v2, v3
	v_pack_b32_f16 v2, v12, v11
	ds_write2_b64 v39, v[0:1], v[2:3] offset0:64 offset1:96
	s_waitcnt vmcnt(3)
	v_pk_mul_f32 v[0:1], v[20:21], s[0:1] op_sel_hi:[1,0]
	v_cvt_f16_f32_e32 v4, v1
	v_cvt_f16_f32_e32 v5, v0
	v_pk_mul_f32 v[0:1], v[22:23], s[0:1] op_sel_hi:[1,0]
	v_cvt_f16_f32_e32 v6, v1
	v_cvt_f16_f32_e32 v7, v0
	s_waitcnt vmcnt(2)
	v_pk_mul_f32 v[0:1], v[24:25], s[0:1] op_sel_hi:[1,0]
	v_pk_mul_f32 v[2:3], v[26:27], s[0:1] op_sel_hi:[1,0]
	v_cvt_f16_f32_e32 v11, v1
	v_cvt_f16_f32_e32 v3, v3
	v_cvt_f16_f32_e32 v2, v2
	v_cvt_f16_f32_e32 v12, v0
	v_pack_b32_f16 v1, v7, v6
	v_pack_b32_f16 v0, v5, v4
	v_pack_b32_f16 v3, v2, v3
	v_pack_b32_f16 v2, v12, v11
	ds_write2_b64 v39, v[0:1], v[2:3] offset0:128 offset1:160
	s_waitcnt vmcnt(1)
	v_pk_mul_f32 v[0:1], v[28:29], s[0:1] op_sel_hi:[1,0]
	v_cvt_f16_f32_e32 v4, v1
	v_cvt_f16_f32_e32 v5, v0
	v_pk_mul_f32 v[0:1], v[30:31], s[0:1] op_sel_hi:[1,0]
	v_cvt_f16_f32_e32 v6, v1
	v_cvt_f16_f32_e32 v7, v0
	s_waitcnt vmcnt(0)
	v_pk_mul_f32 v[0:1], v[32:33], s[0:1] op_sel_hi:[1,0]
	v_pk_mul_f32 v[2:3], v[34:35], s[0:1] op_sel_hi:[1,0]
	v_cvt_f16_f32_e32 v11, v1
	v_cvt_f16_f32_e32 v3, v3
	v_cvt_f16_f32_e32 v2, v2
	v_cvt_f16_f32_e32 v12, v0
	v_pack_b32_f16 v1, v7, v6
	v_pack_b32_f16 v0, v5, v4
	v_pack_b32_f16 v3, v2, v3
	v_pack_b32_f16 v2, v12, v11
	ds_write2_b64 v39, v[0:1], v[2:3] offset0:192 offset1:224
	s_waitcnt lgkmcnt(0)
	s_barrier
	s_cbranch_scc1 .LBB0_4
; %bb.3:
	s_load_dword s0, s[4:5], 0xd0
	s_mov_b32 s1, 0
	s_waitcnt lgkmcnt(0)
	s_mul_i32 s0, s0, s33
	s_add_i32 s0, s0, s6
	s_lshl_b64 s[0:1], s[0:1], 2
	s_add_u32 s0, s54, s0
	s_addc_u32 s1, s55, s1
	s_load_dword s66, s[0:1], 0x0
.LBB0_4:
	s_lshl_b32 s60, s7, 6
	s_waitcnt lgkmcnt(0)
	s_cmp_lt_i32 s60, s66
	v_mbcnt_lo_u32_b32 v11, -1, 0
	s_cbranch_scc1 .LBB0_6
; %bb.5:
	v_mbcnt_hi_u32_b32 v115, -1, v11
	v_and_b32_e32 v0, 0x60, v115
	s_mov_b32 s2, 0
	v_add_u32_e32 v118, 32, v0
	v_xor_b32_e32 v122, 16, v115
	v_xor_b32_e32 v123, 8, v115
	;; [unrolled: 1-line block ×5, first 2 shown]
	s_mov_b64 s[0:1], 0
	s_mov_b32 s3, 0xfeffffff
	s_branch .LBB0_7
.LBB0_6:
	s_mov_b64 s[0:1], -1
                                        ; implicit-def: $sgpr3
                                        ; implicit-def: $sgpr2
                                        ; implicit-def: $vgpr115
                                        ; implicit-def: $vgpr118
                                        ; implicit-def: $vgpr122
                                        ; implicit-def: $vgpr123
                                        ; implicit-def: $vgpr121
                                        ; implicit-def: $vgpr120
                                        ; implicit-def: $vgpr119
.LBB0_7:
	v_lshlrev_b32_e32 v105, 2, v104
	s_andn2_b64 vcc, exec, s[0:1]
	v_mov_b32_e32 v7, s3
	v_mov_b32_e32 v107, s2
	;; [unrolled: 1-line block ×32, first 2 shown]
	s_cbranch_vccnz .LBB0_10
; %bb.8:
	s_sub_i32 s0, 0, s10
	s_mul_i32 s0, s0, s12
	s_mul_hi_u32 s0, s12, s0
	s_add_i32 s8, s12, s0
	s_load_dwordx2 s[12:13], s[4:5], 0x8c
	s_load_dwordx4 s[0:3], s[4:5], 0x98
	s_abs_i32 s6, s64
	s_mul_hi_u32 s8, s6, s8
	s_ashr_i32 s16, s64, 31
	s_waitcnt lgkmcnt(0)
	s_ashr_i32 s65, s12, 2
	s_ashr_i32 s61, s2, 2
	;; [unrolled: 1-line block ×4, first 2 shown]
	s_mul_i32 s1, s33, s1
	s_mul_hi_u32 s12, s33, s0
	s_add_i32 s1, s12, s1
	s_mul_i32 s12, s9, s0
	s_ashr_i32 s11, s11, 31
	s_add_i32 s1, s1, s12
	s_mul_i32 s0, s33, s0
	s_add_u32 s0, s46, s0
	s_mul_i32 s12, s8, s10
	s_addc_u32 s1, s47, s1
	s_sub_i32 s6, s6, s12
	s_xor_b32 s11, s16, s11
	s_add_i32 s12, s8, 1
	s_sub_i32 s16, s6, s10
	s_cmp_ge_u32 s6, s10
	s_cselect_b32 s8, s12, s8
	s_cselect_b32 s6, s16, s6
	s_add_i32 s12, s8, 1
	s_cmp_ge_u32 s6, s10
	s_cselect_b32 s6, s12, s8
	s_load_dwordx2 s[14:15], s[4:5], 0xa8
	s_xor_b32 s6, s6, s11
	s_sub_i32 s6, s6, s11
	s_mul_i32 s8, s6, s13
	s_ashr_i32 s10, s8, 31
	s_add_u32 s0, s0, s8
	s_addc_u32 s1, s1, s10
	s_waitcnt lgkmcnt(0)
	s_mul_i32 s8, s33, s15
	s_mul_hi_u32 s10, s33, s14
	s_add_i32 s8, s10, s8
	s_mul_i32 s9, s9, s14
	s_add_i32 s8, s8, s9
	s_mul_i32 s9, s33, s14
	v_lshrrev_b32_e32 v0, 2, v104
	s_add_u32 s9, s48, s9
	s_mul_i32 s6, s6, s3
	v_lshl_add_u32 v0, v9, 3, v0
	s_addc_u32 s8, s49, s8
	s_ashr_i32 s3, s6, 31
	v_and_b32_e32 v1, 12, v105
	v_mul_u32_u24_e32 v2, 0x50, v0
	v_mul_lo_u32 v0, s65, v0
	s_add_u32 s6, s9, s6
	v_lshlrev_b32_e32 v3, 2, v1
	v_ashrrev_i32_e32 v1, 31, v0
	s_addc_u32 s3, s8, s3
	s_movk_i32 s8, 0x6000
	v_lshlrev_b64 v[0:1], 2, v[0:1]
	v_add3_u32 v124, v2, v3, s8
	v_mov_b32_e32 v2, s1
	v_add_co_u32_e32 v0, vcc, s0, v0
	v_addc_co_u32_e32 v1, vcc, v2, v1, vcc
	v_add_co_u32_e32 v125, vcc, v0, v3
	v_mov_b32_e32 v0, 0x4000
	v_addc_co_u32_e32 v126, vcc, 0, v1, vcc
	v_lshl_add_u32 v128, v9, 10, v0
	v_lshrrev_b32_e32 v0, 4, v104
	v_and_b32_e32 v1, 60, v105
	v_lshl_add_u32 v0, v9, 1, v0
	v_lshlrev_b32_e32 v2, 2, v1
	v_lshl_or_b32 v1, v0, 8, v2
	v_mul_lo_u32 v0, s61, v0
	v_add_u32_e32 v129, 0x6000, v1
	v_ashrrev_i32_e32 v1, 31, v0
	v_lshlrev_b64 v[0:1], 2, v[0:1]
	v_mov_b32_e32 v3, s3
	v_add_co_u32_e32 v0, vcc, s6, v0
	v_mad_u64_u32 v[114:115], s[0:1], v10, s2, v[104:105]
	v_addc_co_u32_e32 v1, vcc, v3, v1, vcc
	v_add_co_u32_e32 v130, vcc, v0, v2
	v_mov_b32_e32 v0, 0x6000
	v_mbcnt_hi_u32_b32 v115, -1, v11
	v_addc_co_u32_e32 v131, vcc, 0, v1, vcc
	v_lshl_or_b32 v132, v104, 3, v0
	s_add_u32 s54, s4, 0xd0
	v_mov_b32_e32 v0, 0xfeffffff
	v_mov_b32_e32 v110, 0
	v_and_b32_e32 v1, 0x60, v115
	v_mul_u32_u24_e32 v127, 0x50, v104
	s_addc_u32 s55, s5, 0
	v_mov_b32_e32 v19, 0
	v_mov_b32_e32 v18, 0
	v_add_u32_e32 v118, 32, v1
	v_xor_b32_e32 v122, 16, v115
	v_xor_b32_e32 v123, 8, v115
	;; [unrolled: 1-line block ×5, first 2 shown]
	v_mov_b32_e32 v133, s69
	s_mov_b32 s6, 0x40051340
	s_mov_b32 s67, 0x3fb8aa3b
	;; [unrolled: 1-line block ×4, first 2 shown]
	v_mov_b32_e32 v134, 0x7f800000
	v_add_u32_e32 v135, v128, v8
	v_add_u32_e32 v136, 0x800, v132
	v_mov_b32_e32 v53, 0
	v_mov_b32_e32 v21, 0
	;; [unrolled: 1-line block ×28, first 2 shown]
.LBB0_9:                                ; =>This Inner Loop Header: Depth=1
	v_cmp_lt_i32_e32 vcc, v122, v118
	v_cndmask_b32_e32 v9, v115, v122, vcc
	v_cmp_lt_i32_e32 vcc, v123, v118
	v_cndmask_b32_e32 v10, v115, v123, vcc
	v_cmp_lt_i32_e32 vcc, v121, v118
	s_mul_hi_i32 s1, s60, s65
	s_mul_i32 s0, s60, s65
	v_cndmask_b32_e32 v11, v115, v121, vcc
	v_cmp_lt_i32_e32 vcc, v120, v118
	v_cndmask_b32_e32 v44, v115, v120, vcc
	s_lshl_b64 s[0:1], s[0:1], 2
	v_lshlrev_b32_e32 v57, 2, v44
	v_mov_b32_e32 v44, s1
	v_add_co_u32_e64 v50, s[0:1], s0, v125
	v_addc_co_u32_e64 v51, s[0:1], v126, v44, s[0:1]
	global_load_dwordx4 v[62:65], v[50:51], off
	v_mov_b32_e32 v14, v0
	v_mov_b32_e32 v0, 0
	;; [unrolled: 1-line block ×20, first 2 shown]
	v_add_u32_e32 v8, s60, v114
	v_lshlrev_b32_e32 v60, 2, v9
	v_ashrrev_i32_e32 v9, 31, v8
	v_lshlrev_b32_e32 v59, 2, v10
	v_lshlrev_b32_e32 v58, 2, v11
	v_lshlrev_b64 v[10:11], 1, v[8:9]
	v_add_co_u32_e64 v10, s[0:1], s68, v10
	v_addc_co_u32_e64 v11, s[0:1], v133, v11, s[0:1]
	s_mul_hi_i32 s3, s60, s61
	s_mul_i32 s2, s60, s61
	v_cmp_lt_i32_e32 vcc, v119, v118
	s_lshl_b64 s[2:3], s[2:3], 2
	v_cndmask_b32_e32 v45, v115, v119, vcc
	v_mov_b32_e32 v9, s3
	v_add_co_u32_e32 v8, vcc, s2, v130
	v_addc_co_u32_e32 v9, vcc, v131, v9, vcc
	s_or_b32 s8, s60, 16
	s_or_b32 s9, s60, 32
	s_or_b32 s14, s60, 48
	s_mul_hi_i32 s11, s8, s61
	s_mul_i32 s10, s8, s61
	s_mul_hi_i32 s13, s9, s61
	s_mul_i32 s12, s9, s61
	s_mul_hi_i32 s9, s14, s61
	s_mul_i32 s8, s14, s61
	v_mov_b32_e32 v41, v7
	s_lshl_b64 s[2:3], s[10:11], 2
	s_lshl_b64 s[10:11], s[12:13], 2
	;; [unrolled: 1-line block ×3, first 2 shown]
	v_mov_b32_e32 v40, v6
	v_mov_b32_e32 v42, v4
	;; [unrolled: 1-line block ×3, first 2 shown]
	v_lshlrev_b32_e32 v56, 2, v45
	v_mov_b32_e32 v45, s3
	v_mov_b32_e32 v47, s11
	v_add_co_u32_e32 v46, vcc, s10, v130
	v_mov_b32_e32 v61, s9
	v_add_co_u32_e64 v44, s[0:1], s8, v130
	v_add_co_u32_e64 v48, s[2:3], s2, v130
	v_addc_co_u32_e64 v49, s[2:3], v131, v45, s[2:3]
	v_addc_co_u32_e32 v47, vcc, v131, v47, vcc
	v_addc_co_u32_e64 v45, vcc, v131, v61, s[0:1]
	s_waitcnt vmcnt(0)
	ds_write_b128 v124, v[62:65]
	s_waitcnt lgkmcnt(0)
	s_barrier
	ds_read_b128 v[62:65], v127 offset:24576
	ds_read_b128 v[66:69], v127 offset:27136
	ds_read_b128 v[70:73], v117
	ds_read_b128 v[74:77], v117 offset:256
	ds_read_b128 v[78:81], v117 offset:512
	;; [unrolled: 1-line block ×7, first 2 shown]
	s_waitcnt lgkmcnt(7)
	;;#ASMSTART
	v_dot2_f32_f16 v0, v62, v70, v0
	;;#ASMEND
	;;#ASMSTART
	v_dot2_f32_f16 v0, v63, v71, v0
	;;#ASMEND
	;;#ASMSTART
	v_dot2_f32_f16 v0, v64, v72, v0
	;;#ASMEND
	;;#ASMSTART
	v_dot2_f32_f16 v0, v65, v73, v0
	;;#ASMEND
	s_waitcnt lgkmcnt(6)
	;;#ASMSTART
	v_dot2_f32_f16 v1, v62, v74, v1
	;;#ASMEND
	;;#ASMSTART
	v_dot2_f32_f16 v1, v63, v75, v1
	;;#ASMEND
	;;#ASMSTART
	v_dot2_f32_f16 v1, v64, v76, v1
	;;#ASMEND
	;;#ASMSTART
	v_dot2_f32_f16 v1, v65, v77, v1
	;;#ASMEND
	;; [unrolled: 13-line block ×8, first 2 shown]
	;;#ASMSTART
	v_dot2_f32_f16 v34, v66, v70, v34
	;;#ASMEND
	;;#ASMSTART
	v_dot2_f32_f16 v34, v67, v71, v34
	;;#ASMEND
	;; [unrolled: 3-line block ×32, first 2 shown]
	ds_read_b128 v[62:65], v127 offset:24592
	ds_read_b128 v[66:69], v127 offset:27152
	ds_read_b128 v[70:73], v117 offset:16
	ds_read_b128 v[74:77], v117 offset:272
	ds_read_b128 v[78:81], v117 offset:528
	ds_read_b128 v[82:85], v117 offset:784
	ds_read_b128 v[86:89], v117 offset:1040
	ds_read_b128 v[90:93], v117 offset:1296
	ds_read_b128 v[94:97], v117 offset:1552
	ds_read_b128 v[98:101], v117 offset:1808
	s_waitcnt lgkmcnt(7)
	;;#ASMSTART
	v_dot2_f32_f16 v0, v62, v70, v0
	;;#ASMEND
	;;#ASMSTART
	v_dot2_f32_f16 v0, v63, v71, v0
	;;#ASMEND
	;;#ASMSTART
	v_dot2_f32_f16 v0, v64, v72, v0
	;;#ASMEND
	;;#ASMSTART
	v_dot2_f32_f16 v0, v65, v73, v0
	;;#ASMEND
	s_waitcnt lgkmcnt(6)
	;;#ASMSTART
	v_dot2_f32_f16 v1, v62, v74, v1
	;;#ASMEND
	;;#ASMSTART
	v_dot2_f32_f16 v1, v63, v75, v1
	;;#ASMEND
	;;#ASMSTART
	v_dot2_f32_f16 v1, v64, v76, v1
	;;#ASMEND
	;;#ASMSTART
	v_dot2_f32_f16 v1, v65, v77, v1
	;;#ASMEND
	s_waitcnt lgkmcnt(5)
	;;#ASMSTART
	v_dot2_f32_f16 v2, v62, v78, v2
	;;#ASMEND
	;;#ASMSTART
	v_dot2_f32_f16 v2, v63, v79, v2
	;;#ASMEND
	;;#ASMSTART
	v_dot2_f32_f16 v2, v64, v80, v2
	;;#ASMEND
	;;#ASMSTART
	v_dot2_f32_f16 v2, v65, v81, v2
	;;#ASMEND
	s_waitcnt lgkmcnt(4)
	;;#ASMSTART
	v_dot2_f32_f16 v3, v62, v82, v3
	;;#ASMEND
	;;#ASMSTART
	v_dot2_f32_f16 v3, v63, v83, v3
	;;#ASMEND
	;;#ASMSTART
	v_dot2_f32_f16 v3, v64, v84, v3
	;;#ASMEND
	;;#ASMSTART
	v_dot2_f32_f16 v3, v65, v85, v3
	;;#ASMEND
	s_waitcnt lgkmcnt(3)
	;;#ASMSTART
	v_dot2_f32_f16 v16, v62, v86, v16
	;;#ASMEND
	;;#ASMSTART
	v_dot2_f32_f16 v16, v63, v87, v16
	;;#ASMEND
	;;#ASMSTART
	v_dot2_f32_f16 v16, v64, v88, v16
	;;#ASMEND
	;;#ASMSTART
	v_dot2_f32_f16 v16, v65, v89, v16
	;;#ASMEND
	s_waitcnt lgkmcnt(2)
	;;#ASMSTART
	v_dot2_f32_f16 v17, v62, v90, v17
	;;#ASMEND
	;;#ASMSTART
	v_dot2_f32_f16 v17, v63, v91, v17
	;;#ASMEND
	;;#ASMSTART
	v_dot2_f32_f16 v17, v64, v92, v17
	;;#ASMEND
	;;#ASMSTART
	v_dot2_f32_f16 v17, v65, v93, v17
	;;#ASMEND
	s_waitcnt lgkmcnt(1)
	;;#ASMSTART
	v_dot2_f32_f16 v54, v62, v94, v54
	;;#ASMEND
	;;#ASMSTART
	v_dot2_f32_f16 v54, v63, v95, v54
	;;#ASMEND
	;;#ASMSTART
	v_dot2_f32_f16 v54, v64, v96, v54
	;;#ASMEND
	;;#ASMSTART
	v_dot2_f32_f16 v54, v65, v97, v54
	;;#ASMEND
	s_waitcnt lgkmcnt(0)
	;;#ASMSTART
	v_dot2_f32_f16 v32, v62, v98, v32
	;;#ASMEND
	;;#ASMSTART
	v_dot2_f32_f16 v32, v63, v99, v32
	;;#ASMEND
	;;#ASMSTART
	v_dot2_f32_f16 v32, v64, v100, v32
	;;#ASMEND
	;;#ASMSTART
	v_dot2_f32_f16 v32, v65, v101, v32
	;;#ASMEND
	;;#ASMSTART
	v_dot2_f32_f16 v34, v66, v70, v34
	;;#ASMEND
	;;#ASMSTART
	v_dot2_f32_f16 v34, v67, v71, v34
	;;#ASMEND
	;;#ASMSTART
	v_dot2_f32_f16 v34, v68, v72, v34
	;;#ASMEND
	;;#ASMSTART
	v_dot2_f32_f16 v34, v69, v73, v34
	;;#ASMEND
	;;#ASMSTART
	v_dot2_f32_f16 v35, v66, v74, v35
	;;#ASMEND
	;;#ASMSTART
	v_dot2_f32_f16 v35, v67, v75, v35
	;;#ASMEND
	;;#ASMSTART
	v_dot2_f32_f16 v35, v68, v76, v35
	;;#ASMEND
	;;#ASMSTART
	v_dot2_f32_f16 v35, v69, v77, v35
	;;#ASMEND
	;;#ASMSTART
	v_dot2_f32_f16 v36, v66, v78, v36
	;;#ASMEND
	;;#ASMSTART
	v_dot2_f32_f16 v36, v67, v79, v36
	;;#ASMEND
	;;#ASMSTART
	v_dot2_f32_f16 v36, v68, v80, v36
	;;#ASMEND
	;;#ASMSTART
	v_dot2_f32_f16 v36, v69, v81, v36
	;;#ASMEND
	;;#ASMSTART
	v_dot2_f32_f16 v37, v66, v82, v37
	;;#ASMEND
	;;#ASMSTART
	v_dot2_f32_f16 v37, v67, v83, v37
	;;#ASMEND
	;;#ASMSTART
	v_dot2_f32_f16 v37, v68, v84, v37
	;;#ASMEND
	;;#ASMSTART
	v_dot2_f32_f16 v37, v69, v85, v37
	;;#ASMEND
	;;#ASMSTART
	v_dot2_f32_f16 v38, v66, v86, v38
	;;#ASMEND
	;;#ASMSTART
	v_dot2_f32_f16 v38, v67, v87, v38
	;;#ASMEND
	;;#ASMSTART
	v_dot2_f32_f16 v38, v68, v88, v38
	;;#ASMEND
	;;#ASMSTART
	v_dot2_f32_f16 v38, v69, v89, v38
	;;#ASMEND
	;;#ASMSTART
	v_dot2_f32_f16 v39, v66, v90, v39
	;;#ASMEND
	;;#ASMSTART
	v_dot2_f32_f16 v39, v67, v91, v39
	;;#ASMEND
	;;#ASMSTART
	v_dot2_f32_f16 v39, v68, v92, v39
	;;#ASMEND
	;;#ASMSTART
	v_dot2_f32_f16 v39, v69, v93, v39
	;;#ASMEND
	;;#ASMSTART
	v_dot2_f32_f16 v55, v66, v94, v55
	;;#ASMEND
	;;#ASMSTART
	v_dot2_f32_f16 v55, v67, v95, v55
	;;#ASMEND
	;;#ASMSTART
	v_dot2_f32_f16 v55, v68, v96, v55
	;;#ASMEND
	;;#ASMSTART
	v_dot2_f32_f16 v55, v69, v97, v55
	;;#ASMEND
	;;#ASMSTART
	v_dot2_f32_f16 v33, v66, v98, v33
	;;#ASMEND
	;;#ASMSTART
	v_dot2_f32_f16 v33, v67, v99, v33
	;;#ASMEND
	;;#ASMSTART
	v_dot2_f32_f16 v33, v68, v100, v33
	;;#ASMEND
	;;#ASMSTART
	v_dot2_f32_f16 v33, v69, v101, v33
	;;#ASMEND
	ds_read_b128 v[62:65], v127 offset:24608
	ds_read_b128 v[66:69], v127 offset:27168
	;; [unrolled: 1-line block ×10, first 2 shown]
	s_waitcnt lgkmcnt(7)
	;;#ASMSTART
	v_dot2_f32_f16 v0, v62, v70, v0
	;;#ASMEND
	;;#ASMSTART
	v_dot2_f32_f16 v0, v63, v71, v0
	;;#ASMEND
	;;#ASMSTART
	v_dot2_f32_f16 v0, v64, v72, v0
	;;#ASMEND
	;;#ASMSTART
	v_dot2_f32_f16 v0, v65, v73, v0
	;;#ASMEND
	s_waitcnt lgkmcnt(6)
	;;#ASMSTART
	v_dot2_f32_f16 v1, v62, v74, v1
	;;#ASMEND
	;;#ASMSTART
	v_dot2_f32_f16 v1, v63, v75, v1
	;;#ASMEND
	;;#ASMSTART
	v_dot2_f32_f16 v1, v64, v76, v1
	;;#ASMEND
	;;#ASMSTART
	v_dot2_f32_f16 v1, v65, v77, v1
	;;#ASMEND
	;; [unrolled: 13-line block ×8, first 2 shown]
	;;#ASMSTART
	v_dot2_f32_f16 v34, v66, v70, v34
	;;#ASMEND
	;;#ASMSTART
	v_dot2_f32_f16 v34, v67, v71, v34
	;;#ASMEND
	;; [unrolled: 3-line block ×32, first 2 shown]
	ds_read_b128 v[62:65], v127 offset:24624
	ds_read_b128 v[66:69], v127 offset:27184
	;; [unrolled: 1-line block ×10, first 2 shown]
	s_waitcnt lgkmcnt(7)
	;;#ASMSTART
	v_dot2_f32_f16 v0, v62, v70, v0
	;;#ASMEND
	;;#ASMSTART
	v_dot2_f32_f16 v0, v63, v71, v0
	;;#ASMEND
	;;#ASMSTART
	v_dot2_f32_f16 v0, v64, v72, v0
	;;#ASMEND
	;;#ASMSTART
	v_dot2_f32_f16 v0, v65, v73, v0
	;;#ASMEND
	s_waitcnt lgkmcnt(6)
	;;#ASMSTART
	v_dot2_f32_f16 v1, v62, v74, v1
	;;#ASMEND
	;;#ASMSTART
	v_dot2_f32_f16 v1, v63, v75, v1
	;;#ASMEND
	;;#ASMSTART
	v_dot2_f32_f16 v1, v64, v76, v1
	;;#ASMEND
	;;#ASMSTART
	v_dot2_f32_f16 v1, v65, v77, v1
	;;#ASMEND
	;; [unrolled: 13-line block ×8, first 2 shown]
	;;#ASMSTART
	v_dot2_f32_f16 v34, v66, v70, v34
	;;#ASMEND
	;;#ASMSTART
	v_dot2_f32_f16 v34, v67, v71, v34
	;;#ASMEND
	;; [unrolled: 3-line block ×32, first 2 shown]
	s_barrier
	global_load_dwordx4 v[62:65], v[50:51], off offset:64
	s_waitcnt vmcnt(0)
	ds_write_b128 v124, v[62:65]
	s_waitcnt lgkmcnt(0)
	s_barrier
	ds_read_b128 v[62:65], v127 offset:24576
	ds_read_b128 v[66:69], v127 offset:27136
	;; [unrolled: 1-line block ×10, first 2 shown]
	s_waitcnt lgkmcnt(7)
	;;#ASMSTART
	v_dot2_f32_f16 v0, v62, v70, v0
	;;#ASMEND
	;;#ASMSTART
	v_dot2_f32_f16 v0, v63, v71, v0
	;;#ASMEND
	;;#ASMSTART
	v_dot2_f32_f16 v0, v64, v72, v0
	;;#ASMEND
	;;#ASMSTART
	v_dot2_f32_f16 v0, v65, v73, v0
	;;#ASMEND
	s_waitcnt lgkmcnt(6)
	;;#ASMSTART
	v_dot2_f32_f16 v1, v62, v74, v1
	;;#ASMEND
	;;#ASMSTART
	v_dot2_f32_f16 v1, v63, v75, v1
	;;#ASMEND
	;;#ASMSTART
	v_dot2_f32_f16 v1, v64, v76, v1
	;;#ASMEND
	;;#ASMSTART
	v_dot2_f32_f16 v1, v65, v77, v1
	;;#ASMEND
	;; [unrolled: 13-line block ×8, first 2 shown]
	;;#ASMSTART
	v_dot2_f32_f16 v34, v66, v70, v34
	;;#ASMEND
	;;#ASMSTART
	v_dot2_f32_f16 v34, v67, v71, v34
	;;#ASMEND
	;;#ASMSTART
	v_dot2_f32_f16 v34, v68, v72, v34
	;;#ASMEND
	;;#ASMSTART
	v_dot2_f32_f16 v34, v69, v73, v34
	;;#ASMEND
	;;#ASMSTART
	v_dot2_f32_f16 v35, v66, v74, v35
	;;#ASMEND
	;;#ASMSTART
	v_dot2_f32_f16 v35, v67, v75, v35
	;;#ASMEND
	;;#ASMSTART
	v_dot2_f32_f16 v35, v68, v76, v35
	;;#ASMEND
	;;#ASMSTART
	v_dot2_f32_f16 v35, v69, v77, v35
	;;#ASMEND
	;;#ASMSTART
	v_dot2_f32_f16 v36, v66, v78, v36
	;;#ASMEND
	;;#ASMSTART
	v_dot2_f32_f16 v36, v67, v79, v36
	;;#ASMEND
	;;#ASMSTART
	v_dot2_f32_f16 v36, v68, v80, v36
	;;#ASMEND
	;;#ASMSTART
	v_dot2_f32_f16 v36, v69, v81, v36
	;;#ASMEND
	;;#ASMSTART
	v_dot2_f32_f16 v37, v66, v82, v37
	;;#ASMEND
	;;#ASMSTART
	v_dot2_f32_f16 v37, v67, v83, v37
	;;#ASMEND
	;;#ASMSTART
	v_dot2_f32_f16 v37, v68, v84, v37
	;;#ASMEND
	;;#ASMSTART
	v_dot2_f32_f16 v37, v69, v85, v37
	;;#ASMEND
	;;#ASMSTART
	v_dot2_f32_f16 v38, v66, v86, v38
	;;#ASMEND
	;;#ASMSTART
	v_dot2_f32_f16 v38, v67, v87, v38
	;;#ASMEND
	;;#ASMSTART
	v_dot2_f32_f16 v38, v68, v88, v38
	;;#ASMEND
	;;#ASMSTART
	v_dot2_f32_f16 v38, v69, v89, v38
	;;#ASMEND
	;;#ASMSTART
	v_dot2_f32_f16 v39, v66, v90, v39
	;;#ASMEND
	;;#ASMSTART
	v_dot2_f32_f16 v39, v67, v91, v39
	;;#ASMEND
	;;#ASMSTART
	v_dot2_f32_f16 v39, v68, v92, v39
	;;#ASMEND
	;;#ASMSTART
	v_dot2_f32_f16 v39, v69, v93, v39
	;;#ASMEND
	;;#ASMSTART
	v_dot2_f32_f16 v55, v66, v94, v55
	;;#ASMEND
	;;#ASMSTART
	v_dot2_f32_f16 v55, v67, v95, v55
	;;#ASMEND
	;;#ASMSTART
	v_dot2_f32_f16 v55, v68, v96, v55
	;;#ASMEND
	;;#ASMSTART
	v_dot2_f32_f16 v55, v69, v97, v55
	;;#ASMEND
	;;#ASMSTART
	v_dot2_f32_f16 v33, v66, v98, v33
	;;#ASMEND
	;;#ASMSTART
	v_dot2_f32_f16 v33, v67, v99, v33
	;;#ASMEND
	;;#ASMSTART
	v_dot2_f32_f16 v33, v68, v100, v33
	;;#ASMEND
	;;#ASMSTART
	v_dot2_f32_f16 v33, v69, v101, v33
	;;#ASMEND
	ds_read_b128 v[62:65], v127 offset:24592
	ds_read_b128 v[66:69], v127 offset:27152
	ds_read_b128 v[70:73], v117 offset:80
	ds_read_b128 v[74:77], v117 offset:336
	ds_read_b128 v[78:81], v117 offset:592
	ds_read_b128 v[82:85], v117 offset:848
	ds_read_b128 v[86:89], v117 offset:1104
	ds_read_b128 v[90:93], v117 offset:1360
	ds_read_b128 v[94:97], v117 offset:1616
	ds_read_b128 v[98:101], v117 offset:1872
	s_waitcnt lgkmcnt(7)
	;;#ASMSTART
	v_dot2_f32_f16 v0, v62, v70, v0
	;;#ASMEND
	;;#ASMSTART
	v_dot2_f32_f16 v0, v63, v71, v0
	;;#ASMEND
	;;#ASMSTART
	v_dot2_f32_f16 v0, v64, v72, v0
	;;#ASMEND
	;;#ASMSTART
	v_dot2_f32_f16 v0, v65, v73, v0
	;;#ASMEND
	s_waitcnt lgkmcnt(6)
	;;#ASMSTART
	v_dot2_f32_f16 v1, v62, v74, v1
	;;#ASMEND
	;;#ASMSTART
	v_dot2_f32_f16 v1, v63, v75, v1
	;;#ASMEND
	;;#ASMSTART
	v_dot2_f32_f16 v1, v64, v76, v1
	;;#ASMEND
	;;#ASMSTART
	v_dot2_f32_f16 v1, v65, v77, v1
	;;#ASMEND
	;; [unrolled: 13-line block ×8, first 2 shown]
	;;#ASMSTART
	v_dot2_f32_f16 v34, v66, v70, v34
	;;#ASMEND
	;;#ASMSTART
	v_dot2_f32_f16 v34, v67, v71, v34
	;;#ASMEND
	;; [unrolled: 3-line block ×32, first 2 shown]
	ds_read_b128 v[62:65], v127 offset:24608
	ds_read_b128 v[66:69], v127 offset:27168
	;; [unrolled: 1-line block ×10, first 2 shown]
	s_waitcnt lgkmcnt(7)
	;;#ASMSTART
	v_dot2_f32_f16 v0, v62, v70, v0
	;;#ASMEND
	;;#ASMSTART
	v_dot2_f32_f16 v0, v63, v71, v0
	;;#ASMEND
	;;#ASMSTART
	v_dot2_f32_f16 v0, v64, v72, v0
	;;#ASMEND
	;;#ASMSTART
	v_dot2_f32_f16 v0, v65, v73, v0
	;;#ASMEND
	s_waitcnt lgkmcnt(6)
	;;#ASMSTART
	v_dot2_f32_f16 v1, v62, v74, v1
	;;#ASMEND
	;;#ASMSTART
	v_dot2_f32_f16 v1, v63, v75, v1
	;;#ASMEND
	;;#ASMSTART
	v_dot2_f32_f16 v1, v64, v76, v1
	;;#ASMEND
	;;#ASMSTART
	v_dot2_f32_f16 v1, v65, v77, v1
	;;#ASMEND
	;; [unrolled: 13-line block ×8, first 2 shown]
	;;#ASMSTART
	v_dot2_f32_f16 v34, v66, v70, v34
	;;#ASMEND
	;;#ASMSTART
	v_dot2_f32_f16 v34, v67, v71, v34
	;;#ASMEND
	;; [unrolled: 3-line block ×32, first 2 shown]
	ds_read_b128 v[62:65], v127 offset:24624
	ds_read_b128 v[66:69], v127 offset:27184
	ds_read_b128 v[70:73], v117 offset:112
	ds_read_b128 v[74:77], v117 offset:368
	ds_read_b128 v[78:81], v117 offset:624
	ds_read_b128 v[82:85], v117 offset:880
	ds_read_b128 v[86:89], v117 offset:1136
	ds_read_b128 v[90:93], v117 offset:1392
	ds_read_b128 v[94:97], v117 offset:1648
	ds_read_b128 v[98:101], v117 offset:1904
	s_waitcnt lgkmcnt(7)
	;;#ASMSTART
	v_dot2_f32_f16 v0, v62, v70, v0
	;;#ASMEND
	;;#ASMSTART
	v_dot2_f32_f16 v0, v63, v71, v0
	;;#ASMEND
	;;#ASMSTART
	v_dot2_f32_f16 v0, v64, v72, v0
	;;#ASMEND
	;;#ASMSTART
	v_dot2_f32_f16 v0, v65, v73, v0
	;;#ASMEND
	s_waitcnt lgkmcnt(6)
	;;#ASMSTART
	v_dot2_f32_f16 v1, v62, v74, v1
	;;#ASMEND
	;;#ASMSTART
	v_dot2_f32_f16 v1, v63, v75, v1
	;;#ASMEND
	;;#ASMSTART
	v_dot2_f32_f16 v1, v64, v76, v1
	;;#ASMEND
	;;#ASMSTART
	v_dot2_f32_f16 v1, v65, v77, v1
	;;#ASMEND
	;; [unrolled: 13-line block ×8, first 2 shown]
	;;#ASMSTART
	v_dot2_f32_f16 v34, v66, v70, v34
	;;#ASMEND
	;;#ASMSTART
	v_dot2_f32_f16 v34, v67, v71, v34
	;;#ASMEND
	;; [unrolled: 3-line block ×32, first 2 shown]
	s_barrier
	global_load_dwordx4 v[62:65], v[50:51], off offset:128
	s_waitcnt vmcnt(0)
	ds_write_b128 v124, v[62:65]
	s_waitcnt lgkmcnt(0)
	s_barrier
	ds_read_b128 v[62:65], v127 offset:24576
	ds_read_b128 v[66:69], v127 offset:27136
	;; [unrolled: 1-line block ×10, first 2 shown]
	s_waitcnt lgkmcnt(7)
	;;#ASMSTART
	v_dot2_f32_f16 v0, v62, v70, v0
	;;#ASMEND
	;;#ASMSTART
	v_dot2_f32_f16 v0, v63, v71, v0
	;;#ASMEND
	;;#ASMSTART
	v_dot2_f32_f16 v0, v64, v72, v0
	;;#ASMEND
	;;#ASMSTART
	v_dot2_f32_f16 v0, v65, v73, v0
	;;#ASMEND
	s_waitcnt lgkmcnt(6)
	;;#ASMSTART
	v_dot2_f32_f16 v1, v62, v74, v1
	;;#ASMEND
	;;#ASMSTART
	v_dot2_f32_f16 v1, v63, v75, v1
	;;#ASMEND
	;;#ASMSTART
	v_dot2_f32_f16 v1, v64, v76, v1
	;;#ASMEND
	;;#ASMSTART
	v_dot2_f32_f16 v1, v65, v77, v1
	;;#ASMEND
	;; [unrolled: 13-line block ×8, first 2 shown]
	;;#ASMSTART
	v_dot2_f32_f16 v34, v66, v70, v34
	;;#ASMEND
	;;#ASMSTART
	v_dot2_f32_f16 v34, v67, v71, v34
	;;#ASMEND
	;; [unrolled: 3-line block ×32, first 2 shown]
	ds_read_b128 v[62:65], v127 offset:24592
	ds_read_b128 v[66:69], v127 offset:27152
	;; [unrolled: 1-line block ×10, first 2 shown]
	s_waitcnt lgkmcnt(7)
	;;#ASMSTART
	v_dot2_f32_f16 v0, v62, v70, v0
	;;#ASMEND
	;;#ASMSTART
	v_dot2_f32_f16 v0, v63, v71, v0
	;;#ASMEND
	;;#ASMSTART
	v_dot2_f32_f16 v0, v64, v72, v0
	;;#ASMEND
	;;#ASMSTART
	v_dot2_f32_f16 v0, v65, v73, v0
	;;#ASMEND
	s_waitcnt lgkmcnt(6)
	;;#ASMSTART
	v_dot2_f32_f16 v1, v62, v74, v1
	;;#ASMEND
	;;#ASMSTART
	v_dot2_f32_f16 v1, v63, v75, v1
	;;#ASMEND
	;;#ASMSTART
	v_dot2_f32_f16 v1, v64, v76, v1
	;;#ASMEND
	;;#ASMSTART
	v_dot2_f32_f16 v1, v65, v77, v1
	;;#ASMEND
	;; [unrolled: 13-line block ×8, first 2 shown]
	;;#ASMSTART
	v_dot2_f32_f16 v34, v66, v70, v34
	;;#ASMEND
	;;#ASMSTART
	v_dot2_f32_f16 v34, v67, v71, v34
	;;#ASMEND
	;;#ASMSTART
	v_dot2_f32_f16 v34, v68, v72, v34
	;;#ASMEND
	;;#ASMSTART
	v_dot2_f32_f16 v34, v69, v73, v34
	;;#ASMEND
	;;#ASMSTART
	v_dot2_f32_f16 v35, v66, v74, v35
	;;#ASMEND
	;;#ASMSTART
	v_dot2_f32_f16 v35, v67, v75, v35
	;;#ASMEND
	;;#ASMSTART
	v_dot2_f32_f16 v35, v68, v76, v35
	;;#ASMEND
	;;#ASMSTART
	v_dot2_f32_f16 v35, v69, v77, v35
	;;#ASMEND
	;;#ASMSTART
	v_dot2_f32_f16 v36, v66, v78, v36
	;;#ASMEND
	;;#ASMSTART
	v_dot2_f32_f16 v36, v67, v79, v36
	;;#ASMEND
	;;#ASMSTART
	v_dot2_f32_f16 v36, v68, v80, v36
	;;#ASMEND
	;;#ASMSTART
	v_dot2_f32_f16 v36, v69, v81, v36
	;;#ASMEND
	;;#ASMSTART
	v_dot2_f32_f16 v37, v66, v82, v37
	;;#ASMEND
	;;#ASMSTART
	v_dot2_f32_f16 v37, v67, v83, v37
	;;#ASMEND
	;;#ASMSTART
	v_dot2_f32_f16 v37, v68, v84, v37
	;;#ASMEND
	;;#ASMSTART
	v_dot2_f32_f16 v37, v69, v85, v37
	;;#ASMEND
	;;#ASMSTART
	v_dot2_f32_f16 v38, v66, v86, v38
	;;#ASMEND
	;;#ASMSTART
	v_dot2_f32_f16 v38, v67, v87, v38
	;;#ASMEND
	;;#ASMSTART
	v_dot2_f32_f16 v38, v68, v88, v38
	;;#ASMEND
	;;#ASMSTART
	v_dot2_f32_f16 v38, v69, v89, v38
	;;#ASMEND
	;;#ASMSTART
	v_dot2_f32_f16 v39, v66, v90, v39
	;;#ASMEND
	;;#ASMSTART
	v_dot2_f32_f16 v39, v67, v91, v39
	;;#ASMEND
	;;#ASMSTART
	v_dot2_f32_f16 v39, v68, v92, v39
	;;#ASMEND
	;;#ASMSTART
	v_dot2_f32_f16 v39, v69, v93, v39
	;;#ASMEND
	;;#ASMSTART
	v_dot2_f32_f16 v55, v66, v94, v55
	;;#ASMEND
	;;#ASMSTART
	v_dot2_f32_f16 v55, v67, v95, v55
	;;#ASMEND
	;;#ASMSTART
	v_dot2_f32_f16 v55, v68, v96, v55
	;;#ASMEND
	;;#ASMSTART
	v_dot2_f32_f16 v55, v69, v97, v55
	;;#ASMEND
	;;#ASMSTART
	v_dot2_f32_f16 v33, v66, v98, v33
	;;#ASMEND
	;;#ASMSTART
	v_dot2_f32_f16 v33, v67, v99, v33
	;;#ASMEND
	;;#ASMSTART
	v_dot2_f32_f16 v33, v68, v100, v33
	;;#ASMEND
	;;#ASMSTART
	v_dot2_f32_f16 v33, v69, v101, v33
	;;#ASMEND
	ds_read_b128 v[62:65], v127 offset:24608
	ds_read_b128 v[66:69], v127 offset:27168
	;; [unrolled: 1-line block ×10, first 2 shown]
	s_waitcnt lgkmcnt(7)
	;;#ASMSTART
	v_dot2_f32_f16 v0, v62, v70, v0
	;;#ASMEND
	;;#ASMSTART
	v_dot2_f32_f16 v0, v63, v71, v0
	;;#ASMEND
	;;#ASMSTART
	v_dot2_f32_f16 v0, v64, v72, v0
	;;#ASMEND
	;;#ASMSTART
	v_dot2_f32_f16 v0, v65, v73, v0
	;;#ASMEND
	s_waitcnt lgkmcnt(6)
	;;#ASMSTART
	v_dot2_f32_f16 v1, v62, v74, v1
	;;#ASMEND
	;;#ASMSTART
	v_dot2_f32_f16 v1, v63, v75, v1
	;;#ASMEND
	;;#ASMSTART
	v_dot2_f32_f16 v1, v64, v76, v1
	;;#ASMEND
	;;#ASMSTART
	v_dot2_f32_f16 v1, v65, v77, v1
	;;#ASMEND
	;; [unrolled: 13-line block ×8, first 2 shown]
	;;#ASMSTART
	v_dot2_f32_f16 v34, v66, v70, v34
	;;#ASMEND
	;;#ASMSTART
	v_dot2_f32_f16 v34, v67, v71, v34
	;;#ASMEND
	;; [unrolled: 3-line block ×32, first 2 shown]
	ds_read_b128 v[62:65], v127 offset:24624
	ds_read_b128 v[66:69], v127 offset:27184
	;; [unrolled: 1-line block ×10, first 2 shown]
	s_waitcnt lgkmcnt(7)
	;;#ASMSTART
	v_dot2_f32_f16 v0, v62, v70, v0
	;;#ASMEND
	;;#ASMSTART
	v_dot2_f32_f16 v0, v63, v71, v0
	;;#ASMEND
	;;#ASMSTART
	v_dot2_f32_f16 v0, v64, v72, v0
	;;#ASMEND
	;;#ASMSTART
	v_dot2_f32_f16 v0, v65, v73, v0
	;;#ASMEND
	s_waitcnt lgkmcnt(6)
	;;#ASMSTART
	v_dot2_f32_f16 v1, v62, v74, v1
	;;#ASMEND
	;;#ASMSTART
	v_dot2_f32_f16 v1, v63, v75, v1
	;;#ASMEND
	;;#ASMSTART
	v_dot2_f32_f16 v1, v64, v76, v1
	;;#ASMEND
	;;#ASMSTART
	v_dot2_f32_f16 v1, v65, v77, v1
	;;#ASMEND
	;; [unrolled: 13-line block ×8, first 2 shown]
	;;#ASMSTART
	v_dot2_f32_f16 v34, v66, v70, v34
	;;#ASMEND
	;;#ASMSTART
	v_dot2_f32_f16 v34, v67, v71, v34
	;;#ASMEND
	;; [unrolled: 3-line block ×32, first 2 shown]
	s_barrier
	global_load_dwordx4 v[62:65], v[50:51], off offset:192
	s_waitcnt vmcnt(0)
	ds_write_b128 v124, v[62:65]
	s_waitcnt lgkmcnt(0)
	s_barrier
	ds_read_b128 v[62:65], v127 offset:24576
	ds_read_b128 v[66:69], v127 offset:27136
	;; [unrolled: 1-line block ×10, first 2 shown]
	s_waitcnt lgkmcnt(7)
	;;#ASMSTART
	v_dot2_f32_f16 v0, v62, v70, v0
	;;#ASMEND
	;;#ASMSTART
	v_dot2_f32_f16 v0, v63, v71, v0
	;;#ASMEND
	;;#ASMSTART
	v_dot2_f32_f16 v0, v64, v72, v0
	;;#ASMEND
	;;#ASMSTART
	v_dot2_f32_f16 v0, v65, v73, v0
	;;#ASMEND
	s_waitcnt lgkmcnt(6)
	;;#ASMSTART
	v_dot2_f32_f16 v1, v62, v74, v1
	;;#ASMEND
	;;#ASMSTART
	v_dot2_f32_f16 v1, v63, v75, v1
	;;#ASMEND
	;;#ASMSTART
	v_dot2_f32_f16 v1, v64, v76, v1
	;;#ASMEND
	;;#ASMSTART
	v_dot2_f32_f16 v1, v65, v77, v1
	;;#ASMEND
	;; [unrolled: 13-line block ×8, first 2 shown]
	;;#ASMSTART
	v_dot2_f32_f16 v34, v66, v70, v34
	;;#ASMEND
	;;#ASMSTART
	v_dot2_f32_f16 v34, v67, v71, v34
	;;#ASMEND
	;; [unrolled: 3-line block ×32, first 2 shown]
	ds_read_b128 v[62:65], v127 offset:24592
	ds_read_b128 v[66:69], v127 offset:27152
	;; [unrolled: 1-line block ×10, first 2 shown]
	s_waitcnt lgkmcnt(7)
	;;#ASMSTART
	v_dot2_f32_f16 v0, v62, v70, v0
	;;#ASMEND
	;;#ASMSTART
	v_dot2_f32_f16 v0, v63, v71, v0
	;;#ASMEND
	;;#ASMSTART
	v_dot2_f32_f16 v0, v64, v72, v0
	;;#ASMEND
	;;#ASMSTART
	v_dot2_f32_f16 v0, v65, v73, v0
	;;#ASMEND
	s_waitcnt lgkmcnt(6)
	;;#ASMSTART
	v_dot2_f32_f16 v1, v62, v74, v1
	;;#ASMEND
	;;#ASMSTART
	v_dot2_f32_f16 v1, v63, v75, v1
	;;#ASMEND
	;;#ASMSTART
	v_dot2_f32_f16 v1, v64, v76, v1
	;;#ASMEND
	;;#ASMSTART
	v_dot2_f32_f16 v1, v65, v77, v1
	;;#ASMEND
	;; [unrolled: 13-line block ×8, first 2 shown]
	;;#ASMSTART
	v_dot2_f32_f16 v34, v66, v70, v34
	;;#ASMEND
	;;#ASMSTART
	v_dot2_f32_f16 v34, v67, v71, v34
	;;#ASMEND
	;; [unrolled: 3-line block ×32, first 2 shown]
	ds_read_b128 v[62:65], v127 offset:24608
	ds_read_b128 v[66:69], v127 offset:27168
	ds_read_b128 v[70:73], v117 offset:224
	ds_read_b128 v[74:77], v117 offset:480
	ds_read_b128 v[78:81], v117 offset:736
	ds_read_b128 v[82:85], v117 offset:992
	ds_read_b128 v[86:89], v117 offset:1248
	ds_read_b128 v[90:93], v117 offset:1504
	ds_read_b128 v[94:97], v117 offset:1760
	ds_read_b128 v[98:101], v117 offset:2016
	s_waitcnt lgkmcnt(7)
	;;#ASMSTART
	v_dot2_f32_f16 v0, v62, v70, v0
	;;#ASMEND
	;;#ASMSTART
	v_dot2_f32_f16 v0, v63, v71, v0
	;;#ASMEND
	;;#ASMSTART
	v_dot2_f32_f16 v0, v64, v72, v0
	;;#ASMEND
	;;#ASMSTART
	v_dot2_f32_f16 v0, v65, v73, v0
	;;#ASMEND
	s_waitcnt lgkmcnt(6)
	;;#ASMSTART
	v_dot2_f32_f16 v1, v62, v74, v1
	;;#ASMEND
	;;#ASMSTART
	v_dot2_f32_f16 v1, v63, v75, v1
	;;#ASMEND
	;;#ASMSTART
	v_dot2_f32_f16 v1, v64, v76, v1
	;;#ASMEND
	;;#ASMSTART
	v_dot2_f32_f16 v1, v65, v77, v1
	;;#ASMEND
	;; [unrolled: 13-line block ×8, first 2 shown]
	;;#ASMSTART
	v_dot2_f32_f16 v34, v66, v70, v34
	;;#ASMEND
	;;#ASMSTART
	v_dot2_f32_f16 v34, v67, v71, v34
	;;#ASMEND
	;; [unrolled: 3-line block ×32, first 2 shown]
	ds_read_b128 v[62:65], v127 offset:24624
	ds_read_b128 v[66:69], v127 offset:27184
	;; [unrolled: 1-line block ×10, first 2 shown]
	s_waitcnt lgkmcnt(7)
	;;#ASMSTART
	v_dot2_f32_f16 v0, v62, v70, v0
	;;#ASMEND
	;;#ASMSTART
	v_dot2_f32_f16 v0, v63, v71, v0
	;;#ASMEND
	;;#ASMSTART
	v_dot2_f32_f16 v0, v64, v72, v0
	;;#ASMEND
	;;#ASMSTART
	v_dot2_f32_f16 v0, v65, v73, v0
	;;#ASMEND
	s_waitcnt lgkmcnt(6)
	;;#ASMSTART
	v_dot2_f32_f16 v1, v62, v74, v1
	;;#ASMEND
	;;#ASMSTART
	v_dot2_f32_f16 v1, v63, v75, v1
	;;#ASMEND
	;;#ASMSTART
	v_dot2_f32_f16 v1, v64, v76, v1
	;;#ASMEND
	;;#ASMSTART
	v_dot2_f32_f16 v1, v65, v77, v1
	;;#ASMEND
	;; [unrolled: 13-line block ×8, first 2 shown]
	;;#ASMSTART
	v_dot2_f32_f16 v34, v66, v70, v34
	;;#ASMEND
	;;#ASMSTART
	v_dot2_f32_f16 v34, v67, v71, v34
	;;#ASMEND
	;;#ASMSTART
	v_dot2_f32_f16 v34, v68, v72, v34
	;;#ASMEND
	;;#ASMSTART
	v_dot2_f32_f16 v34, v69, v73, v34
	;;#ASMEND
	;;#ASMSTART
	v_dot2_f32_f16 v35, v66, v74, v35
	;;#ASMEND
	;;#ASMSTART
	v_dot2_f32_f16 v35, v67, v75, v35
	;;#ASMEND
	;;#ASMSTART
	v_dot2_f32_f16 v35, v68, v76, v35
	;;#ASMEND
	;;#ASMSTART
	v_dot2_f32_f16 v35, v69, v77, v35
	;;#ASMEND
	;;#ASMSTART
	v_dot2_f32_f16 v36, v66, v78, v36
	;;#ASMEND
	;;#ASMSTART
	v_dot2_f32_f16 v36, v67, v79, v36
	;;#ASMEND
	;;#ASMSTART
	v_dot2_f32_f16 v36, v68, v80, v36
	;;#ASMEND
	;;#ASMSTART
	v_dot2_f32_f16 v36, v69, v81, v36
	;;#ASMEND
	;;#ASMSTART
	v_dot2_f32_f16 v37, v66, v82, v37
	;;#ASMEND
	;;#ASMSTART
	v_dot2_f32_f16 v37, v67, v83, v37
	;;#ASMEND
	;;#ASMSTART
	v_dot2_f32_f16 v37, v68, v84, v37
	;;#ASMEND
	;;#ASMSTART
	v_dot2_f32_f16 v37, v69, v85, v37
	;;#ASMEND
	;;#ASMSTART
	v_dot2_f32_f16 v38, v66, v86, v38
	;;#ASMEND
	;;#ASMSTART
	v_dot2_f32_f16 v38, v67, v87, v38
	;;#ASMEND
	;;#ASMSTART
	v_dot2_f32_f16 v38, v68, v88, v38
	;;#ASMEND
	;;#ASMSTART
	v_dot2_f32_f16 v38, v69, v89, v38
	;;#ASMEND
	;;#ASMSTART
	v_dot2_f32_f16 v39, v66, v90, v39
	;;#ASMEND
	;;#ASMSTART
	v_dot2_f32_f16 v39, v67, v91, v39
	;;#ASMEND
	;;#ASMSTART
	v_dot2_f32_f16 v39, v68, v92, v39
	;;#ASMEND
	;;#ASMSTART
	v_dot2_f32_f16 v39, v69, v93, v39
	;;#ASMEND
	;;#ASMSTART
	v_dot2_f32_f16 v55, v66, v94, v55
	;;#ASMEND
	;;#ASMSTART
	v_dot2_f32_f16 v55, v67, v95, v55
	;;#ASMEND
	;;#ASMSTART
	v_dot2_f32_f16 v55, v68, v96, v55
	;;#ASMEND
	;;#ASMSTART
	v_dot2_f32_f16 v55, v69, v97, v55
	;;#ASMEND
	;;#ASMSTART
	v_dot2_f32_f16 v33, v66, v98, v33
	;;#ASMEND
	;;#ASMSTART
	v_dot2_f32_f16 v33, v67, v99, v33
	;;#ASMEND
	;;#ASMSTART
	v_dot2_f32_f16 v33, v68, v100, v33
	;;#ASMEND
	;;#ASMSTART
	v_dot2_f32_f16 v33, v69, v101, v33
	;;#ASMEND
	flat_load_ushort v50, v[10:11]
	flat_load_ushort v51, v[10:11] offset:64
	s_waitcnt lgkmcnt(0)
	s_barrier
	global_load_dwordx4 v[8:11], v[8:9], off
	s_waitcnt vmcnt(0)
	v_cvt_f32_f16_e32 v50, v50
	v_cvt_f32_f16_e32 v51, v51
	v_add_f32_e32 v54, v54, v50
	v_pk_add_f32 v[64:65], v[32:33], v[50:51]
	v_pk_add_f32 v[32:33], v[0:1], v[50:51] op_sel_hi:[1,0]
	v_mov_b32_e32 v0, v51
	v_add_f32_e32 v62, v55, v51
	v_mov_b32_e32 v55, v64
	v_mov_b32_e32 v63, v65
	v_pk_add_f32 v[34:35], v[34:35], v[0:1] op_sel_hi:[1,0]
	v_pk_add_f32 v[66:67], v[2:3], v[50:51] op_sel_hi:[1,0]
	;; [unrolled: 1-line block ×13, first 2 shown]
	v_max3_f32 v1, v7, v1, v39
	v_max3_f32 v0, v6, v0, v38
	;; [unrolled: 1-line block ×8, first 2 shown]
	ds_bpermute_b32 v38, v60, v0
	ds_bpermute_b32 v39, v60, v1
	ds_bpermute_b32 v50, v60, v7
	ds_bpermute_b32 v51, v60, v6
	ds_bpermute_b32 v55, v60, v2
	ds_bpermute_b32 v61, v60, v3
	ds_bpermute_b32 v63, v60, v4
	ds_bpermute_b32 v60, v60, v5
	s_waitcnt lgkmcnt(6)
	v_max_f32_e32 v39, v39, v39
	v_max_f32_e32 v38, v38, v38
	s_waitcnt lgkmcnt(5)
	v_max_f32_e32 v50, v50, v50
	s_waitcnt lgkmcnt(2)
	v_max_f32_e32 v61, v61, v61
	v_max_f32_e32 v55, v55, v55
	v_max_f32_e32 v51, v51, v51
	s_waitcnt lgkmcnt(0)
	v_max_f32_e32 v60, v60, v60
	v_max_f32_e32 v63, v63, v63
	v_max_f32_e32 v1, v1, v39
	v_max_f32_e32 v0, v0, v38
	v_max_f32_e32 v7, v7, v50
	v_max_f32_e32 v3, v3, v61
	v_max_f32_e32 v2, v2, v55
	v_max_f32_e32 v6, v6, v51
	v_max_f32_e32 v5, v5, v60
	v_max_f32_e32 v4, v4, v63
	ds_bpermute_b32 v38, v59, v0
	ds_bpermute_b32 v39, v59, v1
	ds_bpermute_b32 v50, v59, v7
	ds_bpermute_b32 v51, v59, v6
	ds_bpermute_b32 v55, v59, v2
	ds_bpermute_b32 v60, v59, v3
	ds_bpermute_b32 v61, v59, v4
	ds_bpermute_b32 v59, v59, v5
	s_waitcnt lgkmcnt(6)
	v_max_f32_e32 v39, v39, v39
	v_max_f32_e32 v38, v38, v38
	s_waitcnt lgkmcnt(5)
	v_max_f32_e32 v50, v50, v50
	s_waitcnt lgkmcnt(2)
	v_max_f32_e32 v60, v60, v60
	v_max_f32_e32 v55, v55, v55
	v_max_f32_e32 v51, v51, v51
	s_waitcnt lgkmcnt(0)
	v_max_f32_e32 v59, v59, v59
	v_max_f32_e32 v61, v61, v61
	v_max_f32_e32 v1, v1, v39
	v_max_f32_e32 v0, v0, v38
	v_max_f32_e32 v7, v7, v50
	v_max_f32_e32 v3, v3, v60
	v_max_f32_e32 v2, v2, v55
	v_max_f32_e32 v6, v6, v51
	v_max_f32_e32 v5, v5, v59
	v_max_f32_e32 v4, v4, v61
	;; [unrolled: 28-line block ×4, first 2 shown]
	ds_bpermute_b32 v6, v56, v0
	ds_bpermute_b32 v7, v56, v1
	;; [unrolled: 1-line block ×8, first 2 shown]
	s_waitcnt lgkmcnt(6)
	v_max_f32_e32 v7, v7, v7
	v_max_f32_e32 v6, v6, v6
	s_waitcnt lgkmcnt(5)
	v_max_f32_e32 v50, v50, v50
	s_waitcnt lgkmcnt(3)
	v_max_f32_e32 v55, v55, v55
	s_waitcnt lgkmcnt(2)
	v_max_f32_e32 v57, v57, v57
	v_max_f32_e32 v51, v51, v51
	s_waitcnt lgkmcnt(0)
	v_max_f32_e32 v56, v56, v56
	v_max_f32_e32 v58, v58, v58
	;; [unrolled: 1-line block ×10, first 2 shown]
	v_sub_f32_e32 v50, v54, v6
	v_sub_f32_e32 v51, v62, v6
	v_pk_add_f32 v[38:39], v[40:41], v[6:7] neg_lo:[0,1] neg_hi:[0,1]
	v_mov_b32_e32 v40, v7
	v_sub_f32_e32 v41, v32, v0
	v_sub_f32_e32 v54, v33, v1
	;; [unrolled: 1-line block ×8, first 2 shown]
	v_pk_add_f32 v[36:37], v[14:15], v[0:1] neg_lo:[0,1] neg_hi:[0,1]
	v_pk_add_f32 v[34:35], v[12:13], v[2:3] neg_lo:[0,1] neg_hi:[0,1]
	;; [unrolled: 1-line block ×5, first 2 shown]
	v_mul_f32_e32 v42, 0x3fb8aa3b, v50
	v_mul_f32_e32 v43, 0x3fb8aa3b, v51
	;; [unrolled: 1-line block ×4, first 2 shown]
	v_pk_add_f32 v[12:13], v[64:65], v[40:41] op_sel_hi:[1,0] neg_lo:[0,1] neg_hi:[0,1]
	v_mul_f32_e32 v40, 0x3fb8aa3b, v56
	v_mul_f32_e32 v63, 0x3fb8aa3b, v55
	;; [unrolled: 1-line block ×17, first 2 shown]
	v_fma_f32 v80, v50, s67, -v42
	v_rndne_f32_e32 v81, v42
	v_fma_f32 v82, v51, s67, -v43
	v_rndne_f32_e32 v83, v43
	;; [unrolled: 2-line block ×4, first 2 shown]
	v_mul_f32_e32 v88, 0x3fb8aa3b, v13
	v_mul_f32_e32 v89, 0x3fb8aa3b, v12
	;; [unrolled: 1-line block ×3, first 2 shown]
	v_fma_f32 v90, v56, s67, -v40
	v_rndne_f32_e32 v91, v40
	v_fma_f32 v92, v55, s67, -v63
	v_rndne_f32_e32 v93, v63
	;; [unrolled: 2-line block ×17, first 2 shown]
	v_fmac_f32_e32 v80, 0x32a5705f, v50
	v_sub_f32_e32 v42, v42, v81
	v_fmac_f32_e32 v82, 0x32a5705f, v51
	v_sub_f32_e32 v43, v43, v83
	;; [unrolled: 2-line block ×4, first 2 shown]
	v_fma_f32 v159, v13, s67, -v88
	v_rndne_f32_e32 v160, v88
	v_fma_f32 v161, v12, s67, -v89
	v_rndne_f32_e32 v162, v89
	;; [unrolled: 2-line block ×3, first 2 shown]
	v_fmac_f32_e32 v90, 0x32a5705f, v56
	v_sub_f32_e32 v40, v40, v91
	v_fmac_f32_e32 v92, 0x32a5705f, v55
	v_sub_f32_e32 v63, v63, v93
	v_fmac_f32_e32 v94, 0x32a5705f, v54
	v_sub_f32_e32 v64, v64, v95
	v_fmac_f32_e32 v96, 0x32a5705f, v41
	v_sub_f32_e32 v65, v65, v97
	v_fmac_f32_e32 v98, 0x32a5705f, v60
	v_sub_f32_e32 v66, v66, v99
	v_fmac_f32_e32 v100, 0x32a5705f, v59
	v_sub_f32_e32 v67, v67, v101
	v_fmac_f32_e32 v102, 0x32a5705f, v37
	v_sub_f32_e32 v68, v68, v103
	v_fmac_f32_e32 v137, 0x32a5705f, v36
	v_sub_f32_e32 v69, v69, v138
	v_fmac_f32_e32 v139, 0x32a5705f, v58
	v_sub_f32_e32 v70, v70, v140
	v_fmac_f32_e32 v141, 0x32a5705f, v57
	v_sub_f32_e32 v71, v71, v142
	v_fmac_f32_e32 v143, 0x32a5705f, v35
	v_sub_f32_e32 v72, v72, v144
	v_fmac_f32_e32 v147, 0x32a5705f, v33
	v_sub_f32_e32 v74, v74, v148
	v_fmac_f32_e32 v149, 0x32a5705f, v32
	v_sub_f32_e32 v75, v75, v150
	v_fmac_f32_e32 v151, 0x32a5705f, v17
	v_sub_f32_e32 v76, v76, v152
	v_fmac_f32_e32 v153, 0x32a5705f, v16
	v_sub_f32_e32 v77, v77, v154
	v_fmac_f32_e32 v155, 0x32a5705f, v15
	v_sub_f32_e32 v78, v78, v156
	v_fmac_f32_e32 v157, 0x32a5705f, v14
	v_sub_f32_e32 v79, v79, v158
	v_add_f32_e32 v42, v42, v80
	v_add_f32_e32 v43, v43, v82
	v_add_f32_e32 v61, v61, v84
	v_add_f32_e32 v62, v62, v86
	v_fmac_f32_e32 v159, 0x32a5705f, v13
	v_sub_f32_e32 v80, v88, v160
	v_fmac_f32_e32 v161, 0x32a5705f, v12
	v_sub_f32_e32 v84, v89, v162
	v_cvt_i32_f32_e32 v81, v81
	v_cvt_i32_f32_e32 v83, v83
	v_cvt_i32_f32_e32 v85, v85
	v_cvt_i32_f32_e32 v87, v87
	v_fmac_f32_e32 v145, 0x32a5705f, v34
	v_sub_f32_e32 v73, v73, v146
	v_add_f32_e32 v40, v40, v90
	v_add_f32_e32 v63, v63, v92
	;; [unrolled: 1-line block ×17, first 2 shown]
	v_exp_f32_e32 v42, v42
	v_exp_f32_e32 v43, v43
	;; [unrolled: 1-line block ×4, first 2 shown]
	v_add_f32_e32 v80, v80, v159
	v_add_f32_e32 v84, v84, v161
	v_cvt_i32_f32_e32 v91, v91
	v_cvt_i32_f32_e32 v93, v93
	v_cvt_i32_f32_e32 v95, v95
	v_cvt_i32_f32_e32 v97, v97
	v_cvt_i32_f32_e32 v99, v99
	v_cvt_i32_f32_e32 v101, v101
	v_cvt_i32_f32_e32 v103, v103
	v_cvt_i32_f32_e32 v138, v138
	v_cvt_i32_f32_e32 v140, v140
	v_cvt_i32_f32_e32 v142, v142
	v_cvt_i32_f32_e32 v144, v144
	v_cvt_i32_f32_e32 v148, v148
	v_cvt_i32_f32_e32 v150, v150
	v_cvt_i32_f32_e32 v152, v152
	v_cvt_i32_f32_e32 v154, v154
	v_cvt_i32_f32_e32 v156, v156
	v_cvt_i32_f32_e32 v158, v158
	v_cvt_i32_f32_e32 v82, v160
	v_cvt_i32_f32_e32 v86, v162
	v_add_f32_e32 v73, v73, v145
	v_exp_f32_e32 v40, v40
	v_exp_f32_e32 v63, v63
	;; [unrolled: 1-line block ×19, first 2 shown]
	v_cvt_i32_f32_e32 v146, v146
	v_exp_f32_e32 v73, v73
	v_ldexp_f32 v42, v42, v81
	v_ldexp_f32 v43, v43, v83
	v_cmp_ngt_f32_e32 vcc, s69, v51
	v_ldexp_f32 v61, v61, v85
	v_cmp_ngt_f32_e64 s[0:1], s69, v39
	v_ldexp_f32 v62, v62, v87
	v_cmp_ngt_f32_e64 s[2:3], s69, v38
	v_cmp_ngt_f32_e64 s[46:47], s69, v50
	v_ldexp_f32 v40, v40, v91
	v_cmp_ngt_f32_e64 s[8:9], s69, v56
	v_ldexp_f32 v63, v63, v93
	;; [unrolled: 2-line block ×17, first 2 shown]
	v_cmp_ngt_f32_e64 s[44:45], s69, v14
	v_cndmask_b32_e64 v42, 0, v42, s[46:47]
	v_cndmask_b32_e32 v43, 0, v43, vcc
	v_cmp_nlt_f32_e32 vcc, s70, v51
	v_cndmask_b32_e64 v51, 0, v61, s[0:1]
	v_cmp_nlt_f32_e64 s[0:1], s70, v39
	v_cndmask_b32_e64 v39, 0, v62, s[2:3]
	v_cmp_nlt_f32_e64 s[2:3], s70, v38
	v_ldexp_f32 v38, v80, v82
	v_cmp_ngt_f32_e64 s[46:47], s69, v13
	v_ldexp_f32 v61, v84, v86
	v_cmp_ngt_f32_e64 s[48:49], s69, v12
	;; [unrolled: 2-line block ×3, first 2 shown]
	v_cndmask_b32_e64 v40, 0, v40, s[8:9]
	v_cmp_nlt_f32_e64 s[8:9], s70, v56
	v_cndmask_b32_e64 v56, 0, v63, s[10:11]
	v_cmp_nlt_f32_e64 s[10:11], s70, v55
	;; [unrolled: 2-line block ×6, first 2 shown]
	v_cndmask_b32_e64 v59, 0, v68, s[20:21]
	v_cndmask_b32_e64 v62, 0, v69, s[22:23]
	;; [unrolled: 1-line block ×3, first 2 shown]
	v_cmp_nlt_f32_e64 s[24:25], s70, v58
	v_cndmask_b32_e64 v58, 0, v71, s[26:27]
	v_cmp_nlt_f32_e64 s[26:27], s70, v57
	v_cndmask_b32_e64 v57, 0, v72, s[28:29]
	;; [unrolled: 2-line block ×8, first 2 shown]
	v_cmp_nlt_f32_e64 s[44:45], s70, v14
	v_cmp_nlt_f32_e64 s[50:51], s70, v50
	v_cndmask_b32_e32 v16, v134, v43, vcc
	v_cndmask_b32_e64 v33, v134, v51, s[0:1]
	v_cndmask_b32_e64 v69, 0, v38, s[46:47]
	;; [unrolled: 1-line block ×3, first 2 shown]
	v_cmp_nlt_f32_e32 vcc, s70, v12
	v_cmp_nlt_f32_e64 s[0:1], s70, v13
	v_cmp_nlt_f32_e64 s[20:21], s70, v37
	;; [unrolled: 1-line block ×3, first 2 shown]
	v_cndmask_b32_e64 v64, 0, v73, s[30:31]
	v_cmp_nlt_f32_e64 s[30:31], s70, v34
	v_cndmask_b32_e64 v14, v134, v42, s[50:51]
	v_cndmask_b32_e64 v32, v134, v39, s[2:3]
	;; [unrolled: 1-line block ×17, first 2 shown]
	v_cndmask_b32_e32 v15, v134, v61, vcc
	v_cndmask_b32_e64 v41, v134, v59, s[20:21]
	v_cndmask_b32_e64 v40, v134, v62, s[22:23]
	;; [unrolled: 1-line block ×4, first 2 shown]
	v_cvt_f16_f32_e32 v60, v14
	v_cvt_f16_f32_e32 v62, v16
	;; [unrolled: 1-line block ×5, first 2 shown]
	v_pk_add_f32 v[12:13], v[36:37], v[38:39]
	v_cvt_f16_f32_e32 v39, v39
	v_cvt_f16_f32_e32 v66, v37
	;; [unrolled: 1-line block ×6, first 2 shown]
	v_pk_add_f32 v[34:35], v[34:35], v[42:43]
	v_cvt_f16_f32_e32 v43, v43
	v_cvt_f16_f32_e32 v72, v55
	;; [unrolled: 1-line block ×4, first 2 shown]
	v_pk_add_f32 v[36:37], v[54:55], v[56:57]
	v_cvt_f16_f32_e32 v54, v57
	v_cvt_f16_f32_e32 v56, v15
	v_cvt_f16_f32_e32 v57, v17
	v_cvt_f16_f32_e32 v38, v40
	v_cvt_f16_f32_e32 v65, v41
	v_cvt_f16_f32_e32 v42, v50
	v_cvt_f16_f32_e32 v71, v51
	v_cvt_f16_f32_e32 v75, v58
	v_cvt_f16_f32_e32 v55, v59
	v_pk_add_f32 v[14:15], v[14:15], v[16:17]
	v_pk_fma_f32 v[110:111], v[110:111], v[40:41], v[12:13]
	v_pk_fma_f32 v[106:107], v[106:107], v[32:33], v[14:15]
	v_pk_mul_f16 v103, v63, v18 op_sel_hi:[0,1]
	v_pk_mul_f16 v150, v61, v19 op_sel_hi:[0,1]
	v_pack_b32_f16 v14, v73, v72
	v_pack_b32_f16 v13, v69, v68
	;; [unrolled: 1-line block ×8, first 2 shown]
	v_pk_fma_f32 v[112:113], v[112:113], v[50:51], v[34:35]
	v_pk_fma_f32 v[108:109], v[108:109], v[58:59], v[36:37]
	v_pk_mul_f16 v102, v63, v23 op_sel_hi:[0,1]
	v_pk_mul_f16 v137, v61, v21 op_sel_hi:[0,1]
	;; [unrolled: 1-line block ×14, first 2 shown]
	ds_write_b128 v135, v[12:15]
	ds_write_b128 v135, v[16:19] offset:512
	ds_write_b128 v129, v[8:11]
	s_waitcnt lgkmcnt(0)
	s_barrier
	ds_read2_b64 v[20:23], v132 offset1:32
	ds_read_b128 v[24:27], v128
	ds_read_b128 v[28:31], v128 offset:16
	ds_read_b128 v[32:35], v128 offset:32
	;; [unrolled: 1-line block ×3, first 2 shown]
	ds_read2_b64 v[40:43], v132 offset0:64 offset1:96
	ds_read2_b64 v[50:53], v132 offset0:128 offset1:160
	ds_read_b128 v[54:57], v128 offset:64
	ds_read_b128 v[58:61], v128 offset:80
	ds_read2_b64 v[62:65], v132 offset0:192 offset1:224
	ds_read_b128 v[66:69], v128 offset:96
	ds_read_b128 v[70:73], v128 offset:112
	ds_read2_b64 v[74:77], v136 offset1:32
	ds_read_b128 v[78:81], v128 offset:128
	ds_read_b128 v[82:85], v128 offset:144
	ds_read2_b64 v[86:89], v136 offset0:64 offset1:96
	ds_read_b128 v[90:93], v128 offset:160
	ds_read_b128 v[94:97], v128 offset:176
	ds_read2_b64 v[98:101], v136 offset0:128 offset1:160
	;; [unrolled: 3-line block ×3, first 2 shown]
	ds_read_b128 v[146:149], v128 offset:224
	ds_read_b128 v[12:15], v128 offset:240
	s_waitcnt lgkmcnt(0)
	s_barrier
	global_load_dwordx4 v[16:19], v[48:49], off
	v_pk_fma_f16 v48, v20, v24, v151 op_sel_hi:[1,0,1]
	v_pk_fma_f16 v49, v20, v24, v153 op_sel:[0,1,0]
	v_pk_fma_f16 v151, v20, v25, v155 op_sel_hi:[1,0,1]
	v_pk_fma_f16 v153, v20, v25, v157 op_sel:[0,1,0]
	;; [unrolled: 2-line block ×128, first 2 shown]
	s_waitcnt vmcnt(0)
	ds_write_b128 v129, v[16:19]
	s_waitcnt lgkmcnt(0)
	s_barrier
	ds_read2_b64 v[20:23], v132 offset1:32
	ds_read_b128 v[24:27], v128 offset:256
	ds_read_b128 v[28:31], v128 offset:272
	;; [unrolled: 1-line block ×4, first 2 shown]
	ds_read2_b64 v[40:43], v132 offset0:64 offset1:96
	ds_read2_b64 v[48:51], v132 offset0:128 offset1:160
	ds_read_b128 v[52:55], v128 offset:320
	ds_read_b128 v[56:59], v128 offset:336
	ds_read2_b64 v[60:63], v132 offset0:192 offset1:224
	ds_read_b128 v[64:67], v128 offset:352
	ds_read_b128 v[68:71], v128 offset:368
	ds_read2_b64 v[72:75], v136 offset1:32
	ds_read_b128 v[76:79], v128 offset:384
	ds_read_b128 v[80:83], v128 offset:400
	ds_read2_b64 v[84:87], v136 offset0:64 offset1:96
	ds_read_b128 v[88:91], v128 offset:416
	ds_read_b128 v[92:95], v128 offset:432
	ds_read2_b64 v[96:99], v136 offset0:128 offset1:160
	;; [unrolled: 3-line block ×3, first 2 shown]
	ds_read_b128 v[142:145], v128 offset:480
	ds_read_b128 v[12:15], v128 offset:496
	s_waitcnt lgkmcnt(0)
	s_barrier
	global_load_dwordx4 v[16:19], v[46:47], off
	v_pk_fma_f16 v46, v20, v24, v137 op_sel_hi:[1,0,1]
	v_pk_fma_f16 v47, v20, v24, v146 op_sel:[0,1,0]
	v_pk_fma_f16 v137, v20, v25, v147 op_sel_hi:[1,0,1]
	v_pk_fma_f16 v146, v20, v25, v148 op_sel:[0,1,0]
	;; [unrolled: 2-line block ×128, first 2 shown]
	s_waitcnt vmcnt(0)
	ds_write_b128 v129, v[16:19]
	s_waitcnt lgkmcnt(0)
	s_barrier
	ds_read2_b64 v[20:23], v132 offset1:32
	ds_read_b128 v[24:27], v128 offset:512
	ds_read_b128 v[28:31], v128 offset:528
	;; [unrolled: 1-line block ×4, first 2 shown]
	ds_read2_b64 v[40:43], v132 offset0:64 offset1:96
	ds_read2_b64 v[46:49], v132 offset0:128 offset1:160
	ds_read_b128 v[50:53], v128 offset:576
	ds_read_b128 v[54:57], v128 offset:592
	ds_read2_b64 v[58:61], v132 offset0:192 offset1:224
	ds_read_b128 v[62:65], v128 offset:608
	ds_read_b128 v[66:69], v128 offset:624
	ds_read2_b64 v[70:73], v136 offset1:32
	ds_read_b128 v[74:77], v128 offset:640
	ds_read_b128 v[78:81], v128 offset:656
	ds_read2_b64 v[82:85], v136 offset0:64 offset1:96
	ds_read_b128 v[86:89], v128 offset:672
	ds_read_b128 v[90:93], v128 offset:688
	ds_read2_b64 v[94:97], v136 offset0:128 offset1:160
	;; [unrolled: 3-line block ×3, first 2 shown]
	ds_read_b128 v[142:145], v128 offset:736
	ds_read_b128 v[12:15], v128 offset:752
	s_waitcnt lgkmcnt(0)
	s_barrier
	global_load_dwordx4 v[16:19], v[44:45], off
	v_pk_fma_f16 v44, v20, v24, v102 op_sel_hi:[1,0,1]
	v_pk_fma_f16 v45, v20, v24, v103 op_sel:[0,1,0]
	v_pk_fma_f16 v102, v20, v25, v137 op_sel_hi:[1,0,1]
	v_pk_fma_f16 v103, v20, v25, v146 op_sel:[0,1,0]
	;; [unrolled: 2-line block ×128, first 2 shown]
	s_waitcnt vmcnt(0)
	ds_write_b128 v129, v[16:19]
	s_waitcnt lgkmcnt(0)
	s_barrier
	ds_read2_b64 v[16:19], v132 offset1:32
	ds_read_b128 v[40:43], v128 offset:768
	ds_read_b128 v[20:23], v128 offset:784
	;; [unrolled: 1-line block ×4, first 2 shown]
	ds_read2_b64 v[24:27], v132 offset0:64 offset1:96
	ds_read2_b64 v[28:31], v132 offset0:128 offset1:160
	ds_read_b128 v[48:51], v128 offset:832
	ds_read_b128 v[52:55], v128 offset:848
	ds_read2_b64 v[32:35], v132 offset0:192 offset1:224
	ds_read_b128 v[60:63], v128 offset:864
	ds_read_b128 v[64:67], v128 offset:880
	ds_read2_b64 v[36:39], v136 offset1:32
	ds_read_b128 v[72:75], v128 offset:896
	ds_read_b128 v[76:79], v128 offset:912
	ds_read2_b64 v[44:47], v136 offset0:64 offset1:96
	ds_read_b128 v[80:83], v128 offset:928
	ds_read_b128 v[84:87], v128 offset:944
	ds_read2_b64 v[56:59], v136 offset0:128 offset1:160
	;; [unrolled: 3-line block ×3, first 2 shown]
	ds_read_b128 v[96:99], v128 offset:992
	ds_read_b128 v[100:103], v128 offset:1008
	s_waitcnt lgkmcnt(14)
	v_pk_fma_f16 v137, v16, v40, v137 op_sel_hi:[1,0,1]
	v_pk_fma_f16 v138, v16, v40, v138 op_sel:[0,1,0]
	v_pk_fma_f16 v139, v16, v41, v139 op_sel_hi:[1,0,1]
	v_pk_fma_f16 v140, v16, v41, v140 op_sel:[0,1,0]
	;; [unrolled: 2-line block ×48, first 2 shown]
	s_waitcnt lgkmcnt(13)
	v_pk_fma_f16 v15, v32, v60, v15 op_sel_hi:[1,0,1]
	v_pk_fma_f16 v17, v32, v60, v17 op_sel:[0,1,0]
	v_pk_fma_f16 v19, v32, v61, v19 op_sel_hi:[1,0,1]
	v_pk_fma_f16 v20, v32, v61, v20 op_sel:[0,1,0]
	;; [unrolled: 2-line block ×8, first 2 shown]
	s_waitcnt lgkmcnt(12)
	v_pk_fma_f16 v15, v34, v64, v15 op_sel_hi:[1,0,1]
	v_pk_fma_f16 v17, v34, v64, v17 op_sel:[0,1,0]
	v_pk_fma_f16 v19, v34, v65, v19 op_sel_hi:[1,0,1]
	v_pk_fma_f16 v20, v34, v65, v20 op_sel:[0,1,0]
	;; [unrolled: 2-line block ×8, first 2 shown]
	s_waitcnt lgkmcnt(0)
	s_barrier
	s_load_dword s0, s[54:55], 0x4
	v_pk_fma_f16 v15, v36, v72, v15 op_sel_hi:[1,0,1]
	v_pk_fma_f16 v17, v36, v72, v17 op_sel:[0,1,0]
	v_pk_fma_f16 v19, v36, v73, v19 op_sel_hi:[1,0,1]
	v_pk_fma_f16 v20, v36, v73, v20 op_sel:[0,1,0]
	;; [unrolled: 2-line block ×40, first 2 shown]
	s_waitcnt lgkmcnt(0)
	s_lshl_b32 s0, s0, 6
	v_pk_fma_f16 v15, v58, v92, v15 op_sel_hi:[1,0,1]
	v_pk_fma_f16 v17, v58, v92, v17 op_sel:[0,1,0]
	v_pk_fma_f16 v19, v58, v93, v19 op_sel_hi:[1,0,1]
	v_pk_fma_f16 v20, v58, v93, v20 op_sel:[0,1,0]
	;; [unrolled: 2-line block ×8, first 2 shown]
	s_add_i32 s60, s0, s60
	v_pk_fma_f16 v15, v68, v96, v15 op_sel_hi:[1,0,1]
	v_pk_fma_f16 v17, v68, v96, v17 op_sel:[0,1,0]
	v_pk_fma_f16 v19, v68, v97, v19 op_sel_hi:[1,0,1]
	v_pk_fma_f16 v20, v68, v97, v20 op_sel:[0,1,0]
	;; [unrolled: 2-line block ×8, first 2 shown]
	s_cmp_ge_i32 s60, s66
	v_pk_fma_f16 v53, v70, v100, v15 op_sel_hi:[1,0,1]
	v_pk_fma_f16 v52, v70, v100, v17 op_sel:[0,1,0]
	v_pk_fma_f16 v31, v70, v101, v19 op_sel_hi:[1,0,1]
	v_pk_fma_f16 v29, v70, v101, v20 op_sel:[0,1,0]
	;; [unrolled: 2-line block ×8, first 2 shown]
	s_cbranch_scc0 .LBB0_9
.LBB0_10:
	v_cmp_lt_i32_e32 vcc, v122, v118
	v_cndmask_b32_e32 v8, v115, v122, vcc
	v_lshlrev_b32_e32 v17, 2, v8
	ds_bpermute_b32 v12, v17, v112
	ds_bpermute_b32 v13, v17, v113
	v_cmp_lt_i32_e32 vcc, v123, v118
	v_cndmask_b32_e32 v10, v115, v123, vcc
	v_cmp_lt_i32_e32 vcc, v121, v118
	v_lshlrev_b32_e32 v37, 2, v10
	v_cndmask_b32_e32 v10, v115, v121, vcc
	v_cmp_lt_i32_e32 vcc, v120, v118
	v_cndmask_b32_e32 v14, v115, v120, vcc
	s_waitcnt lgkmcnt(0)
	v_pk_add_f32 v[12:13], v[112:113], v[12:13]
	v_lshlrev_b32_e32 v39, 2, v14
	ds_bpermute_b32 v14, v37, v12
	ds_bpermute_b32 v15, v37, v13
	v_lshlrev_b32_e32 v38, 2, v10
	ds_bpermute_b32 v8, v17, v110
	ds_bpermute_b32 v9, v17, v111
	;; [unrolled: 1-line block ×3, first 2 shown]
	s_waitcnt lgkmcnt(3)
	v_pk_add_f32 v[12:13], v[12:13], v[14:15]
	ds_bpermute_b32 v14, v38, v12
	ds_bpermute_b32 v15, v38, v13
	;; [unrolled: 1-line block ×3, first 2 shown]
	s_waitcnt lgkmcnt(4)
	v_pk_add_f32 v[8:9], v[110:111], v[8:9]
	v_cmp_lt_i32_e32 vcc, v119, v118
	ds_bpermute_b32 v10, v37, v8
	s_waitcnt lgkmcnt(2)
	v_pk_add_f32 v[12:13], v[12:13], v[14:15]
	ds_bpermute_b32 v14, v17, v108
	ds_bpermute_b32 v15, v17, v109
	s_waitcnt lgkmcnt(3)
	v_pk_add_f32 v[32:33], v[106:107], v[32:33]
	ds_bpermute_b32 v11, v37, v9
	v_cndmask_b32_e32 v16, v115, v119, vcc
	ds_bpermute_b32 v36, v37, v32
	s_waitcnt lgkmcnt(2)
	v_pk_add_f32 v[14:15], v[108:109], v[14:15]
	ds_bpermute_b32 v34, v37, v14
	ds_bpermute_b32 v35, v37, v15
	;; [unrolled: 1-line block ×3, first 2 shown]
	v_lshlrev_b32_e32 v41, 2, v16
	ds_bpermute_b32 v16, v39, v12
	ds_bpermute_b32 v17, v39, v13
	s_waitcnt lgkmcnt(6)
	v_pk_add_f32 v[8:9], v[8:9], v[10:11]
	s_waitcnt lgkmcnt(3)
	v_pk_add_f32 v[14:15], v[14:15], v[34:35]
	;; [unrolled: 2-line block ×3, first 2 shown]
	ds_bpermute_b32 v10, v38, v8
	ds_bpermute_b32 v11, v38, v9
	s_waitcnt lgkmcnt(2)
	v_pk_add_f32 v[12:13], v[12:13], v[16:17]
	ds_bpermute_b32 v16, v38, v14
	ds_bpermute_b32 v17, v38, v15
	;; [unrolled: 1-line block ×4, first 2 shown]
	s_waitcnt lgkmcnt(4)
	v_pk_add_f32 v[8:9], v[8:9], v[10:11]
	ds_bpermute_b32 v10, v39, v8
	s_waitcnt lgkmcnt(3)
	v_pk_add_f32 v[14:15], v[14:15], v[16:17]
	ds_bpermute_b32 v11, v39, v9
	;; [unrolled: 3-line block ×3, first 2 shown]
	ds_bpermute_b32 v17, v39, v15
	ds_bpermute_b32 v34, v39, v32
	ds_bpermute_b32 v35, v39, v33
	s_waitcnt lgkmcnt(4)
	v_pk_add_f32 v[8:9], v[8:9], v[10:11]
	ds_bpermute_b32 v10, v41, v8
	s_waitcnt lgkmcnt(3)
	v_pk_add_f32 v[14:15], v[14:15], v[16:17]
	ds_bpermute_b32 v11, v41, v9
	;; [unrolled: 3-line block ×3, first 2 shown]
	ds_bpermute_b32 v37, v41, v13
	ds_bpermute_b32 v16, v41, v14
	;; [unrolled: 1-line block ×5, first 2 shown]
	s_cmp_lg_u64 s[52:53], 0
	s_cselect_b64 s[0:1], -1, 0
	s_cmp_eq_u32 s7, 0
	s_cselect_b64 s[2:3], -1, 0
	s_and_b64 s[0:1], s[2:3], s[0:1]
	s_waitcnt lgkmcnt(6)
	v_pk_add_f32 v[38:39], v[8:9], v[10:11]
	s_waitcnt lgkmcnt(4)
	v_pk_add_f32 v[36:37], v[12:13], v[36:37]
	s_waitcnt lgkmcnt(2)
	v_pk_add_f32 v[34:35], v[14:15], v[16:17]
	s_waitcnt lgkmcnt(0)
	v_pk_add_f32 v[32:33], v[32:33], v[40:41]
	s_and_b64 vcc, exec, s[0:1]
	s_cbranch_vccz .LBB0_12
; %bb.11:
	s_ashr_i32 s65, s64, 31
	s_lshl_b64 s[0:1], s[64:65], 2
	s_add_u32 s0, s52, s0
	s_addc_u32 s1, s53, s1
	v_mov_b32_e32 v8, 0
	global_load_dwordx4 v[40:43], v8, s[0:1]
	global_load_dwordx4 v[14:17], v8, s[0:1] offset:16
	v_max_f32_e32 v8, v1, v1
	v_max_f32_e32 v10, v0, v0
	;; [unrolled: 1-line block ×3, first 2 shown]
	s_mov_b32 s2, 0x3fb8aa3b
	v_max_f32_e32 v11, v3, v3
	s_mov_b32 s1, 0xc2ce8ed0
	s_mov_b32 s0, 0x42b17218
	v_mov_b32_e32 v44, 0x7f800000
	s_waitcnt vmcnt(1)
	v_max_f32_e32 v9, v41, v41
	v_max_f32_e32 v13, v40, v40
	;; [unrolled: 1-line block ×5, first 2 shown]
	v_pk_add_f32 v[0:1], v[0:1], v[8:9] neg_lo:[0,1] neg_hi:[0,1]
	v_max_f32_e32 v10, v12, v46
	v_pk_add_f32 v[12:13], v[40:41], v[8:9] neg_lo:[0,1] neg_hi:[0,1]
	v_mul_f32_e32 v40, 0x3fb8aa3b, v1
	v_max_f32_e32 v45, v43, v43
	v_mul_f32_e32 v41, 0x3fb8aa3b, v0
	v_fma_f32 v49, v1, s2, -v40
	v_rndne_f32_e32 v50, v40
	v_max_f32_e32 v11, v11, v45
	v_mul_f32_e32 v45, 0x3fb8aa3b, v13
	v_fma_f32 v51, v0, s2, -v41
	v_rndne_f32_e32 v54, v41
	v_fmac_f32_e32 v49, 0x32a5705f, v1
	v_sub_f32_e32 v40, v40, v50
	v_mul_f32_e32 v46, 0x3fb8aa3b, v12
	v_fma_f32 v55, v13, s2, -v45
	v_rndne_f32_e32 v56, v45
	v_fmac_f32_e32 v51, 0x32a5705f, v0
	v_sub_f32_e32 v41, v41, v54
	v_add_f32_e32 v40, v40, v49
	v_fma_f32 v57, v12, s2, -v46
	v_rndne_f32_e32 v58, v46
	v_cvt_i32_f32_e32 v50, v50
	v_fmac_f32_e32 v55, 0x32a5705f, v13
	v_sub_f32_e32 v45, v45, v56
	v_add_f32_e32 v41, v41, v51
	v_exp_f32_e32 v40, v40
	v_cvt_i32_f32_e32 v54, v54
	v_fmac_f32_e32 v57, 0x32a5705f, v12
	v_sub_f32_e32 v46, v46, v58
	v_add_f32_e32 v45, v45, v55
	v_exp_f32_e32 v41, v41
	v_cvt_i32_f32_e32 v56, v56
	v_add_f32_e32 v46, v46, v57
	v_exp_f32_e32 v45, v45
	v_cvt_i32_f32_e32 v58, v58
	v_exp_f32_e32 v46, v46
	v_ldexp_f32 v40, v40, v50
	v_cmp_ngt_f32_e32 vcc, s1, v1
	v_ldexp_f32 v41, v41, v54
	v_cndmask_b32_e32 v40, 0, v40, vcc
	v_cmp_ngt_f32_e32 vcc, s1, v0
	v_pk_add_f32 v[2:3], v[2:3], v[10:11] neg_lo:[0,1] neg_hi:[0,1]
	v_ldexp_f32 v45, v45, v56
	v_cndmask_b32_e32 v41, 0, v41, vcc
	v_cmp_ngt_f32_e32 vcc, s1, v13
	v_mul_f32_e32 v47, 0x3fb8aa3b, v3
	v_ldexp_f32 v46, v46, v58
	v_cndmask_b32_e32 v45, 0, v45, vcc
	v_cmp_ngt_f32_e32 vcc, s1, v12
	v_mul_f32_e32 v48, 0x3fb8aa3b, v2
	v_fma_f32 v59, v3, s2, -v47
	v_rndne_f32_e32 v60, v47
	v_cndmask_b32_e32 v46, 0, v46, vcc
	v_cmp_nlt_f32_e32 vcc, s0, v1
	v_fma_f32 v61, v2, s2, -v48
	v_rndne_f32_e32 v62, v48
	v_fmac_f32_e32 v59, 0x32a5705f, v3
	v_sub_f32_e32 v47, v47, v60
	v_cndmask_b32_e32 v1, v44, v40, vcc
	v_cmp_nlt_f32_e32 vcc, s0, v0
	v_fmac_f32_e32 v61, 0x32a5705f, v2
	v_sub_f32_e32 v48, v48, v62
	v_add_f32_e32 v47, v47, v59
	v_cndmask_b32_e32 v0, v44, v41, vcc
	v_cvt_i32_f32_e32 v60, v60
	v_add_f32_e32 v48, v48, v61
	v_exp_f32_e32 v47, v47
	v_cmp_nlt_f32_e32 vcc, s0, v13
	v_cvt_f16_f32_e32 v40, v0
	v_cvt_i32_f32_e32 v62, v62
	v_exp_f32_e32 v48, v48
	v_cndmask_b32_e32 v13, v44, v45, vcc
	v_cmp_nlt_f32_e32 vcc, s0, v12
	v_cvt_f16_f32_e32 v41, v1
	v_cndmask_b32_e32 v12, v44, v46, vcc
	v_pk_fma_f32 v[38:39], v[38:39], v[0:1], v[12:13]
	v_pk_add_f32 v[12:13], v[42:43], v[10:11] neg_lo:[0,1] neg_hi:[0,1]
	v_ldexp_f32 v47, v47, v60
	v_pk_mul_f16 v53, v40, v53 op_sel_hi:[0,1]
	v_pk_mul_f16 v30, v40, v30 op_sel_hi:[0,1]
	v_cmp_ngt_f32_e32 vcc, s1, v3
	v_mul_f32_e32 v40, 0x3fb8aa3b, v13
	v_pk_mul_f16 v52, v41, v52 op_sel_hi:[0,1]
	v_pk_mul_f16 v28, v41, v28 op_sel_hi:[0,1]
	v_cndmask_b32_e32 v1, 0, v47, vcc
	v_ldexp_f32 v0, v48, v62
	v_cmp_ngt_f32_e32 vcc, s1, v2
	v_fma_f32 v41, v13, s2, -v40
	v_rndne_f32_e32 v42, v40
	v_cndmask_b32_e32 v0, 0, v0, vcc
	v_cmp_nlt_f32_e32 vcc, s0, v2
	v_fmac_f32_e32 v41, 0x32a5705f, v13
	v_sub_f32_e32 v40, v40, v42
	v_cndmask_b32_e32 v0, v44, v0, vcc
	v_add_f32_e32 v40, v40, v41
	v_cvt_f16_f32_e32 v2, v0
	v_exp_f32_e32 v40, v40
	v_cvt_i32_f32_e32 v41, v42
	v_cmp_nlt_f32_e32 vcc, s0, v3
	v_mul_f32_e32 v3, 0x3fb8aa3b, v12
	v_pk_mul_f16 v31, v2, v31 op_sel_hi:[0,1]
	v_pk_mul_f16 v26, v2, v26 op_sel_hi:[0,1]
	v_ldexp_f32 v2, v40, v41
	v_fma_f32 v40, v12, s2, -v3
	v_rndne_f32_e32 v41, v3
	v_fmac_f32_e32 v40, 0x32a5705f, v12
	v_sub_f32_e32 v3, v3, v41
	v_add_f32_e32 v3, v3, v40
	v_exp_f32_e32 v40, v3
	v_cvt_i32_f32_e32 v41, v41
	v_cndmask_b32_e32 v1, v44, v1, vcc
	v_cmp_ngt_f32_e32 vcc, s1, v13
	v_cndmask_b32_e32 v2, 0, v2, vcc
	v_cmp_nlt_f32_e32 vcc, s0, v13
	v_cndmask_b32_e32 v3, v44, v2, vcc
	v_ldexp_f32 v2, v40, v41
	v_cmp_ngt_f32_e32 vcc, s1, v12
	v_cvt_f16_f32_e32 v13, v1
	v_cndmask_b32_e32 v2, 0, v2, vcc
	v_cmp_nlt_f32_e32 vcc, s0, v12
	v_cndmask_b32_e32 v2, v44, v2, vcc
	v_pk_fma_f32 v[36:37], v[36:37], v[0:1], v[2:3]
	s_waitcnt vmcnt(0)
	v_max_f32_e32 v0, v15, v15
	v_max_f32_e32 v1, v5, v5
	v_pk_mul_f16 v29, v13, v29 op_sel_hi:[0,1]
	v_pk_mul_f16 v24, v13, v24 op_sel_hi:[0,1]
	v_max_f32_e32 v13, v1, v0
	v_max_f32_e32 v0, v14, v14
	;; [unrolled: 1-line block ×4, first 2 shown]
	v_pk_add_f32 v[0:1], v[4:5], v[12:13] neg_lo:[0,1] neg_hi:[0,1]
	v_mul_f32_e32 v2, 0x3fb8aa3b, v1
	v_fma_f32 v3, v1, s2, -v2
	v_rndne_f32_e32 v4, v2
	v_fmac_f32_e32 v3, 0x32a5705f, v1
	v_sub_f32_e32 v2, v2, v4
	v_add_f32_e32 v2, v2, v3
	v_cvt_i32_f32_e32 v3, v4
	v_mul_f32_e32 v4, 0x3fb8aa3b, v0
	v_fma_f32 v5, v0, s2, -v4
	v_rndne_f32_e32 v40, v4
	v_fmac_f32_e32 v5, 0x32a5705f, v0
	v_sub_f32_e32 v4, v4, v40
	v_exp_f32_e32 v2, v2
	v_add_f32_e32 v4, v4, v5
	v_exp_f32_e32 v4, v4
	v_cvt_i32_f32_e32 v5, v40
	v_ldexp_f32 v2, v2, v3
	v_cmp_ngt_f32_e32 vcc, s1, v1
	v_cndmask_b32_e32 v40, 0, v2, vcc
	v_ldexp_f32 v2, v4, v5
	v_cmp_ngt_f32_e32 vcc, s1, v0
	v_cndmask_b32_e32 v2, 0, v2, vcc
	v_cmp_nlt_f32_e32 vcc, s0, v0
	v_cndmask_b32_e32 v0, v44, v2, vcc
	v_pk_add_f32 v[2:3], v[14:15], v[12:13] neg_lo:[0,1] neg_hi:[0,1]
	v_mul_f32_e32 v5, 0x3fb8aa3b, v3
	v_fma_f32 v14, v3, s2, -v5
	v_rndne_f32_e32 v15, v5
	v_fmac_f32_e32 v14, 0x32a5705f, v3
	v_sub_f32_e32 v5, v5, v15
	v_add_f32_e32 v5, v5, v14
	v_cvt_f16_f32_e32 v4, v0
	v_exp_f32_e32 v5, v5
	v_cvt_i32_f32_e32 v14, v15
	v_cmp_nlt_f32_e32 vcc, s0, v1
	v_pk_mul_f16 v27, v4, v27 op_sel_hi:[0,1]
	v_pk_mul_f16 v22, v4, v22 op_sel_hi:[0,1]
	v_ldexp_f32 v4, v5, v14
	v_mul_f32_e32 v5, 0x3fb8aa3b, v2
	v_fma_f32 v14, v2, s2, -v5
	v_rndne_f32_e32 v15, v5
	v_fmac_f32_e32 v14, 0x32a5705f, v2
	v_sub_f32_e32 v5, v5, v15
	v_add_f32_e32 v5, v5, v14
	v_exp_f32_e32 v5, v5
	v_cvt_i32_f32_e32 v14, v15
	v_cndmask_b32_e32 v1, v44, v40, vcc
	v_cmp_ngt_f32_e32 vcc, s1, v3
	v_cndmask_b32_e32 v4, 0, v4, vcc
	v_cmp_nlt_f32_e32 vcc, s0, v3
	v_cndmask_b32_e32 v3, v44, v4, vcc
	v_ldexp_f32 v4, v5, v14
	v_cmp_ngt_f32_e32 vcc, s1, v2
	v_cndmask_b32_e32 v4, 0, v4, vcc
	v_cmp_nlt_f32_e32 vcc, s0, v2
	v_cndmask_b32_e32 v2, v44, v4, vcc
	v_cvt_f16_f32_e32 v5, v1
	v_pk_fma_f32 v[34:35], v[34:35], v[0:1], v[2:3]
	v_max_f32_e32 v0, v17, v17
	v_max_f32_e32 v1, v7, v7
	;; [unrolled: 1-line block ×6, first 2 shown]
	v_pk_add_f32 v[0:1], v[6:7], v[14:15] neg_lo:[0,1] neg_hi:[0,1]
	v_mul_f32_e32 v2, 0x3fb8aa3b, v1
	v_fma_f32 v3, v1, s2, -v2
	v_rndne_f32_e32 v4, v2
	v_fmac_f32_e32 v3, 0x32a5705f, v1
	v_sub_f32_e32 v2, v2, v4
	v_add_f32_e32 v2, v2, v3
	v_cvt_i32_f32_e32 v3, v4
	v_mul_f32_e32 v4, 0x3fb8aa3b, v0
	v_pk_mul_f16 v25, v5, v25 op_sel_hi:[0,1]
	v_pk_mul_f16 v20, v5, v20 op_sel_hi:[0,1]
	v_fma_f32 v5, v0, s2, -v4
	v_rndne_f32_e32 v6, v4
	v_fmac_f32_e32 v5, 0x32a5705f, v0
	v_sub_f32_e32 v4, v4, v6
	v_exp_f32_e32 v2, v2
	v_add_f32_e32 v4, v4, v5
	v_exp_f32_e32 v4, v4
	v_cvt_i32_f32_e32 v5, v6
	v_ldexp_f32 v2, v2, v3
	v_cmp_ngt_f32_e32 vcc, s1, v1
	v_cndmask_b32_e32 v6, 0, v2, vcc
	v_ldexp_f32 v2, v4, v5
	v_cmp_ngt_f32_e32 vcc, s1, v0
	v_cndmask_b32_e32 v2, 0, v2, vcc
	v_cmp_nlt_f32_e32 vcc, s0, v0
	v_cndmask_b32_e32 v0, v44, v2, vcc
	v_pk_add_f32 v[2:3], v[16:17], v[14:15] neg_lo:[0,1] neg_hi:[0,1]
	v_mul_f32_e32 v5, 0x3fb8aa3b, v3
	v_fma_f32 v7, v3, s2, -v5
	v_rndne_f32_e32 v16, v5
	v_fmac_f32_e32 v7, 0x32a5705f, v3
	v_sub_f32_e32 v5, v5, v16
	v_add_f32_e32 v5, v5, v7
	v_cvt_f16_f32_e32 v4, v0
	v_exp_f32_e32 v5, v5
	v_cvt_i32_f32_e32 v7, v16
	v_cmp_nlt_f32_e32 vcc, s0, v1
	v_pk_mul_f16 v23, v4, v23 op_sel_hi:[0,1]
	v_pk_mul_f16 v18, v4, v18 op_sel_hi:[0,1]
	v_ldexp_f32 v4, v5, v7
	v_mul_f32_e32 v5, 0x3fb8aa3b, v2
	v_cndmask_b32_e32 v1, v44, v6, vcc
	v_fma_f32 v6, v2, s2, -v5
	v_rndne_f32_e32 v7, v5
	v_fmac_f32_e32 v6, 0x32a5705f, v2
	v_sub_f32_e32 v5, v5, v7
	v_add_f32_e32 v5, v5, v6
	v_exp_f32_e32 v5, v5
	v_cvt_i32_f32_e32 v6, v7
	v_cmp_ngt_f32_e32 vcc, s1, v3
	v_cndmask_b32_e32 v4, 0, v4, vcc
	v_cmp_nlt_f32_e32 vcc, s0, v3
	v_cndmask_b32_e32 v3, v44, v4, vcc
	v_ldexp_f32 v4, v5, v6
	v_cvt_f16_f32_e32 v5, v1
	v_cmp_ngt_f32_e32 vcc, s1, v2
	v_cndmask_b32_e32 v4, 0, v4, vcc
	v_cmp_nlt_f32_e32 vcc, s0, v2
	v_cndmask_b32_e32 v2, v44, v4, vcc
	v_pk_fma_f32 v[32:33], v[32:33], v[0:1], v[2:3]
	v_pk_mul_f16 v21, v5, v21 op_sel_hi:[0,1]
	v_pk_mul_f16 v19, v5, v19 op_sel_hi:[0,1]
	v_pk_mov_b32 v[0:1], v[8:9], v[8:9] op_sel:[0,1]
	v_pk_mov_b32 v[2:3], v[10:11], v[10:11] op_sel:[0,1]
	;; [unrolled: 1-line block ×4, first 2 shown]
.LBB0_12:
	v_cmp_gt_i32_e32 vcc, s62, v116
	s_and_saveexec_b64 s[0:1], vcc
	s_cbranch_execz .LBB0_45
; %bb.13:
	s_load_dword s6, s[4:5], 0xd4
	v_mov_b32_e32 v10, 1.0
	s_waitcnt lgkmcnt(0)
	s_cmp_lg_u32 s6, 1
	s_cselect_b64 s[0:1], -1, 0
	s_cmp_eq_u32 s6, 1
	s_cselect_b64 s[4:5], -1, 0
	s_and_b64 vcc, exec, s[0:1]
	s_cbranch_vccnz .LBB0_15
; %bb.14:
	v_div_scale_f32 v8, s[2:3], v38, v38, 1.0
	v_rcp_f32_e32 v9, v8
	v_div_scale_f32 v10, vcc, 1.0, v38, 1.0
	v_fma_f32 v11, -v8, v9, 1.0
	v_fmac_f32_e32 v9, v11, v9
	v_mul_f32_e32 v11, v10, v9
	v_fma_f32 v12, -v8, v11, v10
	v_fmac_f32_e32 v11, v12, v9
	v_fma_f32 v8, -v8, v11, v10
	v_div_fmas_f32 v8, v8, v9, v11
	v_div_fixup_f32 v10, v8, v38, 1.0
.LBB0_15:
	s_mul_i32 s33, s33, s62
	v_add_u32_e32 v8, s33, v116
	v_mul_lo_u32 v8, v8, s63
	v_add_u32_e32 v8, s64, v8
	v_mul_lo_u32 v8, s6, v8
	v_add_u32_e32 v8, s7, v8
	v_cvt_f32_f16_sdwa v15, v53 dst_sel:DWORD dst_unused:UNUSED_PAD src0_sel:WORD_1
	v_cvt_f32_f16_e32 v14, v53
	v_cvt_f32_f16_sdwa v17, v30 dst_sel:DWORD dst_unused:UNUSED_PAD src0_sel:WORD_1
	v_cvt_f32_f16_e32 v16, v30
	v_lshl_add_u32 v12, v8, 7, v105
	v_mov_b32_e32 v13, 0
	v_cmp_eq_u32_e32 vcc, 0, v104
	v_lshlrev_b64 v[12:13], 2, v[12:13]
	s_and_b64 s[2:3], vcc, s[0:1]
	v_mov_b32_e32 v9, s57
	v_add_co_u32_e32 v40, vcc, s56, v12
	v_addc_co_u32_e32 v41, vcc, v9, v13, vcc
	v_pk_mul_f32 v[12:13], v[10:11], v[14:15] op_sel_hi:[0,1]
	v_pk_mul_f32 v[14:15], v[10:11], v[16:17] op_sel_hi:[0,1]
	global_store_dwordx4 v[40:41], v[12:15], off
	s_and_saveexec_b64 s[0:1], s[2:3]
	s_cbranch_execz .LBB0_17
; %bb.16:
	v_ashrrev_i32_e32 v9, 31, v8
	v_lshlrev_b64 v[10:11], 3, v[8:9]
	v_mov_b32_e32 v9, s59
	v_add_co_u32_e32 v10, vcc, s58, v10
	v_addc_co_u32_e32 v11, vcc, v9, v11, vcc
	v_mov_b32_e32 v12, v0
	v_mov_b32_e32 v13, v38
	global_store_dwordx2 v[10:11], v[12:13], off
.LBB0_17:
	s_or_b64 exec, exec, s[0:1]
	v_cndmask_b32_e64 v0, 0, 1, s[4:5]
	v_cmp_ne_u32_e64 s[0:1], 1, v0
	s_andn2_b64 vcc, exec, s[4:5]
	v_mov_b32_e32 v0, 1.0
	s_cbranch_vccnz .LBB0_19
; %bb.18:
	v_div_scale_f32 v0, s[4:5], v39, v39, 1.0
	v_rcp_f32_e32 v9, v0
	v_div_scale_f32 v10, vcc, 1.0, v39, 1.0
	v_fma_f32 v11, -v0, v9, 1.0
	v_fmac_f32_e32 v9, v11, v9
	v_mul_f32_e32 v11, v10, v9
	v_fma_f32 v12, -v0, v11, v10
	v_fmac_f32_e32 v11, v12, v9
	v_fma_f32 v0, -v0, v11, v10
	v_div_fmas_f32 v0, v0, v9, v11
	v_div_fixup_f32 v0, v0, v39, 1.0
.LBB0_19:
	v_add_u32_e32 v8, s6, v8
	v_cvt_f32_f16_sdwa v13, v52 dst_sel:DWORD dst_unused:UNUSED_PAD src0_sel:WORD_1
	v_cvt_f32_f16_e32 v12, v52
	v_cvt_f32_f16_sdwa v15, v28 dst_sel:DWORD dst_unused:UNUSED_PAD src0_sel:WORD_1
	v_cvt_f32_f16_e32 v14, v28
	v_lshl_add_u32 v10, v8, 7, v105
	v_mov_b32_e32 v11, 0
	v_lshlrev_b64 v[10:11], 2, v[10:11]
	v_mov_b32_e32 v9, s57
	v_add_co_u32_e32 v16, vcc, s56, v10
	v_addc_co_u32_e32 v17, vcc, v9, v11, vcc
	v_pk_mul_f32 v[10:11], v[0:1], v[12:13] op_sel_hi:[0,1]
	v_pk_mul_f32 v[12:13], v[0:1], v[14:15] op_sel_hi:[0,1]
	global_store_dwordx4 v[16:17], v[10:13], off
	s_and_saveexec_b64 s[4:5], s[2:3]
	s_cbranch_execz .LBB0_21
; %bb.20:
	v_ashrrev_i32_e32 v9, 31, v8
	v_lshlrev_b64 v[10:11], 3, v[8:9]
	v_mov_b32_e32 v0, s59
	v_add_co_u32_e32 v10, vcc, s58, v10
	v_addc_co_u32_e32 v11, vcc, v0, v11, vcc
	v_mov_b32_e32 v38, v1
	global_store_dwordx2 v[10:11], v[38:39], off
.LBB0_21:
	s_or_b64 exec, exec, s[4:5]
	s_and_b64 vcc, exec, s[0:1]
	v_mov_b32_e32 v10, 1.0
	s_cbranch_vccnz .LBB0_23
; %bb.22:
	v_div_scale_f32 v0, s[4:5], v36, v36, 1.0
	v_rcp_f32_e32 v1, v0
	v_div_scale_f32 v9, vcc, 1.0, v36, 1.0
	v_fma_f32 v10, -v0, v1, 1.0
	v_fmac_f32_e32 v1, v10, v1
	v_mul_f32_e32 v10, v9, v1
	v_fma_f32 v11, -v0, v10, v9
	v_fmac_f32_e32 v10, v11, v1
	v_fma_f32 v0, -v0, v10, v9
	v_div_fmas_f32 v0, v0, v1, v10
	v_div_fixup_f32 v10, v0, v36, 1.0
.LBB0_23:
	v_add_u32_e32 v0, s6, v8
	v_cvt_f32_f16_sdwa v13, v31 dst_sel:DWORD dst_unused:UNUSED_PAD src0_sel:WORD_1
	v_cvt_f32_f16_e32 v12, v31
	v_cvt_f32_f16_sdwa v15, v26 dst_sel:DWORD dst_unused:UNUSED_PAD src0_sel:WORD_1
	v_cvt_f32_f16_e32 v14, v26
	v_lshl_add_u32 v8, v0, 7, v105
	v_mov_b32_e32 v9, 0
	v_lshlrev_b64 v[8:9], 2, v[8:9]
	v_mov_b32_e32 v1, s57
	v_add_co_u32_e32 v16, vcc, s56, v8
	v_addc_co_u32_e32 v17, vcc, v1, v9, vcc
	v_pk_mul_f32 v[8:9], v[10:11], v[12:13] op_sel_hi:[0,1]
	v_pk_mul_f32 v[10:11], v[10:11], v[14:15] op_sel_hi:[0,1]
	global_store_dwordx4 v[16:17], v[8:11], off
	s_and_saveexec_b64 s[4:5], s[2:3]
	s_cbranch_execz .LBB0_25
; %bb.24:
	v_ashrrev_i32_e32 v1, 31, v0
	v_lshlrev_b64 v[8:9], 3, v[0:1]
	v_mov_b32_e32 v1, s59
	v_add_co_u32_e32 v8, vcc, s58, v8
	v_addc_co_u32_e32 v9, vcc, v1, v9, vcc
	v_mov_b32_e32 v10, v2
	v_mov_b32_e32 v11, v36
	global_store_dwordx2 v[8:9], v[10:11], off
.LBB0_25:
	s_or_b64 exec, exec, s[4:5]
	s_and_b64 vcc, exec, s[0:1]
	v_mov_b32_e32 v2, 1.0
	s_cbranch_vccnz .LBB0_27
; %bb.26:
	v_div_scale_f32 v1, s[4:5], v37, v37, 1.0
	v_rcp_f32_e32 v2, v1
	v_div_scale_f32 v8, vcc, 1.0, v37, 1.0
	v_fma_f32 v9, -v1, v2, 1.0
	v_fmac_f32_e32 v2, v9, v2
	v_mul_f32_e32 v9, v8, v2
	v_fma_f32 v10, -v1, v9, v8
	v_fmac_f32_e32 v9, v10, v2
	v_fma_f32 v1, -v1, v9, v8
	v_div_fmas_f32 v1, v1, v2, v9
	v_div_fixup_f32 v2, v1, v37, 1.0
.LBB0_27:
	v_add_u32_e32 v0, s6, v0
	v_cvt_f32_f16_sdwa v11, v29 dst_sel:DWORD dst_unused:UNUSED_PAD src0_sel:WORD_1
	v_cvt_f32_f16_e32 v10, v29
	v_cvt_f32_f16_sdwa v13, v24 dst_sel:DWORD dst_unused:UNUSED_PAD src0_sel:WORD_1
	v_cvt_f32_f16_e32 v12, v24
	v_lshl_add_u32 v8, v0, 7, v105
	v_mov_b32_e32 v9, 0
	v_lshlrev_b64 v[8:9], 2, v[8:9]
	v_mov_b32_e32 v1, s57
	v_add_co_u32_e32 v14, vcc, s56, v8
	v_addc_co_u32_e32 v15, vcc, v1, v9, vcc
	v_pk_mul_f32 v[8:9], v[2:3], v[10:11] op_sel_hi:[0,1]
	v_pk_mul_f32 v[10:11], v[2:3], v[12:13] op_sel_hi:[0,1]
	global_store_dwordx4 v[14:15], v[8:11], off
	s_and_saveexec_b64 s[4:5], s[2:3]
	s_cbranch_execz .LBB0_29
; %bb.28:
	v_ashrrev_i32_e32 v1, 31, v0
	v_lshlrev_b64 v[8:9], 3, v[0:1]
	v_mov_b32_e32 v1, s59
	v_add_co_u32_e32 v8, vcc, s58, v8
	v_addc_co_u32_e32 v9, vcc, v1, v9, vcc
	v_mov_b32_e32 v36, v3
	global_store_dwordx2 v[8:9], v[36:37], off
.LBB0_29:
	s_or_b64 exec, exec, s[4:5]
	s_and_b64 vcc, exec, s[0:1]
	v_mov_b32_e32 v2, 1.0
	s_cbranch_vccnz .LBB0_31
; %bb.30:
	v_div_scale_f32 v1, s[4:5], v34, v34, 1.0
	v_rcp_f32_e32 v2, v1
	v_div_scale_f32 v3, vcc, 1.0, v34, 1.0
	v_fma_f32 v8, -v1, v2, 1.0
	v_fmac_f32_e32 v2, v8, v2
	v_mul_f32_e32 v8, v3, v2
	v_fma_f32 v9, -v1, v8, v3
	v_fmac_f32_e32 v8, v9, v2
	v_fma_f32 v1, -v1, v8, v3
	v_div_fmas_f32 v1, v1, v2, v8
	v_div_fixup_f32 v2, v1, v34, 1.0
.LBB0_31:
	v_add_u32_e32 v0, s6, v0
	v_cvt_f32_f16_sdwa v11, v27 dst_sel:DWORD dst_unused:UNUSED_PAD src0_sel:WORD_1
	v_cvt_f32_f16_e32 v10, v27
	v_cvt_f32_f16_sdwa v13, v22 dst_sel:DWORD dst_unused:UNUSED_PAD src0_sel:WORD_1
	v_cvt_f32_f16_e32 v12, v22
	v_lshl_add_u32 v8, v0, 7, v105
	v_mov_b32_e32 v9, 0
	v_lshlrev_b64 v[8:9], 2, v[8:9]
	v_mov_b32_e32 v1, s57
	v_add_co_u32_e32 v14, vcc, s56, v8
	v_addc_co_u32_e32 v15, vcc, v1, v9, vcc
	v_pk_mul_f32 v[8:9], v[2:3], v[10:11] op_sel_hi:[0,1]
	v_pk_mul_f32 v[10:11], v[2:3], v[12:13] op_sel_hi:[0,1]
	global_store_dwordx4 v[14:15], v[8:11], off
	s_and_saveexec_b64 s[4:5], s[2:3]
	s_cbranch_execz .LBB0_33
; %bb.32:
	v_ashrrev_i32_e32 v1, 31, v0
	v_lshlrev_b64 v[2:3], 3, v[0:1]
	v_mov_b32_e32 v1, s59
	v_add_co_u32_e32 v2, vcc, s58, v2
	v_addc_co_u32_e32 v3, vcc, v1, v3, vcc
	v_mov_b32_e32 v8, v4
	v_mov_b32_e32 v9, v34
	global_store_dwordx2 v[2:3], v[8:9], off
.LBB0_33:
	s_or_b64 exec, exec, s[4:5]
	s_and_b64 vcc, exec, s[0:1]
	v_mov_b32_e32 v2, 1.0
	s_cbranch_vccnz .LBB0_35
; %bb.34:
	v_div_scale_f32 v1, s[4:5], v35, v35, 1.0
	v_rcp_f32_e32 v2, v1
	v_div_scale_f32 v3, vcc, 1.0, v35, 1.0
	v_fma_f32 v4, -v1, v2, 1.0
	v_fmac_f32_e32 v2, v4, v2
	v_mul_f32_e32 v4, v3, v2
	v_fma_f32 v8, -v1, v4, v3
	v_fmac_f32_e32 v4, v8, v2
	v_fma_f32 v1, -v1, v4, v3
	v_div_fmas_f32 v1, v1, v2, v4
	v_div_fixup_f32 v2, v1, v35, 1.0
.LBB0_35:
	v_add_u32_e32 v0, s6, v0
	v_cvt_f32_f16_sdwa v11, v25 dst_sel:DWORD dst_unused:UNUSED_PAD src0_sel:WORD_1
	v_cvt_f32_f16_e32 v10, v25
	v_cvt_f32_f16_sdwa v13, v20 dst_sel:DWORD dst_unused:UNUSED_PAD src0_sel:WORD_1
	v_cvt_f32_f16_e32 v12, v20
	v_lshl_add_u32 v8, v0, 7, v105
	v_mov_b32_e32 v9, 0
	v_lshlrev_b64 v[8:9], 2, v[8:9]
	v_mov_b32_e32 v1, s57
	v_add_co_u32_e32 v14, vcc, s56, v8
	v_addc_co_u32_e32 v15, vcc, v1, v9, vcc
	v_pk_mul_f32 v[8:9], v[2:3], v[10:11] op_sel_hi:[0,1]
	v_pk_mul_f32 v[10:11], v[2:3], v[12:13] op_sel_hi:[0,1]
	global_store_dwordx4 v[14:15], v[8:11], off
	s_and_saveexec_b64 s[4:5], s[2:3]
	s_cbranch_execz .LBB0_37
; %bb.36:
	v_ashrrev_i32_e32 v1, 31, v0
	v_lshlrev_b64 v[2:3], 3, v[0:1]
	v_mov_b32_e32 v1, s59
	v_add_co_u32_e32 v2, vcc, s58, v2
	v_addc_co_u32_e32 v3, vcc, v1, v3, vcc
	v_mov_b32_e32 v34, v5
	global_store_dwordx2 v[2:3], v[34:35], off
.LBB0_37:
	s_or_b64 exec, exec, s[4:5]
	s_and_b64 vcc, exec, s[0:1]
	v_mov_b32_e32 v2, 1.0
	s_cbranch_vccnz .LBB0_39
; %bb.38:
	v_div_scale_f32 v1, s[4:5], v32, v32, 1.0
	v_rcp_f32_e32 v2, v1
	v_div_scale_f32 v3, vcc, 1.0, v32, 1.0
	v_fma_f32 v4, -v1, v2, 1.0
	v_fmac_f32_e32 v2, v4, v2
	v_mul_f32_e32 v4, v3, v2
	v_fma_f32 v5, -v1, v4, v3
	v_fmac_f32_e32 v4, v5, v2
	v_fma_f32 v1, -v1, v4, v3
	v_div_fmas_f32 v1, v1, v2, v4
	v_div_fixup_f32 v2, v1, v32, 1.0
.LBB0_39:
	v_add_u32_e32 v0, s6, v0
	v_cvt_f32_f16_sdwa v9, v23 dst_sel:DWORD dst_unused:UNUSED_PAD src0_sel:WORD_1
	v_cvt_f32_f16_e32 v8, v23
	v_cvt_f32_f16_sdwa v11, v18 dst_sel:DWORD dst_unused:UNUSED_PAD src0_sel:WORD_1
	v_cvt_f32_f16_e32 v10, v18
	v_lshl_add_u32 v4, v0, 7, v105
	v_mov_b32_e32 v5, 0
	v_lshlrev_b64 v[4:5], 2, v[4:5]
	v_mov_b32_e32 v1, s57
	v_add_co_u32_e32 v4, vcc, s56, v4
	v_addc_co_u32_e32 v5, vcc, v1, v5, vcc
	v_pk_mul_f32 v[8:9], v[2:3], v[8:9] op_sel_hi:[0,1]
	v_pk_mul_f32 v[10:11], v[2:3], v[10:11] op_sel_hi:[0,1]
	global_store_dwordx4 v[4:5], v[8:11], off
	s_and_saveexec_b64 s[4:5], s[2:3]
	s_cbranch_execz .LBB0_41
; %bb.40:
	v_ashrrev_i32_e32 v1, 31, v0
	v_lshlrev_b64 v[2:3], 3, v[0:1]
	v_mov_b32_e32 v1, s59
	v_add_co_u32_e32 v2, vcc, s58, v2
	v_addc_co_u32_e32 v3, vcc, v1, v3, vcc
	v_mov_b32_e32 v4, v6
	v_mov_b32_e32 v5, v32
	global_store_dwordx2 v[2:3], v[4:5], off
.LBB0_41:
	s_or_b64 exec, exec, s[4:5]
	s_and_b64 vcc, exec, s[0:1]
	v_mov_b32_e32 v2, 1.0
	s_cbranch_vccnz .LBB0_43
; %bb.42:
	v_div_scale_f32 v1, s[0:1], v33, v33, 1.0
	v_rcp_f32_e32 v2, v1
	v_div_scale_f32 v3, vcc, 1.0, v33, 1.0
	v_fma_f32 v4, -v1, v2, 1.0
	v_fmac_f32_e32 v2, v4, v2
	v_mul_f32_e32 v4, v3, v2
	v_fma_f32 v5, -v1, v4, v3
	v_fmac_f32_e32 v4, v5, v2
	v_fma_f32 v1, -v1, v4, v3
	v_div_fmas_f32 v1, v1, v2, v4
	v_div_fixup_f32 v2, v1, v33, 1.0
.LBB0_43:
	v_add_u32_e32 v0, s6, v0
	v_cvt_f32_f16_sdwa v9, v21 dst_sel:DWORD dst_unused:UNUSED_PAD src0_sel:WORD_1
	v_cvt_f32_f16_e32 v8, v21
	v_cvt_f32_f16_sdwa v11, v19 dst_sel:DWORD dst_unused:UNUSED_PAD src0_sel:WORD_1
	v_cvt_f32_f16_e32 v10, v19
	v_lshl_add_u32 v4, v0, 7, v105
	v_mov_b32_e32 v5, 0
	v_lshlrev_b64 v[4:5], 2, v[4:5]
	v_mov_b32_e32 v1, s57
	v_add_co_u32_e32 v4, vcc, s56, v4
	v_addc_co_u32_e32 v5, vcc, v1, v5, vcc
	v_pk_mul_f32 v[8:9], v[2:3], v[8:9] op_sel_hi:[0,1]
	v_pk_mul_f32 v[10:11], v[2:3], v[10:11] op_sel_hi:[0,1]
	global_store_dwordx4 v[4:5], v[8:11], off
	s_and_b64 exec, exec, s[2:3]
	s_cbranch_execz .LBB0_45
; %bb.44:
	v_ashrrev_i32_e32 v1, 31, v0
	v_lshlrev_b64 v[0:1], 3, v[0:1]
	v_mov_b32_e32 v2, s59
	v_add_co_u32_e32 v0, vcc, s58, v0
	v_addc_co_u32_e32 v1, vcc, v2, v1, vcc
	v_mov_b32_e32 v32, v7
	global_store_dwordx2 v[0:1], v[32:33], off
.LBB0_45:
	s_endpgm
	.section	.rodata,"a",@progbits
	.p2align	6, 0x0
	.amdhsa_kernel _ZL15flash_attn_tileILi128ELi128ELi8ELi8ELb0EEvPKcS1_S1_S1_S1_PKiPfP15HIP_vector_typeIfLj2EEffffjfiS5_IjLj3EEiiiiiiiiiiiliiliiiiil
		.amdhsa_group_segment_fixed_size 29696
		.amdhsa_private_segment_fixed_size 0
		.amdhsa_kernarg_size 464
		.amdhsa_user_sgpr_count 6
		.amdhsa_user_sgpr_private_segment_buffer 1
		.amdhsa_user_sgpr_dispatch_ptr 0
		.amdhsa_user_sgpr_queue_ptr 0
		.amdhsa_user_sgpr_kernarg_segment_ptr 1
		.amdhsa_user_sgpr_dispatch_id 0
		.amdhsa_user_sgpr_flat_scratch_init 0
		.amdhsa_user_sgpr_kernarg_preload_length 0
		.amdhsa_user_sgpr_kernarg_preload_offset 0
		.amdhsa_user_sgpr_private_segment_size 0
		.amdhsa_uses_dynamic_stack 0
		.amdhsa_system_sgpr_private_segment_wavefront_offset 0
		.amdhsa_system_sgpr_workgroup_id_x 1
		.amdhsa_system_sgpr_workgroup_id_y 1
		.amdhsa_system_sgpr_workgroup_id_z 1
		.amdhsa_system_sgpr_workgroup_info 0
		.amdhsa_system_vgpr_workitem_id 1
		.amdhsa_next_free_vgpr 163
		.amdhsa_next_free_sgpr 71
		.amdhsa_accum_offset 164
		.amdhsa_reserve_vcc 1
		.amdhsa_reserve_flat_scratch 0
		.amdhsa_float_round_mode_32 0
		.amdhsa_float_round_mode_16_64 0
		.amdhsa_float_denorm_mode_32 3
		.amdhsa_float_denorm_mode_16_64 3
		.amdhsa_dx10_clamp 1
		.amdhsa_ieee_mode 1
		.amdhsa_fp16_overflow 0
		.amdhsa_tg_split 0
		.amdhsa_exception_fp_ieee_invalid_op 0
		.amdhsa_exception_fp_denorm_src 0
		.amdhsa_exception_fp_ieee_div_zero 0
		.amdhsa_exception_fp_ieee_overflow 0
		.amdhsa_exception_fp_ieee_underflow 0
		.amdhsa_exception_fp_ieee_inexact 0
		.amdhsa_exception_int_div_zero 0
	.end_amdhsa_kernel
	.section	.text._ZL15flash_attn_tileILi128ELi128ELi8ELi8ELb0EEvPKcS1_S1_S1_S1_PKiPfP15HIP_vector_typeIfLj2EEffffjfiS5_IjLj3EEiiiiiiiiiiiliiliiiiil,"axG",@progbits,_ZL15flash_attn_tileILi128ELi128ELi8ELi8ELb0EEvPKcS1_S1_S1_S1_PKiPfP15HIP_vector_typeIfLj2EEffffjfiS5_IjLj3EEiiiiiiiiiiiliiliiiiil,comdat
.Lfunc_end0:
	.size	_ZL15flash_attn_tileILi128ELi128ELi8ELi8ELb0EEvPKcS1_S1_S1_S1_PKiPfP15HIP_vector_typeIfLj2EEffffjfiS5_IjLj3EEiiiiiiiiiiiliiliiiiil, .Lfunc_end0-_ZL15flash_attn_tileILi128ELi128ELi8ELi8ELb0EEvPKcS1_S1_S1_S1_PKiPfP15HIP_vector_typeIfLj2EEffffjfiS5_IjLj3EEiiiiiiiiiiiliiliiiiil
                                        ; -- End function
	.section	.AMDGPU.csdata,"",@progbits
; Kernel info:
; codeLenInByte = 29336
; NumSgprs: 75
; NumVgprs: 163
; NumAgprs: 0
; TotalNumVgprs: 163
; ScratchSize: 0
; MemoryBound: 0
; FloatMode: 240
; IeeeMode: 1
; LDSByteSize: 29696 bytes/workgroup (compile time only)
; SGPRBlocks: 9
; VGPRBlocks: 20
; NumSGPRsForWavesPerEU: 75
; NumVGPRsForWavesPerEU: 163
; AccumOffset: 164
; Occupancy: 2
; WaveLimiterHint : 1
; COMPUTE_PGM_RSRC2:SCRATCH_EN: 0
; COMPUTE_PGM_RSRC2:USER_SGPR: 6
; COMPUTE_PGM_RSRC2:TRAP_HANDLER: 0
; COMPUTE_PGM_RSRC2:TGID_X_EN: 1
; COMPUTE_PGM_RSRC2:TGID_Y_EN: 1
; COMPUTE_PGM_RSRC2:TGID_Z_EN: 1
; COMPUTE_PGM_RSRC2:TIDIG_COMP_CNT: 1
; COMPUTE_PGM_RSRC3_GFX90A:ACCUM_OFFSET: 40
; COMPUTE_PGM_RSRC3_GFX90A:TG_SPLIT: 0
	.section	.text._ZL25flash_attn_mask_to_KV_maxILi8EEvPK7__half2Piiii,"axG",@progbits,_ZL25flash_attn_mask_to_KV_maxILi8EEvPK7__half2Piiii,comdat
	.globl	_ZL25flash_attn_mask_to_KV_maxILi8EEvPK7__half2Piiii ; -- Begin function _ZL25flash_attn_mask_to_KV_maxILi8EEvPK7__half2Piiii
	.p2align	8
	.type	_ZL25flash_attn_mask_to_KV_maxILi8EEvPK7__half2Piiii,@function
_ZL25flash_attn_mask_to_KV_maxILi8EEvPK7__half2Piiii: ; @_ZL25flash_attn_mask_to_KV_maxILi8EEvPK7__half2Piiii
; %bb.0:
	s_load_dwordx4 s[8:11], s[4:5], 0x0
	v_cmp_gt_u32_e32 vcc, 32, v0
	s_and_saveexec_b64 s[0:1], vcc
	s_cbranch_execz .LBB1_2
; %bb.1:
	v_lshlrev_b32_e32 v1, 2, v0
	v_mov_b32_e32 v2, 1
	ds_write_b32 v1, v2
.LBB1_2:
	s_or_b64 exec, exec, s[0:1]
	s_load_dwordx4 s[12:15], s[4:5], 0x10
	s_load_dword s33, s[4:5], 0x20
	v_and_b32_e32 v2, 31, v0
	v_lshlrev_b32_e32 v6, 2, v2
	v_lshrrev_b32_e32 v1, 3, v0
	s_waitcnt lgkmcnt(0)
	s_mul_i32 s1, s6, s13
	s_mul_i32 s0, s7, s14
	s_lshl_b32 s1, s1, 3
	s_add_i32 s0, s0, s1
	s_ashr_i32 s1, s0, 31
	s_lshl_b64 s[0:1], s[0:1], 2
	s_add_u32 s42, s8, s0
	s_addc_u32 s43, s9, s1
	v_cmp_eq_u32_e64 s[0:1], 0, v2
	v_mbcnt_lo_u32_b32 v2, -1, 0
	v_mbcnt_hi_u32_b32 v7, -1, v2
	v_and_b32_e32 v2, 0x60, v7
	s_lshl_b32 s12, s12, 8
	s_mov_b64 s[4:5], 0
	v_mov_b32_e32 v3, 0
	s_movk_i32 s44, 0x204
	s_movk_i32 s45, 0x7fff
	s_movk_i32 s46, 0x7c00
	v_add_u32_e32 v8, 32, v2
	v_xor_b32_e32 v9, 16, v7
	s_barrier
	s_waitcnt lgkmcnt(0)
                                        ; implicit-def: $sgpr2_sgpr3
	s_branch .LBB1_5
.LBB1_3:                                ;   in Loop: Header=BB1_5 Depth=1
	s_or_b64 exec, exec, s[8:9]
	s_waitcnt lgkmcnt(0)
	s_barrier
	ds_read_b32 v12, v6
	s_waitcnt lgkmcnt(0)
	s_barrier
	ds_bpermute_b32 v2, v2, v12
	v_cmp_ne_u32_e32 vcc, 0, v12
	s_waitcnt lgkmcnt(0)
	v_cmp_ne_u32_e64 s[2:3], 0, v2
	s_and_b64 s[2:3], vcc, s[2:3]
	v_cndmask_b32_e64 v2, 0, 1, s[2:3]
	ds_bpermute_b32 v2, v4, v2
	s_waitcnt lgkmcnt(0)
	v_cmp_ne_u32_e32 vcc, 0, v2
	s_and_b64 s[2:3], vcc, s[2:3]
	v_cndmask_b32_e64 v2, 0, 1, s[2:3]
	ds_bpermute_b32 v2, v5, v2
	s_waitcnt lgkmcnt(0)
	v_cmp_ne_u32_e32 vcc, 0, v2
	;; [unrolled: 5-line block ×3, first 2 shown]
	s_and_b64 s[2:3], vcc, s[2:3]
	v_cndmask_b32_e64 v2, 0, 1, s[2:3]
	ds_bpermute_b32 v2, v11, v2
	s_xor_b64 s[2:3], s[2:3], -1
	s_waitcnt lgkmcnt(0)
	v_cmp_eq_u32_e32 vcc, 0, v2
	s_or_b64 s[2:3], vcc, s[2:3]
.LBB1_4:                                ;   in Loop: Header=BB1_5 Depth=1
	s_and_b64 s[8:9], exec, s[2:3]
	s_or_b64 s[4:5], s[8:9], s[4:5]
	v_mov_b32_e32 v2, s12
	s_mov_b32 s12, s47
	s_andn2_b64 exec, exec, s[4:5]
	s_cbranch_execz .LBB1_36
.LBB1_5:                                ; =>This Inner Loop Header: Depth=1
	s_add_i32 s47, s12, 0xffffff00
	s_or_b64 s[2:3], s[2:3], exec
	s_cmp_lt_i32 s47, 0
	s_cbranch_scc1 .LBB1_4
; %bb.6:                                ;   in Loop: Header=BB1_5 Depth=1
	s_lshr_b32 s2, s47, 1
	v_add_u32_e32 v2, s2, v0
	v_lshlrev_b64 v[4:5], 2, v[2:3]
	v_mov_b32_e32 v10, s43
	v_add_co_u32_e32 v4, vcc, s42, v4
	v_addc_co_u32_e32 v5, vcc, v10, v5, vcc
	global_load_dword v4, v[4:5], off
	s_mov_b64 s[8:9], 0
	s_waitcnt vmcnt(0)
	v_cmp_class_f16_e64 s[2:3], v4, s44
	v_and_b32_sdwa v4, s45, v4 dst_sel:DWORD dst_unused:UNUSED_PAD src0_sel:DWORD src1_sel:WORD_1
	v_cmp_eq_f16_e32 vcc, s46, v4
	s_and_b64 s[14:15], s[2:3], vcc
	s_and_saveexec_b64 s[2:3], s[14:15]
	s_cbranch_execz .LBB1_34
; %bb.7:                                ;   in Loop: Header=BB1_5 Depth=1
	v_add_u32_e32 v4, s13, v2
	v_ashrrev_i32_e32 v5, 31, v4
	v_lshlrev_b64 v[10:11], 2, v[4:5]
	v_mov_b32_e32 v2, s43
	v_add_co_u32_e32 v10, vcc, s42, v10
	v_addc_co_u32_e32 v11, vcc, v2, v11, vcc
	global_load_dword v2, v[10:11], off
	s_mov_b64 s[14:15], 0
	s_waitcnt vmcnt(0)
	v_cmp_class_f16_e64 s[16:17], v2, s44
	s_and_saveexec_b64 s[8:9], s[16:17]
	s_cbranch_execz .LBB1_33
; %bb.8:                                ;   in Loop: Header=BB1_5 Depth=1
	v_cmp_class_f16_sdwa s[18:19], v2, s44 src0_sel:WORD_1 src1_sel:DWORD
	s_mov_b64 s[16:17], 0
	s_and_saveexec_b64 s[14:15], s[18:19]
	s_cbranch_execz .LBB1_32
; %bb.9:                                ;   in Loop: Header=BB1_5 Depth=1
	v_add_u32_e32 v4, s13, v4
	v_ashrrev_i32_e32 v5, 31, v4
	v_lshlrev_b64 v[10:11], 2, v[4:5]
	v_mov_b32_e32 v2, s43
	v_add_co_u32_e32 v10, vcc, s42, v10
	v_addc_co_u32_e32 v11, vcc, v2, v11, vcc
	global_load_dword v2, v[10:11], off
	s_mov_b64 s[18:19], 0
	s_waitcnt vmcnt(0)
	v_cmp_class_f16_e64 s[20:21], v2, s44
	s_and_saveexec_b64 s[16:17], s[20:21]
	s_cbranch_execz .LBB1_31
; %bb.10:                               ;   in Loop: Header=BB1_5 Depth=1
	v_cmp_class_f16_sdwa s[22:23], v2, s44 src0_sel:WORD_1 src1_sel:DWORD
	s_mov_b64 s[20:21], 0
	s_and_saveexec_b64 s[18:19], s[22:23]
	s_cbranch_execz .LBB1_30
; %bb.11:                               ;   in Loop: Header=BB1_5 Depth=1
	v_add_u32_e32 v4, s13, v4
	v_ashrrev_i32_e32 v5, 31, v4
	v_lshlrev_b64 v[10:11], 2, v[4:5]
	v_mov_b32_e32 v2, s43
	v_add_co_u32_e32 v10, vcc, s42, v10
	v_addc_co_u32_e32 v11, vcc, v2, v11, vcc
	global_load_dword v2, v[10:11], off
	s_mov_b64 s[22:23], 0
	s_waitcnt vmcnt(0)
	v_cmp_class_f16_e64 s[24:25], v2, s44
	s_and_saveexec_b64 s[20:21], s[24:25]
	s_cbranch_execz .LBB1_29
; %bb.12:                               ;   in Loop: Header=BB1_5 Depth=1
	v_cmp_class_f16_sdwa s[26:27], v2, s44 src0_sel:WORD_1 src1_sel:DWORD
	s_mov_b64 s[24:25], 0
	s_and_saveexec_b64 s[22:23], s[26:27]
	s_cbranch_execz .LBB1_28
; %bb.13:                               ;   in Loop: Header=BB1_5 Depth=1
	v_add_u32_e32 v4, s13, v4
	v_ashrrev_i32_e32 v5, 31, v4
	v_lshlrev_b64 v[10:11], 2, v[4:5]
	v_mov_b32_e32 v2, s43
	v_add_co_u32_e32 v10, vcc, s42, v10
	v_addc_co_u32_e32 v11, vcc, v2, v11, vcc
	global_load_dword v2, v[10:11], off
	s_mov_b64 s[26:27], 0
	s_waitcnt vmcnt(0)
	v_cmp_class_f16_e64 s[28:29], v2, s44
	s_and_saveexec_b64 s[24:25], s[28:29]
	s_cbranch_execz .LBB1_27
; %bb.14:                               ;   in Loop: Header=BB1_5 Depth=1
	v_cmp_class_f16_sdwa s[30:31], v2, s44 src0_sel:WORD_1 src1_sel:DWORD
	s_mov_b64 s[28:29], 0
	s_and_saveexec_b64 s[26:27], s[30:31]
	s_cbranch_execz .LBB1_26
; %bb.15:                               ;   in Loop: Header=BB1_5 Depth=1
	v_add_u32_e32 v4, s13, v4
	v_ashrrev_i32_e32 v5, 31, v4
	v_lshlrev_b64 v[10:11], 2, v[4:5]
	v_mov_b32_e32 v2, s43
	v_add_co_u32_e32 v10, vcc, s42, v10
	v_addc_co_u32_e32 v11, vcc, v2, v11, vcc
	global_load_dword v2, v[10:11], off
	s_mov_b64 s[30:31], 0
	s_waitcnt vmcnt(0)
	v_cmp_class_f16_e64 s[34:35], v2, s44
	s_and_saveexec_b64 s[28:29], s[34:35]
	s_cbranch_execz .LBB1_25
; %bb.16:                               ;   in Loop: Header=BB1_5 Depth=1
	v_cmp_class_f16_sdwa s[36:37], v2, s44 src0_sel:WORD_1 src1_sel:DWORD
	s_mov_b64 s[34:35], 0
	s_and_saveexec_b64 s[30:31], s[36:37]
	s_cbranch_execz .LBB1_24
; %bb.17:                               ;   in Loop: Header=BB1_5 Depth=1
	v_add_u32_e32 v4, s13, v4
	v_ashrrev_i32_e32 v5, 31, v4
	v_lshlrev_b64 v[10:11], 2, v[4:5]
	v_mov_b32_e32 v2, s43
	v_add_co_u32_e32 v10, vcc, s42, v10
	v_addc_co_u32_e32 v11, vcc, v2, v11, vcc
	global_load_dword v2, v[10:11], off
	s_mov_b64 s[36:37], 0
	s_waitcnt vmcnt(0)
	v_cmp_class_f16_e64 s[38:39], v2, s44
	s_and_saveexec_b64 s[34:35], s[38:39]
	s_cbranch_execz .LBB1_23
; %bb.18:                               ;   in Loop: Header=BB1_5 Depth=1
	v_cmp_class_f16_sdwa s[40:41], v2, s44 src0_sel:WORD_1 src1_sel:DWORD
	s_mov_b64 s[38:39], 0
	s_and_saveexec_b64 s[36:37], s[40:41]
	s_cbranch_execz .LBB1_22
; %bb.19:                               ;   in Loop: Header=BB1_5 Depth=1
	v_add_u32_e32 v4, s13, v4
	v_ashrrev_i32_e32 v5, 31, v4
	v_lshlrev_b64 v[4:5], 2, v[4:5]
	v_mov_b32_e32 v2, s43
	v_add_co_u32_e32 v4, vcc, s42, v4
	v_addc_co_u32_e32 v5, vcc, v2, v5, vcc
	global_load_dword v2, v[4:5], off
	s_waitcnt vmcnt(0)
	v_cmp_class_f16_e64 s[48:49], v2, s44
	s_and_saveexec_b64 s[40:41], s[48:49]
; %bb.20:                               ;   in Loop: Header=BB1_5 Depth=1
	v_cmp_class_f16_sdwa s[38:39], v2, s44 src0_sel:WORD_1 src1_sel:DWORD
	s_and_b64 s[38:39], s[38:39], exec
; %bb.21:                               ;   in Loop: Header=BB1_5 Depth=1
	s_or_b64 exec, exec, s[40:41]
	s_and_b64 s[38:39], s[38:39], exec
.LBB1_22:                               ;   in Loop: Header=BB1_5 Depth=1
	s_or_b64 exec, exec, s[36:37]
	s_and_b64 s[36:37], s[38:39], exec
.LBB1_23:                               ;   in Loop: Header=BB1_5 Depth=1
	s_or_b64 exec, exec, s[34:35]
	s_and_b64 s[34:35], s[36:37], exec
.LBB1_24:                               ;   in Loop: Header=BB1_5 Depth=1
	s_or_b64 exec, exec, s[30:31]
	s_and_b64 s[30:31], s[34:35], exec
.LBB1_25:                               ;   in Loop: Header=BB1_5 Depth=1
	s_or_b64 exec, exec, s[28:29]
	s_and_b64 s[28:29], s[30:31], exec
.LBB1_26:                               ;   in Loop: Header=BB1_5 Depth=1
	s_or_b64 exec, exec, s[26:27]
	s_and_b64 s[26:27], s[28:29], exec
.LBB1_27:                               ;   in Loop: Header=BB1_5 Depth=1
	s_or_b64 exec, exec, s[24:25]
	s_and_b64 s[24:25], s[26:27], exec
.LBB1_28:                               ;   in Loop: Header=BB1_5 Depth=1
	s_or_b64 exec, exec, s[22:23]
	s_and_b64 s[22:23], s[24:25], exec
.LBB1_29:                               ;   in Loop: Header=BB1_5 Depth=1
	s_or_b64 exec, exec, s[20:21]
	s_and_b64 s[20:21], s[22:23], exec
.LBB1_30:                               ;   in Loop: Header=BB1_5 Depth=1
	s_or_b64 exec, exec, s[18:19]
	s_and_b64 s[18:19], s[20:21], exec
.LBB1_31:                               ;   in Loop: Header=BB1_5 Depth=1
	s_or_b64 exec, exec, s[16:17]
	s_and_b64 s[16:17], s[18:19], exec
.LBB1_32:                               ;   in Loop: Header=BB1_5 Depth=1
	s_or_b64 exec, exec, s[14:15]
	s_and_b64 s[14:15], s[16:17], exec
.LBB1_33:                               ;   in Loop: Header=BB1_5 Depth=1
	s_or_b64 exec, exec, s[8:9]
	s_and_b64 s[8:9], s[14:15], exec
.LBB1_34:                               ;   in Loop: Header=BB1_5 Depth=1
	s_or_b64 exec, exec, s[2:3]
	v_cmp_lt_i32_e32 vcc, v9, v8
	v_cndmask_b32_e32 v2, v7, v9, vcc
	v_cndmask_b32_e64 v4, 0, 1, s[8:9]
	v_lshlrev_b32_e32 v2, 2, v2
	ds_bpermute_b32 v4, v2, v4
	v_xor_b32_e32 v5, 8, v7
	s_waitcnt lgkmcnt(0)
	v_cmp_ne_u32_e32 vcc, 0, v4
	s_and_b64 s[2:3], s[8:9], vcc
	v_cmp_lt_i32_e32 vcc, v5, v8
	v_cndmask_b32_e32 v4, v7, v5, vcc
	v_cndmask_b32_e64 v10, 0, 1, s[2:3]
	v_lshlrev_b32_e32 v4, 2, v4
	ds_bpermute_b32 v5, v4, v10
	s_waitcnt lgkmcnt(0)
	v_cmp_ne_u32_e32 vcc, 0, v5
	v_xor_b32_e32 v5, 4, v7
	s_and_b64 s[2:3], vcc, s[2:3]
	v_cmp_lt_i32_e32 vcc, v5, v8
	v_cndmask_b32_e32 v5, v7, v5, vcc
	v_cndmask_b32_e64 v10, 0, 1, s[2:3]
	v_lshlrev_b32_e32 v5, 2, v5
	ds_bpermute_b32 v10, v5, v10
	s_waitcnt lgkmcnt(0)
	v_cmp_ne_u32_e32 vcc, 0, v10
	v_xor_b32_e32 v10, 2, v7
	s_and_b64 s[2:3], vcc, s[2:3]
	;; [unrolled: 9-line block ×3, first 2 shown]
	v_cmp_lt_i32_e32 vcc, v11, v8
	v_cndmask_b32_e32 v11, v7, v11, vcc
	v_cndmask_b32_e64 v12, 0, 1, s[2:3]
	v_lshlrev_b32_e32 v11, 2, v11
	ds_bpermute_b32 v12, v11, v12
	s_and_saveexec_b64 s[8:9], s[0:1]
	s_cbranch_execz .LBB1_3
; %bb.35:                               ;   in Loop: Header=BB1_5 Depth=1
	s_waitcnt lgkmcnt(0)
	v_cmp_ne_u32_e32 vcc, 0, v12
	s_and_b64 s[2:3], vcc, s[2:3]
	v_cndmask_b32_e64 v12, 0, 1, s[2:3]
	ds_write_b32 v1, v12
	s_branch .LBB1_3
.LBB1_36:
	s_or_b64 exec, exec, s[4:5]
	v_cmp_eq_u32_e32 vcc, 0, v0
	s_and_saveexec_b64 s[0:1], vcc
	s_cbranch_execz .LBB1_38
; %bb.37:
	s_mul_i32 s0, s33, s7
	s_add_i32 s0, s0, s6
	s_ashr_i32 s1, s0, 31
	s_lshl_b64 s[0:1], s[0:1], 2
	s_add_u32 s0, s10, s0
	s_addc_u32 s1, s11, s1
	v_mov_b32_e32 v0, 0
	global_store_dword v0, v2, s[0:1]
.LBB1_38:
	s_endpgm
	.section	.rodata,"a",@progbits
	.p2align	6, 0x0
	.amdhsa_kernel _ZL25flash_attn_mask_to_KV_maxILi8EEvPK7__half2Piiii
		.amdhsa_group_segment_fixed_size 128
		.amdhsa_private_segment_fixed_size 0
		.amdhsa_kernarg_size 288
		.amdhsa_user_sgpr_count 6
		.amdhsa_user_sgpr_private_segment_buffer 1
		.amdhsa_user_sgpr_dispatch_ptr 0
		.amdhsa_user_sgpr_queue_ptr 0
		.amdhsa_user_sgpr_kernarg_segment_ptr 1
		.amdhsa_user_sgpr_dispatch_id 0
		.amdhsa_user_sgpr_flat_scratch_init 0
		.amdhsa_user_sgpr_kernarg_preload_length 0
		.amdhsa_user_sgpr_kernarg_preload_offset 0
		.amdhsa_user_sgpr_private_segment_size 0
		.amdhsa_uses_dynamic_stack 0
		.amdhsa_system_sgpr_private_segment_wavefront_offset 0
		.amdhsa_system_sgpr_workgroup_id_x 1
		.amdhsa_system_sgpr_workgroup_id_y 1
		.amdhsa_system_sgpr_workgroup_id_z 0
		.amdhsa_system_sgpr_workgroup_info 0
		.amdhsa_system_vgpr_workitem_id 0
		.amdhsa_next_free_vgpr 13
		.amdhsa_next_free_sgpr 50
		.amdhsa_accum_offset 16
		.amdhsa_reserve_vcc 1
		.amdhsa_reserve_flat_scratch 0
		.amdhsa_float_round_mode_32 0
		.amdhsa_float_round_mode_16_64 0
		.amdhsa_float_denorm_mode_32 3
		.amdhsa_float_denorm_mode_16_64 3
		.amdhsa_dx10_clamp 1
		.amdhsa_ieee_mode 1
		.amdhsa_fp16_overflow 0
		.amdhsa_tg_split 0
		.amdhsa_exception_fp_ieee_invalid_op 0
		.amdhsa_exception_fp_denorm_src 0
		.amdhsa_exception_fp_ieee_div_zero 0
		.amdhsa_exception_fp_ieee_overflow 0
		.amdhsa_exception_fp_ieee_underflow 0
		.amdhsa_exception_fp_ieee_inexact 0
		.amdhsa_exception_int_div_zero 0
	.end_amdhsa_kernel
	.section	.text._ZL25flash_attn_mask_to_KV_maxILi8EEvPK7__half2Piiii,"axG",@progbits,_ZL25flash_attn_mask_to_KV_maxILi8EEvPK7__half2Piiii,comdat
.Lfunc_end1:
	.size	_ZL25flash_attn_mask_to_KV_maxILi8EEvPK7__half2Piiii, .Lfunc_end1-_ZL25flash_attn_mask_to_KV_maxILi8EEvPK7__half2Piiii
                                        ; -- End function
	.section	.AMDGPU.csdata,"",@progbits
; Kernel info:
; codeLenInByte = 1424
; NumSgprs: 54
; NumVgprs: 13
; NumAgprs: 0
; TotalNumVgprs: 13
; ScratchSize: 0
; MemoryBound: 0
; FloatMode: 240
; IeeeMode: 1
; LDSByteSize: 128 bytes/workgroup (compile time only)
; SGPRBlocks: 6
; VGPRBlocks: 1
; NumSGPRsForWavesPerEU: 54
; NumVGPRsForWavesPerEU: 13
; AccumOffset: 16
; Occupancy: 8
; WaveLimiterHint : 0
; COMPUTE_PGM_RSRC2:SCRATCH_EN: 0
; COMPUTE_PGM_RSRC2:USER_SGPR: 6
; COMPUTE_PGM_RSRC2:TRAP_HANDLER: 0
; COMPUTE_PGM_RSRC2:TGID_X_EN: 1
; COMPUTE_PGM_RSRC2:TGID_Y_EN: 1
; COMPUTE_PGM_RSRC2:TGID_Z_EN: 0
; COMPUTE_PGM_RSRC2:TIDIG_COMP_CNT: 0
; COMPUTE_PGM_RSRC3_GFX90A:ACCUM_OFFSET: 3
; COMPUTE_PGM_RSRC3_GFX90A:TG_SPLIT: 0
	.section	.text._ZL33flash_attn_stream_k_fixup_uniformILi128ELi8ELi8EEvPfPK15HIP_vector_typeIfLj2EEiiiiiiS1_IjLj3EES5_S5_,"axG",@progbits,_ZL33flash_attn_stream_k_fixup_uniformILi128ELi8ELi8EEvPfPK15HIP_vector_typeIfLj2EEiiiiiiS1_IjLj3EES5_S5_,comdat
	.globl	_ZL33flash_attn_stream_k_fixup_uniformILi128ELi8ELi8EEvPfPK15HIP_vector_typeIfLj2EEiiiiiiS1_IjLj3EES5_S5_ ; -- Begin function _ZL33flash_attn_stream_k_fixup_uniformILi128ELi8ELi8EEvPfPK15HIP_vector_typeIfLj2EEiiiiiiS1_IjLj3EES5_S5_
	.p2align	8
	.type	_ZL33flash_attn_stream_k_fixup_uniformILi128ELi8ELi8EEvPfPK15HIP_vector_typeIfLj2EEiiiiiiS1_IjLj3EES5_S5_,@function
_ZL33flash_attn_stream_k_fixup_uniformILi128ELi8ELi8EEvPfPK15HIP_vector_typeIfLj2EEiiiiiiS1_IjLj3EES5_S5_: ; @_ZL33flash_attn_stream_k_fixup_uniformILi128ELi8ELi8EEvPfPK15HIP_vector_typeIfLj2EEiiiiiiS1_IjLj3EES5_S5_
; %bb.0:
	s_load_dwordx8 s[12:19], s[4:5], 0x1c
	s_load_dwordx2 s[10:11], s[4:5], 0x10
	s_load_dwordx4 s[0:3], s[4:5], 0x3c
	s_waitcnt lgkmcnt(0)
	s_mul_hi_u32 s9, s15, s6
	s_add_i32 s9, s6, s9
	s_lshr_b32 s9, s9, s16
	s_mul_i32 s15, s9, s17
	s_sub_i32 s15, s6, s15
	s_mul_hi_u32 s16, s15, s18
	s_add_i32 s16, s15, s16
	s_lshr_b32 s16, s16, s19
	s_mul_i32 s0, s16, s0
	s_sub_i32 s0, s15, s0
	;; [unrolled: 5-line block ×3, first 2 shown]
	s_lshl_b32 s0, s17, 3
	s_lshl_b32 s15, s1, 3
	s_add_i32 s0, s0, s7
	s_cmp_lt_i32 s0, s10
	s_cselect_b64 s[0:1], -1, 0
	s_add_i32 s2, s15, s8
	s_cmp_lt_i32 s2, s13
	s_cselect_b64 s[2:3], -1, 0
	s_and_b64 s[0:1], s[0:1], s[2:3]
	s_andn2_b64 vcc, exec, s[0:1]
	s_cbranch_vccnz .LBB2_6
; %bb.1:
	s_load_dwordx4 s[0:3], s[4:5], 0x0
	s_mul_i32 s4, s9, s10
	s_add_i32 s4, s4, s7
	s_mul_i32 s4, s4, s11
	s_mul_i32 s16, s16, s13
	s_add_i32 s4, s4, s8
	s_add_i32 s4, s4, s16
	s_mul_i32 s5, s11, s17
	s_add_i32 s4, s4, s15
	s_lshl_b32 s5, s5, 10
	s_lshl_b32 s4, s4, 7
	s_add_i32 s5, s5, s4
	v_or_b32_e32 v2, s5, v0
	v_ashrrev_i32_e32 v3, 31, v2
	v_lshlrev_b64 v[2:3], 2, v[2:3]
	s_waitcnt lgkmcnt(0)
	v_mov_b32_e32 v1, s1
	v_add_co_u32_e32 v2, vcc, s0, v2
	v_addc_co_u32_e32 v3, vcc, v1, v3, vcc
	global_load_dword v8, v[2:3], off
	s_mul_i32 s9, s6, s14
	s_lshl_b32 s4, s7, 3
	s_add_i32 s11, s9, s14
	s_add_i32 s0, s4, s8
	s_lshl_b32 s1, s11, 6
	s_add_i32 s0, s0, s1
	s_sub_i32 s0, s0, 64
	s_ashr_i32 s1, s0, 31
	s_lshl_b64 s[0:1], s[0:1], 3
	s_add_u32 s0, s2, s0
	s_addc_u32 s1, s3, s1
	s_load_dword s5, s[0:1], 0x4
	s_add_i32 s10, s11, -2
	s_cmp_lt_i32 s10, s9
	s_cbranch_scc1 .LBB2_4
; %bb.2:
	s_lshl_b32 s16, s12, 8
	s_ashr_i32 s17, s16, 31
	s_lshl_b64 s[16:17], s[16:17], 2
	s_add_u32 s10, s2, s16
	s_addc_u32 s13, s3, s17
	s_add_i32 s6, s6, 1
	s_load_dword s0, s[0:1], 0x0
	s_mul_i32 s1, s14, s6
	s_lshl_b32 s7, s7, 10
	s_lshl_b32 s14, s8, 7
	;; [unrolled: 1-line block ×3, first 2 shown]
	s_add_i32 s7, s14, s7
	s_lshl_b32 s1, s1, 6
	s_add_i32 s7, s7, s6
	s_add_i32 s1, s8, s1
	s_lshl_b32 s6, s12, 6
	s_add_i32 s1, s1, s6
	v_or_b32_e32 v0, s7, v0
	s_add_i32 s1, s1, s4
	s_add_i32 s11, s11, -1
	v_add_u32_e32 v0, 0xffffc000, v0
	s_add_i32 s4, s1, 0xffffff80
	s_waitcnt lgkmcnt(0)
	v_mov_b32_e32 v7, s5
	v_mov_b32_e32 v6, s0
	;; [unrolled: 1-line block ×3, first 2 shown]
	s_mov_b32 s6, 0x3fb8aa3b
	s_mov_b32 s7, 0xc2ce8ed0
	;; [unrolled: 1-line block ×3, first 2 shown]
	v_mov_b32_e32 v5, 0x7f800000
	s_mov_b32 s12, 0xc1a00000
.LBB2_3:                                ; =>This Inner Loop Header: Depth=1
	v_ashrrev_i32_e32 v1, 31, v0
	v_lshlrev_b64 v[10:11], 2, v[0:1]
	v_add_co_u32_e32 v10, vcc, s10, v10
	v_addc_co_u32_e32 v11, vcc, v4, v11, vcc
	global_load_dword v1, v[10:11], off
	s_ashr_i32 s5, s4, 31
	s_lshl_b64 s[0:1], s[4:5], 3
	s_add_u32 s0, s2, s0
	s_addc_u32 s1, s3, s1
	s_load_dwordx2 s[14:15], s[0:1], 0x0
	s_waitcnt vmcnt(1)
	v_mov_b32_e32 v9, v8
	v_max_f32_e32 v8, v6, v6
	v_mov_b32_e32 v10, v7
	s_add_i32 s11, s11, -1
	s_waitcnt lgkmcnt(0)
	v_max_f32_e64 v7, s14, s14
	v_max_f32_e32 v7, v8, v7
	v_sub_f32_e32 v11, s14, v7
	v_sub_f32_e32 v8, v6, v7
	v_mul_f32_e32 v12, 0x3fb8aa3b, v11
	v_mov_b32_e32 v6, v7
	v_mul_f32_e32 v7, 0x3fb8aa3b, v8
	v_fma_f32 v15, v11, s6, -v12
	v_rndne_f32_e32 v16, v12
	v_fma_f32 v13, v8, s6, -v7
	v_rndne_f32_e32 v14, v7
	v_fmac_f32_e32 v15, 0x32a5705f, v11
	v_sub_f32_e32 v12, v12, v16
	v_fmac_f32_e32 v13, 0x32a5705f, v8
	v_sub_f32_e32 v7, v7, v14
	v_add_f32_e32 v12, v12, v15
	v_cvt_i32_f32_e32 v16, v16
	v_add_f32_e32 v7, v7, v13
	v_exp_f32_e32 v12, v12
	v_cvt_i32_f32_e32 v14, v14
	v_exp_f32_e32 v7, v7
	v_cmp_ngt_f32_e32 vcc, s7, v11
	v_ldexp_f32 v12, v12, v16
	v_cmp_ngt_f32_e64 s[0:1], s7, v8
	v_ldexp_f32 v7, v7, v14
	v_cndmask_b32_e32 v12, 0, v12, vcc
	v_cmp_nlt_f32_e32 vcc, s8, v11
	v_cndmask_b32_e64 v7, 0, v7, s[0:1]
	v_cmp_nlt_f32_e64 s[0:1], s8, v8
	v_cndmask_b32_e32 v12, v5, v12, vcc
	v_cmp_le_f32_e32 vcc, s12, v11
	v_cndmask_b32_e64 v7, v5, v7, s[0:1]
	v_cmp_le_f32_e64 s[0:1], s12, v8
	v_cndmask_b32_e32 v8, 0, v12, vcc
	s_sub_i32 s4, s4, 64
	v_cndmask_b32_e64 v11, 0, v7, s[0:1]
	v_mul_f32_e32 v7, s15, v8
	v_add_u32_e32 v0, 0xffffe000, v0
	s_cmp_le_i32 s11, s9
	v_fmac_f32_e32 v7, v10, v11
	s_waitcnt vmcnt(0)
	v_mul_f32_e32 v8, v1, v8
	v_fmac_f32_e32 v8, v9, v11
	s_cbranch_scc0 .LBB2_3
	s_branch .LBB2_5
.LBB2_4:
	s_waitcnt lgkmcnt(0)
	v_mov_b32_e32 v7, s5
.LBB2_5:
	s_waitcnt vmcnt(0)
	v_div_scale_f32 v0, s[0:1], v7, v7, v8
	v_rcp_f32_e32 v1, v0
	v_div_scale_f32 v4, vcc, v8, v7, v8
	v_fma_f32 v5, -v0, v1, 1.0
	v_fmac_f32_e32 v1, v5, v1
	v_mul_f32_e32 v5, v4, v1
	v_fma_f32 v6, -v0, v5, v4
	v_fmac_f32_e32 v5, v6, v1
	v_fma_f32 v0, -v0, v5, v4
	v_div_fmas_f32 v0, v0, v1, v5
	v_div_fixup_f32 v0, v0, v7, v8
	global_store_dword v[2:3], v0, off
.LBB2_6:
	s_endpgm
	.section	.rodata,"a",@progbits
	.p2align	6, 0x0
	.amdhsa_kernel _ZL33flash_attn_stream_k_fixup_uniformILi128ELi8ELi8EEvPfPK15HIP_vector_typeIfLj2EEiiiiiiS1_IjLj3EES5_S5_
		.amdhsa_group_segment_fixed_size 0
		.amdhsa_private_segment_fixed_size 0
		.amdhsa_kernarg_size 76
		.amdhsa_user_sgpr_count 6
		.amdhsa_user_sgpr_private_segment_buffer 1
		.amdhsa_user_sgpr_dispatch_ptr 0
		.amdhsa_user_sgpr_queue_ptr 0
		.amdhsa_user_sgpr_kernarg_segment_ptr 1
		.amdhsa_user_sgpr_dispatch_id 0
		.amdhsa_user_sgpr_flat_scratch_init 0
		.amdhsa_user_sgpr_kernarg_preload_length 0
		.amdhsa_user_sgpr_kernarg_preload_offset 0
		.amdhsa_user_sgpr_private_segment_size 0
		.amdhsa_uses_dynamic_stack 0
		.amdhsa_system_sgpr_private_segment_wavefront_offset 0
		.amdhsa_system_sgpr_workgroup_id_x 1
		.amdhsa_system_sgpr_workgroup_id_y 1
		.amdhsa_system_sgpr_workgroup_id_z 1
		.amdhsa_system_sgpr_workgroup_info 0
		.amdhsa_system_vgpr_workitem_id 0
		.amdhsa_next_free_vgpr 17
		.amdhsa_next_free_sgpr 20
		.amdhsa_accum_offset 20
		.amdhsa_reserve_vcc 1
		.amdhsa_reserve_flat_scratch 0
		.amdhsa_float_round_mode_32 0
		.amdhsa_float_round_mode_16_64 0
		.amdhsa_float_denorm_mode_32 3
		.amdhsa_float_denorm_mode_16_64 3
		.amdhsa_dx10_clamp 1
		.amdhsa_ieee_mode 1
		.amdhsa_fp16_overflow 0
		.amdhsa_tg_split 0
		.amdhsa_exception_fp_ieee_invalid_op 0
		.amdhsa_exception_fp_denorm_src 0
		.amdhsa_exception_fp_ieee_div_zero 0
		.amdhsa_exception_fp_ieee_overflow 0
		.amdhsa_exception_fp_ieee_underflow 0
		.amdhsa_exception_fp_ieee_inexact 0
		.amdhsa_exception_int_div_zero 0
	.end_amdhsa_kernel
	.section	.text._ZL33flash_attn_stream_k_fixup_uniformILi128ELi8ELi8EEvPfPK15HIP_vector_typeIfLj2EEiiiiiiS1_IjLj3EES5_S5_,"axG",@progbits,_ZL33flash_attn_stream_k_fixup_uniformILi128ELi8ELi8EEvPfPK15HIP_vector_typeIfLj2EEiiiiiiS1_IjLj3EES5_S5_,comdat
.Lfunc_end2:
	.size	_ZL33flash_attn_stream_k_fixup_uniformILi128ELi8ELi8EEvPfPK15HIP_vector_typeIfLj2EEiiiiiiS1_IjLj3EES5_S5_, .Lfunc_end2-_ZL33flash_attn_stream_k_fixup_uniformILi128ELi8ELi8EEvPfPK15HIP_vector_typeIfLj2EEiiiiiiS1_IjLj3EES5_S5_
                                        ; -- End function
	.section	.AMDGPU.csdata,"",@progbits
; Kernel info:
; codeLenInByte = 860
; NumSgprs: 24
; NumVgprs: 17
; NumAgprs: 0
; TotalNumVgprs: 17
; ScratchSize: 0
; MemoryBound: 0
; FloatMode: 240
; IeeeMode: 1
; LDSByteSize: 0 bytes/workgroup (compile time only)
; SGPRBlocks: 2
; VGPRBlocks: 2
; NumSGPRsForWavesPerEU: 24
; NumVGPRsForWavesPerEU: 17
; AccumOffset: 20
; Occupancy: 8
; WaveLimiterHint : 0
; COMPUTE_PGM_RSRC2:SCRATCH_EN: 0
; COMPUTE_PGM_RSRC2:USER_SGPR: 6
; COMPUTE_PGM_RSRC2:TRAP_HANDLER: 0
; COMPUTE_PGM_RSRC2:TGID_X_EN: 1
; COMPUTE_PGM_RSRC2:TGID_Y_EN: 1
; COMPUTE_PGM_RSRC2:TGID_Z_EN: 1
; COMPUTE_PGM_RSRC2:TIDIG_COMP_CNT: 0
; COMPUTE_PGM_RSRC3_GFX90A:ACCUM_OFFSET: 4
; COMPUTE_PGM_RSRC3_GFX90A:TG_SPLIT: 0
	.section	.text._ZL33flash_attn_stream_k_fixup_generalILi128ELi8ELi8EEvPfPK15HIP_vector_typeIfLj2EEiiiiS1_IjLj3EES5_S5_S5_,"axG",@progbits,_ZL33flash_attn_stream_k_fixup_generalILi128ELi8ELi8EEvPfPK15HIP_vector_typeIfLj2EEiiiiS1_IjLj3EES5_S5_S5_,comdat
	.globl	_ZL33flash_attn_stream_k_fixup_generalILi128ELi8ELi8EEvPfPK15HIP_vector_typeIfLj2EEiiiiS1_IjLj3EES5_S5_S5_ ; -- Begin function _ZL33flash_attn_stream_k_fixup_generalILi128ELi8ELi8EEvPfPK15HIP_vector_typeIfLj2EEiiiiS1_IjLj3EES5_S5_S5_
	.p2align	8
	.type	_ZL33flash_attn_stream_k_fixup_generalILi128ELi8ELi8EEvPfPK15HIP_vector_typeIfLj2EEiiiiS1_IjLj3EES5_S5_S5_,@function
_ZL33flash_attn_stream_k_fixup_generalILi128ELi8ELi8EEvPfPK15HIP_vector_typeIfLj2EEiiiiS1_IjLj3EES5_S5_S5_: ; @_ZL33flash_attn_stream_k_fixup_generalILi128ELi8ELi8EEvPfPK15HIP_vector_typeIfLj2EEiiiiS1_IjLj3EES5_S5_S5_
; %bb.0:
	s_load_dwordx4 s[12:15], s[4:5], 0x10
	s_load_dword s9, s[4:5], 0x50
	s_mov_b32 s2, 0
	s_waitcnt lgkmcnt(0)
	s_mul_hi_i32 s3, s15, s6
	s_cmp_lg_u64 s[2:3], 0
	s_mul_i32 s2, s15, s6
	s_cbranch_scc0 .LBB3_21
; %bb.1:
	v_cvt_f32_u32_e32 v1, s9
	v_cvt_f32_ubyte0_e32 v2, 0
	s_sub_u32 s10, 0, s9
	s_subb_u32 s11, 0, 0
	v_madmk_f32 v1, v2, 0x4f800000, v1
	v_rcp_f32_e32 v1, v1
	v_mul_f32_e32 v1, 0x5f7ffffc, v1
	v_mul_f32_e32 v2, 0x2f800000, v1
	v_trunc_f32_e32 v2, v2
	v_madmk_f32 v1, v2, 0xcf800000, v1
	v_cvt_u32_f32_e32 v2, v2
	v_cvt_u32_f32_e32 v1, v1
	v_readfirstlane_b32 s16, v2
	v_readfirstlane_b32 s17, v1
	s_mul_i32 s18, s10, s16
	s_mul_hi_u32 s20, s10, s17
	s_mul_i32 s19, s11, s17
	s_add_i32 s18, s20, s18
	s_add_i32 s18, s18, s19
	s_mul_i32 s21, s10, s17
	s_mul_hi_u32 s19, s17, s18
	s_mul_i32 s20, s17, s18
	s_mul_hi_u32 s17, s17, s21
	s_add_u32 s17, s17, s20
	s_addc_u32 s19, 0, s19
	s_mul_hi_u32 s22, s16, s21
	s_mul_i32 s21, s16, s21
	s_add_u32 s17, s17, s21
	s_mul_hi_u32 s20, s16, s18
	s_addc_u32 s17, s19, s22
	s_addc_u32 s19, s20, 0
	s_mul_i32 s18, s16, s18
	s_add_u32 s17, s17, s18
	s_addc_u32 s18, 0, s19
	v_add_co_u32_e32 v1, vcc, s17, v1
	s_cmp_lg_u64 vcc, 0
	s_addc_u32 s16, s16, s18
	v_readfirstlane_b32 s18, v1
	s_mul_i32 s17, s10, s16
	s_mul_hi_u32 s19, s10, s18
	s_add_i32 s17, s19, s17
	s_mul_i32 s11, s11, s18
	s_add_i32 s17, s17, s11
	s_mul_i32 s10, s10, s18
	s_mul_hi_u32 s19, s16, s10
	s_mul_i32 s20, s16, s10
	s_mul_i32 s22, s18, s17
	s_mul_hi_u32 s10, s18, s10
	s_mul_hi_u32 s21, s18, s17
	s_add_u32 s10, s10, s22
	s_addc_u32 s18, 0, s21
	s_add_u32 s10, s10, s20
	s_mul_hi_u32 s11, s16, s17
	s_addc_u32 s10, s18, s19
	s_addc_u32 s11, s11, 0
	s_mul_i32 s17, s16, s17
	s_add_u32 s10, s10, s17
	s_addc_u32 s11, 0, s11
	v_add_co_u32_e32 v1, vcc, s10, v1
	s_cmp_lg_u64 vcc, 0
	s_addc_u32 s18, s16, s11
	s_ashr_i32 s10, s3, 31
	s_add_u32 s16, s2, s10
	s_mov_b32 s11, s10
	s_addc_u32 s17, s3, s10
	s_xor_b64 s[16:17], s[16:17], s[10:11]
	v_readfirstlane_b32 s20, v1
	s_mul_i32 s19, s16, s18
	s_mul_hi_u32 s21, s16, s20
	s_mul_hi_u32 s3, s16, s18
	s_add_u32 s19, s21, s19
	s_addc_u32 s3, 0, s3
	s_mul_hi_u32 s22, s17, s20
	s_mul_i32 s20, s17, s20
	s_add_u32 s19, s19, s20
	s_mul_hi_u32 s21, s17, s18
	s_addc_u32 s3, s3, s22
	s_addc_u32 s19, s21, 0
	s_mul_i32 s18, s17, s18
	s_add_u32 s3, s3, s18
	s_addc_u32 s18, 0, s19
	s_add_u32 s19, s3, 1
	s_addc_u32 s20, s18, 0
	s_add_u32 s21, s3, 2
	s_mul_i32 s23, s9, s18
	s_mul_hi_u32 s24, s9, s3
	s_addc_u32 s22, s18, 0
	s_add_i32 s24, s24, s23
	s_mul_i32 s23, s9, s3
	v_mov_b32_e32 v1, s23
	v_sub_co_u32_e32 v1, vcc, s16, v1
	s_cmp_lg_u64 vcc, 0
	s_subb_u32 s16, s17, s24
	v_subrev_co_u32_e32 v2, vcc, s9, v1
	s_cmp_lg_u64 vcc, 0
	s_subb_u32 s17, s16, 0
	v_readfirstlane_b32 s23, v2
	s_cmp_ge_u32 s23, s9
	s_cselect_b32 s23, -1, 0
	s_cmp_eq_u32 s17, 0
	s_cselect_b32 s17, s23, -1
	s_cmp_lg_u32 s17, 0
	s_cselect_b32 s17, s22, s20
	v_readfirstlane_b32 s20, v1
	s_cselect_b32 s19, s21, s19
	s_cmp_ge_u32 s20, s9
	s_cselect_b32 s20, -1, 0
	s_cmp_eq_u32 s16, 0
	s_cselect_b32 s16, s20, -1
	s_cmp_lg_u32 s16, 0
	s_cselect_b32 s17, s17, s18
	s_cselect_b32 s16, s19, s3
	s_xor_b64 s[16:17], s[16:17], s[10:11]
	s_sub_u32 s20, s16, s10
	s_load_dwordx4 s[16:19], s[4:5], 0x44
	s_cbranch_execnz .LBB3_3
.LBB3_2:
	v_cvt_f32_u32_e32 v1, s9
	s_sub_i32 s0, 0, s9
	v_rcp_iflag_f32_e32 v1, v1
	v_mul_f32_e32 v1, 0x4f7ffffe, v1
	v_cvt_u32_f32_e32 v1, v1
	v_readfirstlane_b32 s1, v1
	s_mul_i32 s0, s0, s1
	s_mul_hi_u32 s0, s1, s0
	s_add_i32 s1, s1, s0
	s_mul_hi_u32 s0, s2, s1
	s_mul_i32 s3, s0, s9
	s_sub_i32 s2, s2, s3
	s_add_i32 s1, s0, 1
	s_sub_i32 s3, s2, s9
	s_cmp_ge_u32 s2, s9
	s_cselect_b32 s0, s1, s0
	s_cselect_b32 s2, s3, s2
	s_add_i32 s1, s0, 1
	s_cmp_ge_u32 s2, s9
	s_cselect_b32 s20, s1, s0
.LBB3_3:
	s_add_i32 s0, s6, 1
	s_mul_hi_i32 s3, s15, s0
	s_mov_b32 s2, 0
	s_cmp_lg_u64 s[2:3], 0
	s_mul_i32 s2, s15, s0
	s_cbranch_scc0 .LBB3_22
; %bb.4:
	v_cvt_f32_u32_e32 v1, s9
	v_cvt_f32_ubyte0_e32 v2, 0
	s_sub_u32 s10, 0, s9
	s_subb_u32 s11, 0, 0
	v_madmk_f32 v1, v2, 0x4f800000, v1
	v_rcp_f32_e32 v1, v1
	v_mul_f32_e32 v1, 0x5f7ffffc, v1
	v_mul_f32_e32 v2, 0x2f800000, v1
	v_trunc_f32_e32 v2, v2
	v_madmk_f32 v1, v2, 0xcf800000, v1
	v_cvt_u32_f32_e32 v2, v2
	v_cvt_u32_f32_e32 v1, v1
	s_waitcnt lgkmcnt(0)
	v_readfirstlane_b32 s19, v2
	v_readfirstlane_b32 s21, v1
	s_mul_i32 s22, s10, s19
	s_mul_hi_u32 s24, s10, s21
	s_mul_i32 s23, s11, s21
	s_add_i32 s22, s24, s22
	s_add_i32 s22, s22, s23
	s_mul_i32 s25, s10, s21
	s_mul_hi_u32 s23, s21, s22
	s_mul_i32 s24, s21, s22
	s_mul_hi_u32 s21, s21, s25
	s_add_u32 s21, s21, s24
	s_addc_u32 s23, 0, s23
	s_mul_hi_u32 s26, s19, s25
	s_mul_i32 s25, s19, s25
	s_add_u32 s21, s21, s25
	s_mul_hi_u32 s24, s19, s22
	s_addc_u32 s21, s23, s26
	s_addc_u32 s23, s24, 0
	s_mul_i32 s22, s19, s22
	s_add_u32 s21, s21, s22
	s_addc_u32 s22, 0, s23
	v_add_co_u32_e32 v1, vcc, s21, v1
	s_cmp_lg_u64 vcc, 0
	s_addc_u32 s19, s19, s22
	v_readfirstlane_b32 s22, v1
	s_mul_i32 s21, s10, s19
	s_mul_hi_u32 s23, s10, s22
	s_add_i32 s21, s23, s21
	s_mul_i32 s11, s11, s22
	s_add_i32 s21, s21, s11
	s_mul_i32 s10, s10, s22
	s_mul_hi_u32 s23, s19, s10
	s_mul_i32 s24, s19, s10
	s_mul_i32 s26, s22, s21
	s_mul_hi_u32 s10, s22, s10
	s_mul_hi_u32 s25, s22, s21
	s_add_u32 s10, s10, s26
	s_addc_u32 s22, 0, s25
	s_add_u32 s10, s10, s24
	s_mul_hi_u32 s11, s19, s21
	s_addc_u32 s10, s22, s23
	s_addc_u32 s11, s11, 0
	s_mul_i32 s21, s19, s21
	s_add_u32 s10, s10, s21
	s_addc_u32 s11, 0, s11
	v_add_co_u32_e32 v1, vcc, s10, v1
	s_cmp_lg_u64 vcc, 0
	s_addc_u32 s19, s19, s11
	s_ashr_i32 s10, s3, 31
	s_add_u32 s22, s2, s10
	s_mov_b32 s11, s10
	s_addc_u32 s23, s3, s10
	s_xor_b64 s[22:23], s[22:23], s[10:11]
	v_readfirstlane_b32 s21, v1
	s_mul_i32 s11, s22, s19
	s_mul_hi_u32 s24, s22, s21
	s_mul_hi_u32 s3, s22, s19
	s_add_u32 s11, s24, s11
	s_addc_u32 s3, 0, s3
	s_mul_hi_u32 s25, s23, s21
	s_mul_i32 s21, s23, s21
	s_add_u32 s11, s11, s21
	s_mul_hi_u32 s24, s23, s19
	s_addc_u32 s3, s3, s25
	s_addc_u32 s11, s24, 0
	s_mul_i32 s19, s23, s19
	s_add_u32 s3, s3, s19
	s_addc_u32 s11, 0, s11
	s_mul_i32 s11, s9, s11
	s_mul_hi_u32 s24, s9, s3
	s_add_i32 s24, s24, s11
	s_mul_i32 s11, s9, s3
	v_mov_b32_e32 v1, s11
	s_add_u32 s19, s3, 1
	s_add_u32 s21, s3, 2
	v_sub_co_u32_e32 v1, vcc, s22, v1
	s_cmp_lg_u64 vcc, 0
	s_subb_u32 s11, s23, s24
	v_subrev_co_u32_e32 v2, vcc, s9, v1
	s_cmp_lg_u64 vcc, 0
	s_subb_u32 s22, s11, 0
	v_cmp_le_u32_e32 vcc, s9, v2
	s_cmp_eq_u32 s22, 0
	v_cndmask_b32_e64 v2, 0, -1, vcc
	s_cselect_b64 vcc, -1, 0
	v_cndmask_b32_e32 v2, -1, v2, vcc
	v_mov_b32_e32 v3, s19
	v_mov_b32_e32 v4, s21
	v_cmp_ne_u32_e32 vcc, 0, v2
	v_cndmask_b32_e32 v2, v3, v4, vcc
	v_cmp_le_u32_e32 vcc, s9, v1
	s_cmp_eq_u32 s11, 0
	v_cndmask_b32_e64 v1, 0, -1, vcc
	s_cselect_b64 vcc, -1, 0
	v_cndmask_b32_e32 v1, -1, v1, vcc
	v_mov_b32_e32 v3, s3
	v_cmp_ne_u32_e32 vcc, 0, v1
	v_cndmask_b32_e32 v1, v3, v2, vcc
	v_xor_b32_e32 v1, s10, v1
	v_subrev_co_u32_e32 v2, vcc, s10, v1
	s_cbranch_execnz .LBB3_6
.LBB3_5:
	v_cvt_f32_u32_e32 v1, s9
	s_sub_i32 s0, 0, s9
	s_mov_b32 s1, 0
	v_rcp_iflag_f32_e32 v1, v1
	v_mul_f32_e32 v1, 0x4f7ffffe, v1
	v_cvt_u32_f32_e32 v1, v1
	v_readfirstlane_b32 s3, v1
	s_mul_i32 s0, s0, s3
	s_mul_hi_u32 s0, s3, s0
	s_add_i32 s3, s3, s0
	s_mul_hi_u32 s0, s2, s3
	s_mul_i32 s10, s0, s9
	s_sub_i32 s2, s2, s10
	s_add_i32 s3, s0, 1
	s_sub_i32 s10, s2, s9
	s_cmp_ge_u32 s2, s9
	s_cselect_b32 s0, s3, s0
	s_cselect_b32 s2, s10, s2
	s_add_i32 s3, s0, 1
	s_cmp_ge_u32 s2, s9
	s_cselect_b32 s0, s3, s0
	v_pk_mov_b32 v[2:3], s[0:1], s[0:1] op_sel:[0,1]
.LBB3_6:
	s_waitcnt lgkmcnt(0)
	s_mul_hi_u32 s0, s20, s16
	s_add_i32 s0, s0, s20
	v_mul_hi_u32 v1, v2, s16
	s_lshr_b32 s19, s0, s17
	v_add_u32_e32 v1, v1, v2
	s_mul_i32 s0, s19, s18
	v_lshrrev_b32_e32 v1, s17, v1
	s_cmp_eq_u32 s0, s20
	v_cmp_eq_u32_e64 s[0:1], s19, v1
	v_mul_lo_u32 v1, v1, s18
	v_cmp_eq_u32_e32 vcc, s20, v2
	s_cselect_b64 s[10:11], -1, 0
	v_cmp_ne_u32_e64 s[2:3], v1, v2
	s_and_b64 s[0:1], s[0:1], s[2:3]
	s_or_b64 s[2:3], vcc, s[10:11]
	s_or_b64 s[0:1], s[2:3], s[0:1]
	s_and_b64 vcc, exec, s[0:1]
	s_cbranch_vccnz .LBB3_24
; %bb.7:
	s_load_dwordx8 s[24:31], s[4:5], 0x20
	s_load_dword s0, s[4:5], 0x40
	s_mov_b32 s10, 0
	s_waitcnt lgkmcnt(0)
	s_mul_hi_u32 s1, s20, s24
	s_add_i32 s1, s1, s20
	s_lshr_b32 s11, s1, s25
	s_mul_i32 s1, s11, s26
	s_sub_i32 s1, s20, s1
	s_mul_hi_u32 s2, s1, s27
	s_add_i32 s2, s1, s2
	s_lshr_b32 s24, s2, s28
	s_mul_i32 s2, s24, s29
	s_sub_i32 s1, s1, s2
	;; [unrolled: 5-line block ×3, first 2 shown]
	s_mul_hi_u32 s1, s0, s16
	s_add_i32 s0, s0, s1
	s_lshr_b32 s26, s0, s17
	s_lshl_b32 s0, s26, 3
	s_lshl_b32 s25, s2, 3
	s_add_i32 s0, s0, s7
	s_cmp_lt_i32 s0, s12
	s_cselect_b64 s[0:1], -1, 0
	s_add_i32 s2, s25, s8
	s_cmp_lt_i32 s2, s14
	s_cselect_b64 s[2:3], -1, 0
	s_and_b64 s[0:1], s[0:1], s[2:3]
	s_andn2_b64 vcc, exec, s[0:1]
	s_cbranch_vccnz .LBB3_24
; %bb.8:
	s_load_dwordx4 s[0:3], s[4:5], 0x0
	s_lshl_b32 s21, s7, 3
	s_lshl_b32 s4, s9, 8
	s_mov_b32 s5, s10
	s_add_i32 s21, s21, s8
	s_lshl_b64 s[4:5], s[4:5], 2
	s_waitcnt lgkmcnt(0)
	s_add_u32 s22, s2, s4
	s_mul_i32 s4, s11, s12
	s_addc_u32 s23, s3, s5
	s_add_i32 s4, s4, s7
	s_mul_i32 s4, s4, s13
	s_mul_i32 s24, s24, s14
	s_add_i32 s4, s4, s8
	s_add_i32 s4, s4, s24
	s_mul_i32 s5, s13, s26
	s_add_i32 s4, s4, s25
	s_lshl_b32 s5, s5, 10
	s_lshl_b32 s4, s4, 7
	s_add_i32 s5, s5, s4
	v_or_b32_e32 v2, s5, v0
	v_ashrrev_i32_e32 v3, 31, v2
	v_lshlrev_b64 v[2:3], 2, v[2:3]
	v_mov_b32_e32 v1, s1
	v_add_co_u32_e32 v2, vcc, s0, v2
	v_addc_co_u32_e32 v3, vcc, v1, v3, vcc
	global_load_dword v5, v[2:3], off
	v_lshl_or_b32 v4, s21, 7, v0
	v_cvt_f32_u32_e32 v0, s9
	v_cvt_f32_ubyte0_e32 v1, 0
	s_lshl_b32 s0, s6, 6
	s_add_i32 s0, s21, s0
	v_mac_f32_e32 v0, 0x4f800000, v1
	v_rcp_f32_e32 v0, v0
	v_cvt_f32_u32_e32 v1, s9
	s_ashr_i32 s1, s0, 31
	s_lshl_b64 s[0:1], s[0:1], 3
	v_mul_f32_e32 v0, 0x5f7ffffc, v0
	v_rcp_iflag_f32_e32 v1, v1
	s_add_u32 s0, s2, s0
	v_mul_f32_e32 v9, 0x2f800000, v0
	s_addc_u32 s1, s3, s1
	v_trunc_f32_e32 v10, v9
	s_load_dwordx2 s[0:1], s[0:1], 0x0
	v_mac_f32_e32 v0, 0xcf800000, v10
	v_cvt_u32_f32_e32 v9, v0
	v_mul_f32_e32 v0, 0x4f7ffffe, v1
	v_cvt_u32_f32_e32 v10, v10
	v_cvt_u32_f32_e32 v11, v0
	s_add_i32 s8, s6, -1
	s_waitcnt lgkmcnt(0)
	v_mov_b32_e32 v6, s1
	v_mov_b32_e32 v7, s0
	;; [unrolled: 1-line block ×3, first 2 shown]
	s_mov_b32 s6, 0x3fb8aa3b
	s_mov_b32 s7, 0xc2ce8ed0
	;; [unrolled: 1-line block ×4, first 2 shown]
	v_mov_b32_e32 v12, 0x7f800000
	s_mul_hi_i32 s11, s8, s15
	s_cmp_lg_u64 s[10:11], 0
	s_mul_i32 s4, s8, s15
	s_cbranch_scc0 .LBB3_15
.LBB3_9:
	s_sub_u32 s0, 0, s9
	v_readfirstlane_b32 s5, v9
	v_readfirstlane_b32 s24, v10
	s_subb_u32 s1, 0, 0
	s_mul_hi_u32 s20, s0, s5
	s_mul_i32 s25, s0, s24
	s_mul_i32 s14, s1, s5
	s_add_i32 s20, s20, s25
	s_add_i32 s20, s20, s14
	s_mul_i32 s26, s0, s5
	s_mul_hi_u32 s14, s5, s20
	s_mul_i32 s25, s5, s20
	s_mul_hi_u32 s5, s5, s26
	s_add_u32 s5, s5, s25
	s_addc_u32 s14, 0, s14
	s_mul_hi_u32 s27, s24, s26
	s_mul_i32 s26, s24, s26
	s_add_u32 s5, s5, s26
	s_mul_hi_u32 s25, s24, s20
	s_addc_u32 s5, s14, s27
	s_addc_u32 s14, s25, 0
	s_mul_i32 s20, s24, s20
	s_add_u32 s5, s5, s20
	s_addc_u32 s14, 0, s14
	v_add_co_u32_e32 v0, vcc, s5, v9
	s_cmp_lg_u64 vcc, 0
	s_addc_u32 s5, s24, s14
	v_readfirstlane_b32 s20, v0
	s_mul_i32 s14, s0, s5
	s_mul_hi_u32 s24, s0, s20
	s_add_i32 s14, s24, s14
	s_mul_i32 s1, s1, s20
	s_add_i32 s14, s14, s1
	s_mul_i32 s0, s0, s20
	s_mul_hi_u32 s24, s5, s0
	s_mul_i32 s25, s5, s0
	s_mul_i32 s27, s20, s14
	s_mul_hi_u32 s0, s20, s0
	s_mul_hi_u32 s26, s20, s14
	s_add_u32 s0, s0, s27
	s_addc_u32 s20, 0, s26
	s_add_u32 s0, s0, s25
	s_mul_hi_u32 s1, s5, s14
	s_addc_u32 s0, s20, s24
	s_addc_u32 s1, s1, 0
	s_mul_i32 s14, s5, s14
	s_add_u32 s0, s0, s14
	s_addc_u32 s1, 0, s1
	v_add_co_u32_e32 v0, vcc, s0, v0
	s_cmp_lg_u64 vcc, 0
	s_addc_u32 s5, s5, s1
	s_ashr_i32 s0, s11, 31
	s_add_u32 s24, s4, s0
	s_mov_b32 s1, s0
	s_addc_u32 s25, s11, s0
	s_xor_b64 s[24:25], s[24:25], s[0:1]
	v_readfirstlane_b32 s14, v0
	s_mul_i32 s11, s24, s5
	s_mul_hi_u32 s20, s24, s14
	s_mul_hi_u32 s1, s24, s5
	s_add_u32 s11, s20, s11
	s_addc_u32 s1, 0, s1
	s_mul_hi_u32 s26, s25, s14
	s_mul_i32 s14, s25, s14
	s_add_u32 s11, s11, s14
	s_mul_hi_u32 s20, s25, s5
	s_addc_u32 s1, s1, s26
	s_addc_u32 s11, s20, 0
	s_mul_i32 s5, s25, s5
	s_add_u32 s1, s1, s5
	s_addc_u32 s5, 0, s11
	s_mul_i32 s5, s9, s5
	s_mul_hi_u32 s20, s9, s1
	s_add_i32 s20, s20, s5
	s_mul_i32 s5, s9, s1
	v_mov_b32_e32 v0, s5
	s_add_u32 s11, s1, 1
	s_add_u32 s14, s1, 2
	v_sub_co_u32_e32 v0, vcc, s24, v0
	s_cmp_lg_u64 vcc, 0
	s_subb_u32 s5, s25, s20
	v_subrev_co_u32_e32 v1, vcc, s9, v0
	s_cmp_lg_u64 vcc, 0
	s_subb_u32 s20, s5, 0
	v_cmp_le_u32_e32 vcc, s9, v1
	s_cmp_eq_u32 s20, 0
	v_cndmask_b32_e64 v1, 0, -1, vcc
	s_cselect_b64 vcc, -1, 0
	v_cndmask_b32_e32 v1, -1, v1, vcc
	v_mov_b32_e32 v13, s11
	v_mov_b32_e32 v14, s14
	v_cmp_ne_u32_e32 vcc, 0, v1
	v_cndmask_b32_e32 v1, v13, v14, vcc
	v_cmp_le_u32_e32 vcc, s9, v0
	s_cmp_eq_u32 s5, 0
	v_cndmask_b32_e64 v0, 0, -1, vcc
	s_cselect_b64 vcc, -1, 0
	v_cndmask_b32_e32 v0, -1, v0, vcc
	v_mov_b32_e32 v13, s1
	v_cmp_ne_u32_e32 vcc, 0, v0
	v_cndmask_b32_e32 v0, v13, v1, vcc
	v_xor_b32_e32 v0, s0, v0
	v_subrev_co_u32_e32 v0, vcc, s0, v0
	s_cbranch_execnz .LBB3_11
.LBB3_10:
	s_sub_i32 s0, 0, s9
	v_mul_lo_u32 v0, s0, v11
	v_mul_hi_u32 v0, v11, v0
	v_add_u32_e32 v0, v11, v0
	v_mul_hi_u32 v0, s4, v0
	v_mul_lo_u32 v13, v0, s9
	v_sub_u32_e32 v13, s4, v13
	v_add_u32_e32 v1, 1, v0
	v_subrev_u32_e32 v14, s9, v13
	v_cmp_le_u32_e32 vcc, s9, v13
	v_cndmask_b32_e32 v13, v13, v14, vcc
	v_cndmask_b32_e32 v0, v0, v1, vcc
	v_add_u32_e32 v1, 1, v0
	v_cmp_le_u32_e32 vcc, s9, v13
	v_cndmask_b32_e32 v0, v0, v1, vcc
.LBB3_11:
	v_cmp_ne_u32_e32 vcc, v8, v0
	s_cbranch_vccz .LBB3_14
; %bb.12:
	s_add_i32 s0, s8, s9
	s_lshl_b32 s0, s0, 6
	v_mul_hi_u32 v1, v0, s16
	s_add_i32 s0, s0, s21
	s_mov_b32 s1, s10
	v_add_u32_e32 v1, v1, v0
	s_lshl_b64 s[0:1], s[0:1], 3
	v_lshrrev_b32_e32 v1, s17, v1
	s_add_u32 s4, s2, s0
	v_mul_lo_u32 v13, v1, s18
	s_addc_u32 s5, s3, s1
	v_cmp_eq_u32_e32 vcc, v13, v0
	v_cmp_gt_u32_e64 s[0:1], s19, v1
	s_or_b64 s[0:1], s[0:1], vcc
	s_and_b64 vcc, exec, s[0:1]
	s_cbranch_vccnz .LBB3_16
; %bb.13:
	s_add_i32 s11, s8, -1
	s_mov_b64 s[0:1], 0
	s_branch .LBB3_17
.LBB3_14:
                                        ; implicit-def: $sgpr0_sgpr1
                                        ; implicit-def: $vgpr14
                                        ; implicit-def: $vgpr1
                                        ; implicit-def: $vgpr13
                                        ; implicit-def: $sgpr11
                                        ; implicit-def: $vgpr0
	s_branch .LBB3_18
.LBB3_15:
                                        ; implicit-def: $vgpr0_vgpr1
	s_branch .LBB3_10
.LBB3_16:
	s_mov_b64 s[0:1], -1
	s_mov_b32 s11, s8
	v_mov_b32_e32 v0, v8
.LBB3_17:
	v_lshl_add_u32 v14, s8, 13, v4
	v_ashrrev_i32_e32 v15, 31, v14
	v_lshlrev_b64 v[14:15], 2, v[14:15]
	v_mov_b32_e32 v1, s23
	v_add_co_u32_e32 v14, vcc, s22, v14
	v_addc_co_u32_e32 v15, vcc, v1, v15, vcc
	global_load_dword v14, v[14:15], off
	s_load_dwordx2 s[4:5], s[4:5], 0x0
	v_max_f32_e32 v1, v7, v7
	s_waitcnt lgkmcnt(0)
	v_max_f32_e64 v13, s4, s4
	v_max_f32_e32 v1, v1, v13
	v_sub_f32_e32 v13, v7, v1
	v_sub_f32_e32 v15, s4, v1
	v_mul_f32_e32 v16, 0x3fb8aa3b, v13
	v_mul_f32_e32 v17, 0x3fb8aa3b, v15
	v_fma_f32 v18, v13, s6, -v16
	v_rndne_f32_e32 v19, v16
	v_fma_f32 v20, v15, s6, -v17
	v_rndne_f32_e32 v21, v17
	v_fmac_f32_e32 v18, 0x32a5705f, v13
	v_sub_f32_e32 v16, v16, v19
	v_fmac_f32_e32 v20, 0x32a5705f, v15
	v_sub_f32_e32 v17, v17, v21
	v_add_f32_e32 v16, v16, v18
	v_cvt_i32_f32_e32 v19, v19
	v_add_f32_e32 v17, v17, v20
	v_exp_f32_e32 v16, v16
	v_cvt_i32_f32_e32 v21, v21
	v_exp_f32_e32 v17, v17
	v_cmp_ngt_f32_e32 vcc, s7, v13
	v_ldexp_f32 v16, v16, v19
	v_cndmask_b32_e32 v16, 0, v16, vcc
	v_ldexp_f32 v17, v17, v21
	v_cmp_ngt_f32_e32 vcc, s7, v15
	v_cndmask_b32_e32 v17, 0, v17, vcc
	v_cmp_nlt_f32_e32 vcc, s12, v13
	v_cndmask_b32_e32 v16, v12, v16, vcc
	v_cmp_nlt_f32_e32 vcc, s12, v15
	v_cndmask_b32_e32 v17, v12, v17, vcc
	v_cmp_le_f32_e32 vcc, s13, v13
	v_cndmask_b32_e32 v16, 0, v16, vcc
	v_cmp_le_f32_e32 vcc, s13, v15
	v_cndmask_b32_e32 v15, 0, v17, vcc
	v_mul_f32_e32 v13, s5, v15
	v_fmac_f32_e32 v13, v6, v16
	s_waitcnt vmcnt(0)
	v_mul_f32_e32 v14, v14, v15
	v_fmac_f32_e32 v14, v5, v16
	s_cbranch_execnz .LBB3_19
.LBB3_18:
	s_add_i32 s11, s8, -1
	s_mov_b64 s[0:1], 0
	v_mov_b32_e32 v0, v8
	v_mov_b32_e32 v13, v6
	;; [unrolled: 1-line block ×3, first 2 shown]
	s_waitcnt vmcnt(0)
	v_mov_b32_e32 v14, v5
.LBB3_19:
	s_andn2_b64 vcc, exec, s[0:1]
	s_cbranch_vccz .LBB3_23
; %bb.20:
	v_mov_b32_e32 v8, v0
	s_mov_b32 s8, s11
	v_mov_b32_e32 v6, v13
	v_mov_b32_e32 v7, v1
	s_waitcnt vmcnt(0)
	v_mov_b32_e32 v5, v14
	s_mul_hi_i32 s11, s8, s15
	s_cmp_lg_u64 s[10:11], 0
	s_mul_i32 s4, s8, s15
	s_cbranch_scc1 .LBB3_9
	s_branch .LBB3_15
.LBB3_21:
                                        ; implicit-def: $sgpr20_sgpr21
	s_load_dwordx4 s[16:19], s[4:5], 0x44
	s_branch .LBB3_2
.LBB3_22:
                                        ; implicit-def: $vgpr2_vgpr3
	s_branch .LBB3_5
.LBB3_23:
	v_div_scale_f32 v0, s[0:1], v13, v13, v14
	v_rcp_f32_e32 v1, v0
	v_div_scale_f32 v4, vcc, v14, v13, v14
	s_waitcnt vmcnt(0)
	v_fma_f32 v5, -v0, v1, 1.0
	v_fmac_f32_e32 v1, v5, v1
	v_mul_f32_e32 v5, v4, v1
	v_fma_f32 v6, -v0, v5, v4
	v_fmac_f32_e32 v5, v6, v1
	v_fma_f32 v0, -v0, v5, v4
	v_div_fmas_f32 v0, v0, v1, v5
	v_div_fixup_f32 v0, v0, v13, v14
	global_store_dword v[2:3], v0, off
.LBB3_24:
	s_endpgm
	.section	.rodata,"a",@progbits
	.p2align	6, 0x0
	.amdhsa_kernel _ZL33flash_attn_stream_k_fixup_generalILi128ELi8ELi8EEvPfPK15HIP_vector_typeIfLj2EEiiiiS1_IjLj3EES5_S5_S5_
		.amdhsa_group_segment_fixed_size 0
		.amdhsa_private_segment_fixed_size 0
		.amdhsa_kernarg_size 336
		.amdhsa_user_sgpr_count 6
		.amdhsa_user_sgpr_private_segment_buffer 1
		.amdhsa_user_sgpr_dispatch_ptr 0
		.amdhsa_user_sgpr_queue_ptr 0
		.amdhsa_user_sgpr_kernarg_segment_ptr 1
		.amdhsa_user_sgpr_dispatch_id 0
		.amdhsa_user_sgpr_flat_scratch_init 0
		.amdhsa_user_sgpr_kernarg_preload_length 0
		.amdhsa_user_sgpr_kernarg_preload_offset 0
		.amdhsa_user_sgpr_private_segment_size 0
		.amdhsa_uses_dynamic_stack 0
		.amdhsa_system_sgpr_private_segment_wavefront_offset 0
		.amdhsa_system_sgpr_workgroup_id_x 1
		.amdhsa_system_sgpr_workgroup_id_y 1
		.amdhsa_system_sgpr_workgroup_id_z 1
		.amdhsa_system_sgpr_workgroup_info 0
		.amdhsa_system_vgpr_workitem_id 0
		.amdhsa_next_free_vgpr 22
		.amdhsa_next_free_sgpr 32
		.amdhsa_accum_offset 24
		.amdhsa_reserve_vcc 1
		.amdhsa_reserve_flat_scratch 0
		.amdhsa_float_round_mode_32 0
		.amdhsa_float_round_mode_16_64 0
		.amdhsa_float_denorm_mode_32 3
		.amdhsa_float_denorm_mode_16_64 3
		.amdhsa_dx10_clamp 1
		.amdhsa_ieee_mode 1
		.amdhsa_fp16_overflow 0
		.amdhsa_tg_split 0
		.amdhsa_exception_fp_ieee_invalid_op 0
		.amdhsa_exception_fp_denorm_src 0
		.amdhsa_exception_fp_ieee_div_zero 0
		.amdhsa_exception_fp_ieee_overflow 0
		.amdhsa_exception_fp_ieee_underflow 0
		.amdhsa_exception_fp_ieee_inexact 0
		.amdhsa_exception_int_div_zero 0
	.end_amdhsa_kernel
	.section	.text._ZL33flash_attn_stream_k_fixup_generalILi128ELi8ELi8EEvPfPK15HIP_vector_typeIfLj2EEiiiiS1_IjLj3EES5_S5_S5_,"axG",@progbits,_ZL33flash_attn_stream_k_fixup_generalILi128ELi8ELi8EEvPfPK15HIP_vector_typeIfLj2EEiiiiS1_IjLj3EES5_S5_S5_,comdat
.Lfunc_end3:
	.size	_ZL33flash_attn_stream_k_fixup_generalILi128ELi8ELi8EEvPfPK15HIP_vector_typeIfLj2EEiiiiS1_IjLj3EES5_S5_S5_, .Lfunc_end3-_ZL33flash_attn_stream_k_fixup_generalILi128ELi8ELi8EEvPfPK15HIP_vector_typeIfLj2EEiiiiS1_IjLj3EES5_S5_S5_
                                        ; -- End function
	.section	.AMDGPU.csdata,"",@progbits
; Kernel info:
; codeLenInByte = 2824
; NumSgprs: 36
; NumVgprs: 22
; NumAgprs: 0
; TotalNumVgprs: 22
; ScratchSize: 0
; MemoryBound: 0
; FloatMode: 240
; IeeeMode: 1
; LDSByteSize: 0 bytes/workgroup (compile time only)
; SGPRBlocks: 4
; VGPRBlocks: 2
; NumSGPRsForWavesPerEU: 36
; NumVGPRsForWavesPerEU: 22
; AccumOffset: 24
; Occupancy: 8
; WaveLimiterHint : 0
; COMPUTE_PGM_RSRC2:SCRATCH_EN: 0
; COMPUTE_PGM_RSRC2:USER_SGPR: 6
; COMPUTE_PGM_RSRC2:TRAP_HANDLER: 0
; COMPUTE_PGM_RSRC2:TGID_X_EN: 1
; COMPUTE_PGM_RSRC2:TGID_Y_EN: 1
; COMPUTE_PGM_RSRC2:TGID_Z_EN: 1
; COMPUTE_PGM_RSRC2:TIDIG_COMP_CNT: 0
; COMPUTE_PGM_RSRC3_GFX90A:ACCUM_OFFSET: 5
; COMPUTE_PGM_RSRC3_GFX90A:TG_SPLIT: 0
	.section	.text._ZL26flash_attn_combine_resultsILi128EEvPKfPK15HIP_vector_typeIfLj2EEPfi,"axG",@progbits,_ZL26flash_attn_combine_resultsILi128EEvPKfPK15HIP_vector_typeIfLj2EEPfi,comdat
	.globl	_ZL26flash_attn_combine_resultsILi128EEvPKfPK15HIP_vector_typeIfLj2EEPfi ; -- Begin function _ZL26flash_attn_combine_resultsILi128EEvPKfPK15HIP_vector_typeIfLj2EEPfi
	.p2align	8
	.type	_ZL26flash_attn_combine_resultsILi128EEvPKfPK15HIP_vector_typeIfLj2EEPfi,@function
_ZL26flash_attn_combine_resultsILi128EEvPKfPK15HIP_vector_typeIfLj2EEPfi: ; @_ZL26flash_attn_combine_resultsILi128EEvPKfPK15HIP_vector_typeIfLj2EEPfi
; %bb.0:
	s_load_dwordx2 s[10:11], s[4:5], 0x20
	s_load_dword s17, s[4:5], 0x18
	s_load_dwordx4 s[0:3], s[4:5], 0x0
	s_load_dwordx2 s[14:15], s[4:5], 0x10
	s_waitcnt lgkmcnt(0)
	s_mul_i32 s4, s10, s8
	s_add_i32 s4, s4, s6
	s_mul_i32 s16, s4, s11
	s_add_i32 s16, s16, s7
	s_lshl_b32 s18, s17, 1
	s_mul_i32 s4, s16, s17
	v_cmp_gt_i32_e32 vcc, s18, v0
	s_and_saveexec_b64 s[6:7], vcc
	s_cbranch_execz .LBB4_13
; %bb.1:
	v_xad_u32 v1, v0, -1, s18
	s_movk_i32 s8, 0x7f
	s_ashr_i32 s5, s4, 31
	v_cmp_lt_u32_e32 vcc, s8, v1
	s_mov_b64 s[10:11], -1
	v_mov_b32_e32 v2, v0
	s_and_saveexec_b64 s[8:9], vcc
	s_cbranch_execz .LBB4_10
; %bb.2:
	v_lshrrev_b32_e32 v6, 7, v1
	s_lshl_b64 s[10:11], s[4:5], 3
	v_add_u32_e32 v2, -1, v6
	s_add_u32 s19, s2, s10
	v_or_b32_e32 v1, 0x80, v0
	v_lshrrev_b32_e32 v3, 1, v2
	s_addc_u32 s20, s3, s11
	v_add_u32_e32 v7, 1, v3
	v_cmp_lt_u32_e32 vcc, 13, v2
	v_mov_b32_e32 v4, 0
	v_pk_mov_b32 v[2:3], v[0:1], v[0:1] op_sel:[0,1]
	s_and_saveexec_b64 s[10:11], vcc
	s_cbranch_execz .LBB4_6
; %bb.3:
	v_and_b32_e32 v8, -8, v7
	s_mov_b32 s21, 0
	v_lshl_add_u32 v9, v0, 2, 0
	s_mov_b64 s[12:13], 0
	v_mov_b32_e32 v10, s20
	v_mov_b32_e32 v5, 0
	v_pk_mov_b32 v[2:3], v[0:1], v[0:1] op_sel:[0,1]
.LBB4_4:                                ; =>This Inner Loop Header: Depth=1
	v_mov_b32_e32 v4, v2
	v_lshlrev_b64 v[26:27], 2, v[4:5]
	v_add_u32_e32 v12, 0x100, v3
	v_mov_b32_e32 v13, v5
	v_add_co_u32_e32 v26, vcc, s19, v26
	v_lshlrev_b64 v[12:13], 2, v[12:13]
	v_addc_co_u32_e32 v27, vcc, v10, v27, vcc
	v_add_u32_e32 v14, 0x200, v3
	v_mov_b32_e32 v15, v5
	v_add_co_u32_e32 v12, vcc, s19, v12
	v_lshlrev_b64 v[14:15], 2, v[14:15]
	v_addc_co_u32_e32 v13, vcc, v10, v13, vcc
	;; [unrolled: 5-line block ×7, first 2 shown]
	v_mov_b32_e32 v4, v3
	v_add_co_u32_e32 v24, vcc, s19, v24
	v_lshlrev_b64 v[28:29], 2, v[4:5]
	v_addc_co_u32_e32 v25, vcc, v10, v25, vcc
	v_add_u32_e32 v4, 0x100, v2
	v_add_co_u32_e32 v28, vcc, s19, v28
	v_addc_co_u32_e32 v29, vcc, v10, v29, vcc
	global_load_dword v1, v[26:27], off
	v_lshlrev_b64 v[26:27], 2, v[4:5]
	v_add_u32_e32 v4, 0x200, v2
	v_add_co_u32_e32 v26, vcc, s19, v26
	v_addc_co_u32_e32 v27, vcc, v10, v27, vcc
	v_lshlrev_b64 v[30:31], 2, v[4:5]
	v_add_u32_e32 v4, 0x300, v2
	global_load_dword v11, v[28:29], off
	global_load_dword v32, v[26:27], off
	;; [unrolled: 1-line block ×3, first 2 shown]
	v_add_co_u32_e32 v12, vcc, s19, v30
	v_addc_co_u32_e32 v13, vcc, v10, v31, vcc
	v_lshlrev_b64 v[26:27], 2, v[4:5]
	v_add_u32_e32 v4, 0x400, v2
	v_add_co_u32_e32 v26, vcc, s19, v26
	v_addc_co_u32_e32 v27, vcc, v10, v27, vcc
	v_lshlrev_b64 v[28:29], 2, v[4:5]
	v_add_u32_e32 v4, 0x500, v2
	global_load_dword v30, v[12:13], off
	global_load_dword v31, v[14:15], off
	;; [unrolled: 1-line block ×4, first 2 shown]
	v_add_co_u32_e32 v12, vcc, s19, v28
	v_addc_co_u32_e32 v13, vcc, v10, v29, vcc
	v_lshlrev_b64 v[14:15], 2, v[4:5]
	v_add_u32_e32 v4, 0x600, v2
	v_add_co_u32_e32 v14, vcc, s19, v14
	v_addc_co_u32_e32 v15, vcc, v10, v15, vcc
	v_lshlrev_b64 v[16:17], 2, v[4:5]
	v_add_u32_e32 v4, 0x700, v2
	global_load_dword v26, v[12:13], off
	global_load_dword v27, v[18:19], off
	;; [unrolled: 1-line block ×4, first 2 shown]
	v_add_co_u32_e32 v12, vcc, s19, v16
	v_addc_co_u32_e32 v13, vcc, v10, v17, vcc
	v_lshlrev_b64 v[14:15], 2, v[4:5]
	v_add_co_u32_e32 v14, vcc, s19, v14
	v_addc_co_u32_e32 v15, vcc, v10, v15, vcc
	global_load_dword v16, v[12:13], off
	global_load_dword v17, v[22:23], off
	;; [unrolled: 1-line block ×4, first 2 shown]
	v_add_u32_e32 v8, -8, v8
	s_add_i32 s21, s21, 16
	v_cmp_eq_u32_e32 vcc, 0, v8
	v_add_u32_e32 v3, 0x800, v3
	v_mov_b32_e32 v4, s21
	s_or_b64 s[12:13], vcc, s[12:13]
	v_add_u32_e32 v2, 0x800, v2
	s_waitcnt vmcnt(14)
	ds_write2st64_b32 v9, v1, v11 offset1:2
	s_waitcnt vmcnt(12)
	ds_write2st64_b32 v9, v32, v33 offset0:4 offset1:6
	s_waitcnt vmcnt(10)
	ds_write2st64_b32 v9, v30, v31 offset0:8 offset1:10
	;; [unrolled: 2-line block ×7, first 2 shown]
	v_add_u32_e32 v9, 0x2000, v9
	s_andn2_b64 exec, exec, s[12:13]
	s_cbranch_execnz .LBB4_4
; %bb.5:
	s_or_b64 exec, exec, s[12:13]
.LBB4_6:
	s_or_b64 exec, exec, s[10:11]
	v_and_b32_e32 v1, 7, v7
	v_cmp_ne_u32_e32 vcc, 0, v1
	s_and_saveexec_b64 s[10:11], vcc
	s_cbranch_execz .LBB4_9
; %bb.7:
	v_lshlrev_b32_e32 v5, 2, v0
	v_lshl_or_b32 v4, v4, 9, v5
	v_add_u32_e32 v7, 0, v4
	s_mov_b64 s[12:13], 0
	v_mov_b32_e32 v8, s20
	v_mov_b32_e32 v5, 0
.LBB4_8:                                ; =>This Inner Loop Header: Depth=1
	v_mov_b32_e32 v4, v2
	v_lshlrev_b64 v[10:11], 2, v[4:5]
	v_mov_b32_e32 v4, v3
	v_add_co_u32_e32 v10, vcc, s19, v10
	v_addc_co_u32_e32 v11, vcc, v8, v11, vcc
	v_lshlrev_b64 v[12:13], 2, v[4:5]
	v_add_co_u32_e32 v12, vcc, s19, v12
	v_addc_co_u32_e32 v13, vcc, v8, v13, vcc
	global_load_dword v4, v[10:11], off
	global_load_dword v9, v[12:13], off
	v_add_u32_e32 v1, -1, v1
	v_cmp_eq_u32_e32 vcc, 0, v1
	v_add_u32_e32 v2, 0x100, v2
	v_add_u32_e32 v3, 0x100, v3
	s_or_b64 s[12:13], vcc, s[12:13]
	s_waitcnt vmcnt(0)
	ds_write2st64_b32 v7, v4, v9 offset1:2
	v_add_u32_e32 v7, 0x400, v7
	s_andn2_b64 exec, exec, s[12:13]
	s_cbranch_execnz .LBB4_8
.LBB4_9:
	s_or_b64 exec, exec, s[10:11]
	v_add_u32_e32 v1, 1, v6
	v_and_b32_e32 v3, 0x3fffffe, v1
	v_cmp_ne_u32_e32 vcc, v1, v3
	v_lshl_or_b32 v2, v3, 7, v0
	s_orn2_b64 s[10:11], vcc, exec
.LBB4_10:
	s_or_b64 exec, exec, s[8:9]
	s_and_b64 exec, exec, s[10:11]
	s_cbranch_execz .LBB4_13
; %bb.11:
	s_lshl_b64 s[8:9], s[4:5], 3
	v_mov_b32_e32 v3, 0
	s_add_u32 s2, s2, s8
	v_lshlrev_b64 v[4:5], 2, v[2:3]
	s_addc_u32 s3, s3, s9
	v_mov_b32_e32 v1, s3
	v_add_co_u32_e32 v4, vcc, s2, v4
	v_addc_co_u32_e32 v5, vcc, v1, v5, vcc
	v_lshl_add_u32 v1, v2, 2, 0
	s_mov_b64 s[2:3], 0
.LBB4_12:                               ; =>This Inner Loop Header: Depth=1
	global_load_dword v3, v[4:5], off
	v_add_co_u32_e32 v4, vcc, 0x200, v4
	v_add_u32_e32 v2, 0x80, v2
	v_addc_co_u32_e32 v5, vcc, 0, v5, vcc
	v_cmp_le_i32_e32 vcc, s18, v2
	s_or_b64 s[2:3], vcc, s[2:3]
	s_waitcnt vmcnt(0)
	ds_write_b32 v1, v3
	v_add_u32_e32 v1, 0x200, v1
	s_andn2_b64 exec, exec, s[2:3]
	s_cbranch_execnz .LBB4_12
.LBB4_13:
	s_or_b64 exec, exec, s[6:7]
	v_mov_b32_e32 v1, 0
	s_waitcnt lgkmcnt(0)
	s_barrier
	ds_read_b32 v1, v1
	s_cmp_lt_i32 s17, 2
	s_cbranch_scc1 .LBB4_21
; %bb.14:
	s_add_i32 s2, s17, -1
	s_add_i32 s3, s17, -2
	s_cmp_lt_u32 s3, 7
	s_cbranch_scc1 .LBB4_18
; %bb.15:
	s_mov_b32 s6, 0
	s_add_i32 s3, 0, 8
	s_and_b32 s5, s2, -8
.LBB4_16:                               ; =>This Inner Loop Header: Depth=1
	v_mov_b32_e32 v8, s3
	ds_read2_b32 v[2:3], v8 offset1:2
	ds_read2_b32 v[4:5], v8 offset0:4 offset1:6
	ds_read2_b32 v[6:7], v8 offset0:8 offset1:10
	;; [unrolled: 1-line block ×3, first 2 shown]
	s_mov_b32 s7, s6
	s_waitcnt lgkmcnt(3)
	v_max3_f32 v1, v1, v2, v3
	s_waitcnt lgkmcnt(2)
	v_max3_f32 v1, v1, v4, v5
	s_add_i32 s3, s3, 64
	s_add_i32 s6, s6, 8
	s_waitcnt lgkmcnt(1)
	v_max3_f32 v1, v1, v6, v7
	s_cmp_eq_u32 s5, s6
	s_waitcnt lgkmcnt(0)
	v_max3_f32 v1, v1, v8, v9
	s_cbranch_scc0 .LBB4_16
; %bb.17:
	s_add_i32 s3, s7, 9
	s_and_b32 s2, s2, 7
	s_cmp_eq_u32 s2, 0
	s_cbranch_scc0 .LBB4_19
	s_branch .LBB4_21
.LBB4_18:
	s_mov_b32 s3, 1
	s_and_b32 s2, s2, 7
	s_cmp_eq_u32 s2, 0
	s_cbranch_scc1 .LBB4_21
.LBB4_19:
	s_lshl_b32 s3, s3, 3
	s_add_i32 s3, s3, 0
.LBB4_20:                               ; =>This Inner Loop Header: Depth=1
	v_mov_b32_e32 v2, s3
	ds_read_b32 v2, v2
	s_waitcnt lgkmcnt(1)
	v_max_f32_e32 v1, v1, v1
	s_add_i32 s3, s3, 8
	s_add_i32 s2, s2, -1
	s_cmp_lg_u32 s2, 0
	s_waitcnt lgkmcnt(0)
	v_max_f32_e32 v2, v2, v2
	v_max_f32_e32 v1, v1, v2
	s_cbranch_scc1 .LBB4_20
.LBB4_21:
	s_cmp_lt_i32 s17, 1
	s_cbranch_scc1 .LBB4_26
; %bb.22:
	s_lshl_b32 s2, s4, 7
	s_ashr_i32 s3, s2, 31
	s_lshl_b64 s[2:3], s[2:3], 2
	s_add_u32 s18, s0, s2
	s_addc_u32 s19, s1, s3
	s_cmp_lt_u32 s17, 8
	v_mov_b32_e32 v6, 0
	s_cbranch_scc1 .LBB4_27
; %bb.23:
	s_and_b32 s20, s17, 0x7ffffff8
	v_or_b32_e32 v2, 0x380, v0
	s_mov_b32 s21, 0
	v_mov_b32_e32 v5, 0
	s_mov_b32 s22, 0x3fb8aa3b
	s_mov_b32 s23, 0xc2ce8ed0
	;; [unrolled: 1-line block ×3, first 2 shown]
	v_mov_b32_e32 v8, 0x7f800000
	v_mov_b32_e32 v9, s19
	s_mov_b32 s25, 0
	v_mov_b32_e32 v7, 0
	v_mov_b32_e32 v6, 0
.LBB4_24:                               ; =>This Inner Loop Header: Depth=1
	v_add_u32_e32 v4, 0xfffffc80, v2
	v_lshlrev_b64 v[26:27], 2, v[4:5]
	v_mov_b32_e32 v3, v5
	v_add_co_u32_e32 v26, vcc, s18, v26
	v_lshlrev_b64 v[28:29], 2, v[2:3]
	v_addc_co_u32_e32 v27, vcc, v9, v27, vcc
	v_add_u32_e32 v4, 0xfffffd00, v2
	v_add_co_u32_e32 v28, vcc, s18, v28
	v_mov_b32_e32 v22, s21
	v_lshlrev_b64 v[30:31], 2, v[4:5]
	v_addc_co_u32_e32 v29, vcc, v9, v29, vcc
	ds_read2_b64 v[10:13], v22 offset1:1
	ds_read2_b64 v[14:17], v22 offset0:2 offset1:3
	ds_read2_b64 v[18:21], v22 offset0:4 offset1:5
	;; [unrolled: 1-line block ×3, first 2 shown]
	v_add_u32_e32 v4, 0xfffffd80, v2
	global_load_dword v3, v[26:27], off
	v_add_co_u32_e32 v26, vcc, s18, v30
	v_addc_co_u32_e32 v27, vcc, v9, v31, vcc
	v_lshlrev_b64 v[30:31], 2, v[4:5]
	v_add_u32_e32 v4, 0xfffffe00, v2
	v_add_co_u32_e32 v30, vcc, s18, v30
	v_addc_co_u32_e32 v31, vcc, v9, v31, vcc
	v_lshlrev_b64 v[32:33], 2, v[4:5]
	v_add_u32_e32 v4, 0xfffffe80, v2
	global_load_dword v34, v[26:27], off
	global_load_dword v35, v[30:31], off
	v_add_co_u32_e32 v26, vcc, s18, v32
	v_addc_co_u32_e32 v27, vcc, v9, v33, vcc
	v_lshlrev_b64 v[30:31], 2, v[4:5]
	v_add_u32_e32 v4, 0xffffff00, v2
	v_add_co_u32_e32 v30, vcc, s18, v30
	v_addc_co_u32_e32 v31, vcc, v9, v31, vcc
	v_lshlrev_b64 v[32:33], 2, v[4:5]
	global_load_dword v36, v[26:27], off
	v_add_u32_e32 v4, 0xffffff80, v2
	global_load_dword v28, v[28:29], off
	v_add_co_u32_e32 v26, vcc, s18, v32
	v_addc_co_u32_e32 v27, vcc, v9, v33, vcc
	global_load_dword v42, v[30:31], off
	s_waitcnt lgkmcnt(3)
	v_sub_f32_e32 v12, v12, v1
	global_load_dword v26, v[26:27], off
	v_lshlrev_b64 v[30:31], 2, v[4:5]
	v_add_co_u32_e32 v30, vcc, s18, v30
	v_addc_co_u32_e32 v31, vcc, v9, v31, vcc
	global_load_dword v30, v[30:31], off
	s_waitcnt lgkmcnt(2)
	v_sub_f32_e32 v14, v14, v1
	v_sub_f32_e32 v10, v10, v1
	v_mul_f32_e32 v38, 0x3fb8aa3b, v12
	v_mul_f32_e32 v39, 0x3fb8aa3b, v14
	s_waitcnt lgkmcnt(1)
	v_sub_f32_e32 v18, v18, v1
	s_waitcnt lgkmcnt(0)
	v_sub_f32_e32 v22, v22, v1
	v_mul_f32_e32 v37, 0x3fb8aa3b, v10
	v_fma_f32 v45, v12, s22, -v38
	v_rndne_f32_e32 v46, v38
	v_fma_f32 v47, v14, s22, -v39
	v_rndne_f32_e32 v48, v39
	v_sub_f32_e32 v16, v16, v1
	v_sub_f32_e32 v20, v20, v1
	v_mul_f32_e32 v41, 0x3fb8aa3b, v18
	v_mul_f32_e32 v32, 0x3fb8aa3b, v22
	v_fma_f32 v33, v10, s22, -v37
	v_rndne_f32_e32 v44, v37
	v_fmac_f32_e32 v45, 0x32a5705f, v12
	v_sub_f32_e32 v38, v38, v46
	v_fmac_f32_e32 v47, 0x32a5705f, v14
	v_sub_f32_e32 v39, v39, v48
	v_mul_f32_e32 v40, 0x3fb8aa3b, v16
	v_mul_f32_e32 v43, 0x3fb8aa3b, v20
	v_fma_f32 v27, v18, s22, -v41
	v_rndne_f32_e32 v31, v41
	v_fmac_f32_e32 v33, 0x32a5705f, v10
	v_sub_f32_e32 v37, v37, v44
	v_add_f32_e32 v38, v38, v45
	v_fma_f32 v45, v22, s22, -v32
	v_add_f32_e32 v39, v39, v47
	v_rndne_f32_e32 v47, v32
	v_fma_f32 v49, v16, s22, -v40
	v_rndne_f32_e32 v50, v40
	v_fma_f32 v29, v20, s22, -v43
	v_add_f32_e32 v33, v37, v33
	v_rndne_f32_e32 v37, v43
	v_fmac_f32_e32 v27, 0x32a5705f, v18
	v_sub_f32_e32 v41, v41, v31
	v_fmac_f32_e32 v45, 0x32a5705f, v22
	v_sub_f32_e32 v32, v32, v47
	;; [unrolled: 2-line block ×3, first 2 shown]
	v_add_f32_e32 v27, v41, v27
	v_cvt_i32_f32_e32 v44, v44
	v_fmac_f32_e32 v29, 0x32a5705f, v20
	v_sub_f32_e32 v43, v43, v37
	v_add_f32_e32 v32, v32, v45
	v_exp_f32_e32 v33, v33
	v_add_f32_e32 v40, v40, v49
	v_cvt_i32_f32_e32 v46, v46
	v_cvt_i32_f32_e32 v31, v31
	;; [unrolled: 1-line block ×3, first 2 shown]
	v_add_f32_e32 v29, v43, v29
	v_exp_f32_e32 v38, v38
	v_exp_f32_e32 v27, v27
	;; [unrolled: 1-line block ×3, first 2 shown]
	v_sub_f32_e32 v24, v24, v1
	v_cvt_i32_f32_e32 v48, v48
	v_cvt_i32_f32_e32 v50, v50
	;; [unrolled: 1-line block ×3, first 2 shown]
	v_exp_f32_e32 v39, v39
	v_exp_f32_e32 v40, v40
	;; [unrolled: 1-line block ×3, first 2 shown]
	v_mul_f32_e32 v4, 0x3fb8aa3b, v24
	v_fma_f32 v49, v24, s22, -v4
	v_rndne_f32_e32 v41, v4
	v_ldexp_f32 v33, v33, v44
	v_cmp_ngt_f32_e64 s[12:13], s23, v10
	v_fmac_f32_e32 v49, 0x32a5705f, v24
	v_sub_f32_e32 v4, v4, v41
	v_ldexp_f32 v38, v38, v46
	v_cmp_ngt_f32_e32 vcc, s23, v12
	v_ldexp_f32 v27, v27, v31
	v_ldexp_f32 v31, v32, v47
	v_cndmask_b32_e64 v32, 0, v33, s[12:13]
	v_cmp_nlt_f32_e64 s[12:13], s24, v10
	v_add_f32_e32 v4, v4, v49
	v_ldexp_f32 v39, v39, v48
	v_cmp_ngt_f32_e64 s[0:1], s23, v14
	v_ldexp_f32 v40, v40, v50
	v_cmp_ngt_f32_e64 s[2:3], s23, v16
	v_cmp_ngt_f32_e64 s[4:5], s23, v18
	v_ldexp_f32 v29, v29, v37
	v_cmp_ngt_f32_e64 s[6:7], s23, v20
	v_cmp_ngt_f32_e64 s[8:9], s23, v22
	v_cndmask_b32_e32 v33, 0, v38, vcc
	v_cmp_nlt_f32_e32 vcc, s24, v12
	v_cndmask_b32_e64 v10, v8, v32, s[12:13]
	v_cvt_i32_f32_e32 v41, v41
	v_exp_f32_e32 v4, v4
	v_cndmask_b32_e64 v12, 0, v39, s[0:1]
	v_cmp_nlt_f32_e64 s[0:1], s24, v14
	v_cndmask_b32_e64 v14, 0, v40, s[2:3]
	v_cmp_nlt_f32_e64 s[2:3], s24, v16
	;; [unrolled: 2-line block ×5, first 2 shown]
	v_cndmask_b32_e32 v22, v8, v33, vcc
	v_fmac_f32_e32 v7, v10, v11
	s_waitcnt vmcnt(7)
	v_fmac_f32_e32 v6, v3, v10
	v_cndmask_b32_e64 v12, v8, v12, s[0:1]
	v_fmac_f32_e32 v7, v22, v13
	s_waitcnt vmcnt(6)
	v_fmac_f32_e32 v6, v34, v22
	v_cndmask_b32_e64 v14, v8, v14, s[2:3]
	;; [unrolled: 4-line block ×3, first 2 shown]
	v_fmac_f32_e32 v7, v14, v17
	s_waitcnt vmcnt(4)
	v_fmac_f32_e32 v6, v36, v14
	v_ldexp_f32 v4, v4, v41
	v_cmp_ngt_f32_e64 s[10:11], s23, v24
	v_cndmask_b32_e64 v18, v8, v18, s[6:7]
	v_fmac_f32_e32 v7, v16, v19
	s_waitcnt vmcnt(2)
	v_fmac_f32_e32 v6, v42, v16
	v_cndmask_b32_e64 v4, 0, v4, s[10:11]
	v_cmp_nlt_f32_e64 s[10:11], s24, v24
	v_cndmask_b32_e64 v20, v8, v20, s[8:9]
	v_fmac_f32_e32 v7, v18, v21
	s_waitcnt vmcnt(1)
	v_fmac_f32_e32 v6, v26, v18
	s_add_i32 s25, s25, 8
	s_add_i32 s21, s21, 64
	v_cndmask_b32_e64 v4, v8, v4, s[10:11]
	v_fmac_f32_e32 v7, v20, v23
	s_waitcnt vmcnt(0)
	v_fmac_f32_e32 v6, v30, v20
	s_cmp_eq_u32 s20, s25
	v_add_u32_e32 v2, 0x400, v2
	v_fmac_f32_e32 v7, v4, v25
	v_fmac_f32_e32 v6, v28, v4
	s_cbranch_scc0 .LBB4_24
; %bb.25:
	s_and_b32 s0, s17, 7
	s_cmp_eq_u32 s0, 0
	s_cbranch_scc0 .LBB4_28
	s_branch .LBB4_30
.LBB4_26:
	s_waitcnt lgkmcnt(0)
	v_mov_b32_e32 v1, 0x7fc00000
	s_branch .LBB4_31
.LBB4_27:
	s_mov_b32 s20, 0
	v_mov_b32_e32 v7, 0
	s_and_b32 s0, s17, 7
	s_cmp_eq_u32 s0, 0
	s_cbranch_scc1 .LBB4_30
.LBB4_28:
	s_lshl_b32 s1, s20, 3
	v_lshl_or_b32 v2, s20, 7, v0
	s_add_i32 s1, s1, 0
	s_mov_b32 s2, 0x3fb8aa3b
	s_mov_b32 s3, 0xc2ce8ed0
	;; [unrolled: 1-line block ×3, first 2 shown]
	v_mov_b32_e32 v4, 0x7f800000
	v_mov_b32_e32 v3, 0
	;; [unrolled: 1-line block ×3, first 2 shown]
.LBB4_29:                               ; =>This Inner Loop Header: Depth=1
	v_lshlrev_b64 v[8:9], 2, v[2:3]
	v_add_co_u32_e32 v8, vcc, s18, v8
	v_addc_co_u32_e32 v9, vcc, v5, v9, vcc
	global_load_dword v10, v[8:9], off
	v_mov_b32_e32 v8, s1
	ds_read_b64 v[8:9], v8
	s_add_i32 s1, s1, 8
	s_add_i32 s0, s0, -1
	v_add_u32_e32 v2, 0x80, v2
	s_cmp_lg_u32 s0, 0
	s_waitcnt lgkmcnt(0)
	v_sub_f32_e32 v8, v8, v1
	v_mul_f32_e32 v11, 0x3fb8aa3b, v8
	v_fma_f32 v12, v8, s2, -v11
	v_rndne_f32_e32 v13, v11
	v_fmac_f32_e32 v12, 0x32a5705f, v8
	v_sub_f32_e32 v11, v11, v13
	v_add_f32_e32 v11, v11, v12
	v_cvt_i32_f32_e32 v13, v13
	v_exp_f32_e32 v11, v11
	v_cmp_ngt_f32_e32 vcc, s3, v8
	v_ldexp_f32 v11, v11, v13
	v_cndmask_b32_e32 v11, 0, v11, vcc
	v_cmp_nlt_f32_e32 vcc, s4, v8
	v_cndmask_b32_e32 v8, v4, v11, vcc
	v_fmac_f32_e32 v7, v8, v9
	s_waitcnt vmcnt(0)
	v_fmac_f32_e32 v6, v10, v8
	s_cbranch_scc1 .LBB4_29
.LBB4_30:
	s_waitcnt lgkmcnt(0)
	v_div_scale_f32 v1, s[0:1], v7, v7, v6
	v_rcp_f32_e32 v2, v1
	v_div_scale_f32 v3, vcc, v6, v7, v6
	v_fma_f32 v4, -v1, v2, 1.0
	v_fmac_f32_e32 v2, v4, v2
	v_mul_f32_e32 v4, v3, v2
	v_fma_f32 v5, -v1, v4, v3
	v_fmac_f32_e32 v4, v5, v2
	v_fma_f32 v1, -v1, v4, v3
	v_div_fmas_f32 v1, v1, v2, v4
	v_div_fixup_f32 v1, v1, v7, v6
.LBB4_31:
	s_lshl_b32 s0, s16, 7
	s_ashr_i32 s1, s0, 31
	s_lshl_b64 s[0:1], s[0:1], 2
	s_add_u32 s0, s14, s0
	s_addc_u32 s1, s15, s1
	v_lshlrev_b32_e32 v0, 2, v0
	global_store_dword v0, v1, s[0:1]
	s_endpgm
	.section	.rodata,"a",@progbits
	.p2align	6, 0x0
	.amdhsa_kernel _ZL26flash_attn_combine_resultsILi128EEvPKfPK15HIP_vector_typeIfLj2EEPfi
		.amdhsa_group_segment_fixed_size 0
		.amdhsa_private_segment_fixed_size 0
		.amdhsa_kernarg_size 288
		.amdhsa_user_sgpr_count 6
		.amdhsa_user_sgpr_private_segment_buffer 1
		.amdhsa_user_sgpr_dispatch_ptr 0
		.amdhsa_user_sgpr_queue_ptr 0
		.amdhsa_user_sgpr_kernarg_segment_ptr 1
		.amdhsa_user_sgpr_dispatch_id 0
		.amdhsa_user_sgpr_flat_scratch_init 0
		.amdhsa_user_sgpr_kernarg_preload_length 0
		.amdhsa_user_sgpr_kernarg_preload_offset 0
		.amdhsa_user_sgpr_private_segment_size 0
		.amdhsa_uses_dynamic_stack 0
		.amdhsa_system_sgpr_private_segment_wavefront_offset 0
		.amdhsa_system_sgpr_workgroup_id_x 1
		.amdhsa_system_sgpr_workgroup_id_y 1
		.amdhsa_system_sgpr_workgroup_id_z 1
		.amdhsa_system_sgpr_workgroup_info 0
		.amdhsa_system_vgpr_workitem_id 0
		.amdhsa_next_free_vgpr 51
		.amdhsa_next_free_sgpr 26
		.amdhsa_accum_offset 52
		.amdhsa_reserve_vcc 1
		.amdhsa_reserve_flat_scratch 0
		.amdhsa_float_round_mode_32 0
		.amdhsa_float_round_mode_16_64 0
		.amdhsa_float_denorm_mode_32 3
		.amdhsa_float_denorm_mode_16_64 3
		.amdhsa_dx10_clamp 1
		.amdhsa_ieee_mode 1
		.amdhsa_fp16_overflow 0
		.amdhsa_tg_split 0
		.amdhsa_exception_fp_ieee_invalid_op 0
		.amdhsa_exception_fp_denorm_src 0
		.amdhsa_exception_fp_ieee_div_zero 0
		.amdhsa_exception_fp_ieee_overflow 0
		.amdhsa_exception_fp_ieee_underflow 0
		.amdhsa_exception_fp_ieee_inexact 0
		.amdhsa_exception_int_div_zero 0
	.end_amdhsa_kernel
	.section	.text._ZL26flash_attn_combine_resultsILi128EEvPKfPK15HIP_vector_typeIfLj2EEPfi,"axG",@progbits,_ZL26flash_attn_combine_resultsILi128EEvPKfPK15HIP_vector_typeIfLj2EEPfi,comdat
.Lfunc_end4:
	.size	_ZL26flash_attn_combine_resultsILi128EEvPKfPK15HIP_vector_typeIfLj2EEPfi, .Lfunc_end4-_ZL26flash_attn_combine_resultsILi128EEvPKfPK15HIP_vector_typeIfLj2EEPfi
                                        ; -- End function
	.section	.AMDGPU.csdata,"",@progbits
; Kernel info:
; codeLenInByte = 3048
; NumSgprs: 30
; NumVgprs: 51
; NumAgprs: 0
; TotalNumVgprs: 51
; ScratchSize: 0
; MemoryBound: 0
; FloatMode: 240
; IeeeMode: 1
; LDSByteSize: 0 bytes/workgroup (compile time only)
; SGPRBlocks: 3
; VGPRBlocks: 6
; NumSGPRsForWavesPerEU: 30
; NumVGPRsForWavesPerEU: 51
; AccumOffset: 52
; Occupancy: 8
; WaveLimiterHint : 0
; COMPUTE_PGM_RSRC2:SCRATCH_EN: 0
; COMPUTE_PGM_RSRC2:USER_SGPR: 6
; COMPUTE_PGM_RSRC2:TRAP_HANDLER: 0
; COMPUTE_PGM_RSRC2:TGID_X_EN: 1
; COMPUTE_PGM_RSRC2:TGID_Y_EN: 1
; COMPUTE_PGM_RSRC2:TGID_Z_EN: 1
; COMPUTE_PGM_RSRC2:TIDIG_COMP_CNT: 0
; COMPUTE_PGM_RSRC3_GFX90A:ACCUM_OFFSET: 12
; COMPUTE_PGM_RSRC3_GFX90A:TG_SPLIT: 0
	.section	.text._ZL15flash_attn_tileILi128ELi128ELi4ELi8ELb0EEvPKcS1_S1_S1_S1_PKiPfP15HIP_vector_typeIfLj2EEffffjfiS5_IjLj3EEiiiiiiiiiiiliiliiiiil,"axG",@progbits,_ZL15flash_attn_tileILi128ELi128ELi4ELi8ELb0EEvPKcS1_S1_S1_S1_PKiPfP15HIP_vector_typeIfLj2EEffffjfiS5_IjLj3EEiiiiiiiiiiiliiliiiiil,comdat
	.globl	_ZL15flash_attn_tileILi128ELi128ELi4ELi8ELb0EEvPKcS1_S1_S1_S1_PKiPfP15HIP_vector_typeIfLj2EEffffjfiS5_IjLj3EEiiiiiiiiiiiliiliiiiil ; -- Begin function _ZL15flash_attn_tileILi128ELi128ELi4ELi8ELb0EEvPKcS1_S1_S1_S1_PKiPfP15HIP_vector_typeIfLj2EEffffjfiS5_IjLj3EEiiiiiiiiiiiliiliiiiil
	.p2align	8
	.type	_ZL15flash_attn_tileILi128ELi128ELi4ELi8ELb0EEvPKcS1_S1_S1_S1_PKiPfP15HIP_vector_typeIfLj2EEffffjfiS5_IjLj3EEiiiiiiiiiiiliiliiiiil,@function
_ZL15flash_attn_tileILi128ELi128ELi4ELi8ELb0EEvPKcS1_S1_S1_S1_PKiPfP15HIP_vector_typeIfLj2EEffffjfiS5_IjLj3EEiiiiiiiiiiiliiliiiiil: ; @_ZL15flash_attn_tileILi128ELi128ELi4ELi8ELb0EEvPKcS1_S1_S1_S1_PKiPfP15HIP_vector_typeIfLj2EEffffjfiS5_IjLj3EEiiiiiiiiiiiliiliiiiil
; %bb.0:
	s_load_dwordx4 s[60:63], s[4:5], 0x5c
	s_load_dwordx2 s[64:65], s[4:5], 0x80
	s_load_dwordx16 s[44:59], s[4:5], 0x0
	s_mov_b64 s[66:67], 0
	s_waitcnt lgkmcnt(0)
	s_ashr_i32 s0, s63, 31
	s_lshr_b32 s0, s0, 29
	s_add_i32 s0, s63, s0
	s_ashr_i32 s0, s0, 3
	v_cvt_f32_u32_e32 v1, s0
	s_sub_i32 s1, 0, s0
	v_rcp_iflag_f32_e32 v1, v1
	v_mul_f32_e32 v1, 0x4f7ffffe, v1
	v_cvt_u32_f32_e32 v1, v1
	v_readfirstlane_b32 s2, v1
	s_mul_i32 s1, s1, s2
	s_mul_hi_u32 s1, s2, s1
	s_add_i32 s2, s2, s1
	s_mul_hi_u32 s1, s8, s2
	s_mul_i32 s2, s1, s0
	s_sub_i32 s2, s8, s2
	s_add_i32 s3, s1, 1
	s_sub_i32 s9, s2, s0
	s_cmp_ge_u32 s2, s0
	s_cselect_b32 s1, s3, s1
	s_cselect_b32 s2, s9, s2
	s_add_i32 s3, s1, 1
	s_cmp_ge_u32 s2, s0
	s_cselect_b32 s33, s3, s1
	s_abs_i32 s0, s65
	v_cvt_f32_u32_e32 v1, s0
	s_lshl_b32 s1, s8, 3
	s_mul_i32 s8, s33, s63
	s_xor_b32 s2, s63, s65
	v_rcp_iflag_f32_e32 v1, v1
	s_sub_i32 s9, 0, s0
	s_sub_i32 s65, s1, s8
	s_abs_i32 s3, s63
	v_mul_f32_e32 v1, 0x4f7ffffe, v1
	v_cvt_u32_f32_e32 v1, v1
	s_ashr_i32 s2, s2, 31
	v_readfirstlane_b32 s1, v1
	s_mul_i32 s9, s9, s1
	s_mul_hi_u32 s8, s1, s9
	s_add_i32 s1, s1, s8
	s_mul_hi_u32 s1, s3, s1
	s_mul_i32 s8, s1, s0
	s_sub_i32 s3, s3, s8
	s_add_i32 s9, s1, 1
	s_sub_i32 s8, s3, s0
	s_cmp_ge_u32 s3, s0
	s_cselect_b32 s1, s9, s1
	s_cselect_b32 s3, s8, s3
	s_add_i32 s8, s1, 1
	s_cmp_ge_u32 s3, s0
	s_cselect_b32 s0, s8, s1
	s_xor_b32 s0, s0, s2
	s_sub_i32 s11, s0, s2
	s_abs_i32 s10, s11
	v_cvt_f32_u32_e32 v1, s10
	s_load_dwordx2 s[8:9], s[4:5], 0xb8
	s_cmp_eq_u64 s[50:51], 0
	v_rcp_iflag_f32_e32 v1, v1
	v_mul_f32_e32 v1, 0x4f7ffffe, v1
	v_cvt_u32_f32_e32 v1, v1
	v_readfirstlane_b32 s12, v1
	s_cbranch_scc1 .LBB5_2
; %bb.1:
	s_waitcnt lgkmcnt(0)
	s_abs_i32 s2, s8
	v_cvt_f32_u32_e32 v1, s2
	s_sub_i32 s13, 0, s2
	s_abs_i32 s8, s33
	s_ashr_i32 s3, s33, 31
	v_rcp_iflag_f32_e32 v1, v1
	s_load_dwordx2 s[0:1], s[4:5], 0xc8
	v_mul_f32_e32 v1, 0x4f7ffffe, v1
	v_cvt_u32_f32_e32 v1, v1
	v_readfirstlane_b32 s14, v1
	s_mul_i32 s13, s13, s14
	s_mul_hi_u32 s13, s14, s13
	s_add_i32 s14, s14, s13
	s_mul_hi_u32 s13, s8, s14
	s_mul_i32 s13, s13, s2
	s_sub_i32 s8, s8, s13
	s_sub_i32 s13, s8, s2
	s_cmp_ge_u32 s8, s2
	s_cselect_b32 s8, s13, s8
	s_sub_i32 s13, s8, s2
	s_cmp_ge_u32 s8, s2
	s_cselect_b32 s2, s13, s8
	s_xor_b32 s2, s2, s3
	s_sub_i32 s2, s2, s3
	s_ashr_i32 s3, s2, 31
	s_waitcnt lgkmcnt(0)
	s_mul_i32 s1, s2, s1
	s_mul_hi_u32 s8, s2, s0
	s_add_i32 s1, s8, s1
	s_mul_i32 s3, s3, s0
	s_add_i32 s1, s1, s3
	s_mul_i32 s2, s2, s0
	s_add_u32 s66, s50, s2
	s_addc_u32 s67, s51, s1
.LBB5_2:
	s_load_dwordx4 s[0:3], s[4:5], 0x70
	v_bfe_u32 v4, v0, 10, 10
	v_lshrrev_b32_e32 v1, 1, v4
	v_lshl_add_u32 v113, s6, 2, v1
	v_mul_hi_u32 v1, s60, v113
	s_waitcnt lgkmcnt(0)
	s_mul_i32 s2, s33, s2
	s_ashr_i32 s8, s2, 31
	s_mul_i32 s3, s65, s1
	s_add_u32 s2, s44, s2
	v_add_u32_e32 v1, v113, v1
	s_addc_u32 s8, s45, s8
	s_ashr_i32 s13, s3, 31
	v_lshrrev_b32_e32 v1, s61, v1
	s_add_u32 s14, s2, s3
	v_mul_lo_u32 v1, v1, s62
	s_addc_u32 s8, s8, s13
	v_sub_u32_e32 v5, v113, v1
	s_ashr_i32 s15, s0, 31
	v_mov_b32_e32 v1, s0
	v_alignbit_b32 v1, s15, v1, 2
	v_mad_u64_u32 v[2:3], s[2:3], v1, v5, 0
	v_mov_b32_e32 v8, v3
	s_lshr_b32 s0, s15, 2
	v_mad_u64_u32 v[8:9], s[2:3], s0, v5, v[8:9]
	v_mov_b32_e32 v3, v8
	v_and_b32_e32 v112, 0x3ff, v0
	v_lshlrev_b64 v[0:1], 2, v[2:3]
	v_mov_b32_e32 v2, s8
	v_add_co_u32_e32 v0, vcc, s14, v0
	v_addc_co_u32_e32 v1, vcc, v2, v1, vcc
	v_lshlrev_b32_e32 v2, 4, v112
	v_lshlrev_b32_e32 v6, 2, v4
	s_ashr_i32 s13, s1, 31
	v_add_co_u32_e32 v7, vcc, v0, v2
	v_mov_b32_e32 v0, s1
	v_and_b32_e32 v129, 4, v6
	s_lshr_b32 s2, s13, 2
	v_alignbit_b32 v16, s13, v0, 2
	v_addc_co_u32_e32 v20, vcc, 0, v1, vcc
	v_mul_lo_u32 v2, s2, v129
	v_mad_u64_u32 v[0:1], s[0:1], v16, v129, 0
	v_or_b32_e32 v1, v1, v2
	v_lshlrev_b64 v[0:1], 2, v[0:1]
	v_or_b32_e32 v21, 1, v6
	v_add_co_u32_e32 v0, vcc, v7, v0
	v_and_b32_e32 v11, 5, v21
	v_addc_co_u32_e32 v1, vcc, v20, v1, vcc
	v_mad_u64_u32 v[8:9], s[0:1], v16, v11, 0
	global_load_dwordx4 v[0:3], v[0:1], off
	v_mov_b32_e32 v10, v9
	v_mad_u64_u32 v[10:11], s[0:1], s2, v11, v[10:11]
	v_mov_b32_e32 v9, v10
	v_lshlrev_b64 v[8:9], 2, v[8:9]
	v_or_b32_e32 v22, 2, v6
	v_add_co_u32_e32 v8, vcc, v7, v8
	v_and_b32_e32 v15, 6, v22
	v_addc_co_u32_e32 v9, vcc, v20, v9, vcc
	global_load_dwordx4 v[8:11], v[8:9], off
	v_mad_u64_u32 v[12:13], s[0:1], v16, v15, 0
	v_mov_b32_e32 v14, v13
	v_mad_u64_u32 v[14:15], s[0:1], s2, v15, v[14:15]
	v_mov_b32_e32 v13, v14
	v_lshlrev_b64 v[12:13], 2, v[12:13]
	v_or_b32_e32 v23, 3, v6
	v_add_co_u32_e32 v12, vcc, v7, v12
	v_and_b32_e32 v19, 7, v23
	v_addc_co_u32_e32 v13, vcc, v20, v13, vcc
	v_mad_u64_u32 v[16:17], s[0:1], v16, v19, 0
	global_load_dwordx4 v[12:15], v[12:13], off
	v_mov_b32_e32 v18, v17
	v_mad_u64_u32 v[18:19], s[0:1], s2, v19, v[18:19]
	v_mov_b32_e32 v17, v18
	v_lshlrev_b64 v[16:17], 2, v[16:17]
	v_add_co_u32_e32 v16, vcc, v7, v16
	v_addc_co_u32_e32 v17, vcc, v20, v17, vcc
	global_load_dwordx4 v[16:19], v[16:17], off
	s_load_dword s0, s[4:5], 0x40
	v_lshlrev_b32_e32 v7, 1, v112
	s_cmp_eq_u64 s[54:55], 0
	s_waitcnt vmcnt(3) lgkmcnt(0)
	v_pk_mul_f32 v[0:1], v[0:1], s[0:1] op_sel_hi:[1,0]
	v_pk_mul_f32 v[2:3], v[2:3], s[0:1] op_sel_hi:[1,0]
	v_cvt_f16_f32_e32 v20, v1
	v_cvt_f16_f32_e32 v1, v3
	v_cvt_f16_f32_e32 v2, v2
	v_cvt_f16_f32_e32 v0, v0
	v_lshlrev_b32_e32 v3, 8, v4
	v_add_lshl_u32 v3, v3, v7, 2
	v_pack_b32_f16 v1, v2, v1
	v_pack_b32_f16 v0, v0, v20
	ds_write_b64 v3, v[0:1] offset:9216
	s_waitcnt vmcnt(2)
	v_pk_mul_f32 v[0:1], v[8:9], s[0:1] op_sel_hi:[1,0]
	v_pk_mul_f32 v[2:3], v[10:11], s[0:1] op_sel_hi:[1,0]
	v_cvt_f16_f32_e32 v8, v1
	v_cvt_f16_f32_e32 v1, v3
	v_cvt_f16_f32_e32 v2, v2
	v_cvt_f16_f32_e32 v0, v0
	v_lshlrev_b32_e32 v3, 6, v21
	v_add_lshl_u32 v3, v3, v7, 2
	v_pack_b32_f16 v1, v2, v1
	v_pack_b32_f16 v0, v0, v8
	ds_write_b64 v3, v[0:1] offset:9216
	s_waitcnt vmcnt(1)
	;; [unrolled: 12-line block ×3, first 2 shown]
	v_pk_mul_f32 v[0:1], v[16:17], s[0:1] op_sel_hi:[1,0]
	v_pk_mul_f32 v[2:3], v[18:19], s[0:1] op_sel_hi:[1,0]
	v_cvt_f16_f32_e32 v8, v1
	v_cvt_f16_f32_e32 v1, v3
	;; [unrolled: 1-line block ×4, first 2 shown]
	v_lshlrev_b32_e32 v3, 6, v23
	v_add_lshl_u32 v3, v3, v7, 2
	v_pack_b32_f16 v1, v2, v1
	v_pack_b32_f16 v0, v0, v8
	ds_write_b64 v3, v[0:1] offset:9216
	s_waitcnt lgkmcnt(0)
	s_barrier
	s_cbranch_scc1 .LBB5_4
; %bb.3:
	s_load_dword s0, s[4:5], 0xd0
	s_mov_b32 s1, 0
	s_waitcnt lgkmcnt(0)
	s_mul_i32 s0, s0, s33
	s_add_i32 s0, s0, s6
	s_lshl_b64 s[0:1], s[0:1], 2
	s_add_u32 s0, s54, s0
	s_addc_u32 s1, s55, s1
	s_load_dword s64, s[0:1], 0x0
.LBB5_4:
	s_lshl_b32 s60, s7, 6
	s_waitcnt lgkmcnt(0)
	s_cmp_lt_i32 s60, s64
	v_mbcnt_lo_u32_b32 v7, -1, 0
	s_cbranch_scc1 .LBB5_6
; %bb.5:
	v_mbcnt_hi_u32_b32 v119, -1, v7
	v_and_b32_e32 v0, 0x60, v119
	s_mov_b32 s2, 0
	v_add_u32_e32 v130, 32, v0
	v_xor_b32_e32 v133, 16, v119
	v_xor_b32_e32 v134, 8, v119
	;; [unrolled: 1-line block ×5, first 2 shown]
	s_mov_b64 s[0:1], 0
	s_mov_b32 s3, 0xfeffffff
	s_branch .LBB5_7
.LBB5_6:
	s_mov_b64 s[0:1], -1
                                        ; implicit-def: $sgpr3
                                        ; implicit-def: $sgpr2
                                        ; implicit-def: $vgpr119
                                        ; implicit-def: $vgpr130
                                        ; implicit-def: $vgpr133
                                        ; implicit-def: $vgpr134
                                        ; implicit-def: $vgpr135
                                        ; implicit-def: $vgpr132
                                        ; implicit-def: $vgpr131
.LBB5_7:
	v_lshlrev_b32_e32 v128, 2, v112
	s_andn2_b64 vcc, exec, s[0:1]
	v_mov_b32_e32 v3, s3
	v_mov_b32_e32 v115, s2
	;; [unrolled: 1-line block ×16, first 2 shown]
	s_cbranch_vccnz .LBB5_10
; %bb.8:
	s_sub_i32 s0, 0, s10
	s_mul_i32 s0, s0, s12
	s_mul_hi_u32 s0, s12, s0
	s_add_i32 s8, s12, s0
	s_load_dwordx2 s[12:13], s[4:5], 0x8c
	s_load_dwordx4 s[0:3], s[4:5], 0x98
	s_abs_i32 s6, s65
	s_mul_hi_u32 s8, s6, s8
	s_ashr_i32 s16, s65, 31
	s_waitcnt lgkmcnt(0)
	s_ashr_i32 s68, s12, 2
	s_ashr_i32 s61, s2, 2
	;; [unrolled: 1-line block ×4, first 2 shown]
	s_mul_i32 s1, s33, s1
	s_mul_hi_u32 s12, s33, s0
	s_add_i32 s1, s12, s1
	s_mul_i32 s12, s9, s0
	s_ashr_i32 s11, s11, 31
	s_add_i32 s1, s1, s12
	s_mul_i32 s0, s33, s0
	s_add_u32 s0, s46, s0
	s_mul_i32 s12, s8, s10
	s_addc_u32 s1, s47, s1
	s_sub_i32 s6, s6, s12
	s_xor_b32 s11, s16, s11
	s_add_i32 s12, s8, 1
	s_sub_i32 s16, s6, s10
	s_cmp_ge_u32 s6, s10
	s_cselect_b32 s8, s12, s8
	s_cselect_b32 s6, s16, s6
	s_add_i32 s12, s8, 1
	s_cmp_ge_u32 s6, s10
	s_cselect_b32 s6, s12, s8
	s_load_dwordx2 s[14:15], s[4:5], 0xa8
	s_xor_b32 s6, s6, s11
	s_sub_i32 s6, s6, s11
	s_mul_i32 s8, s6, s13
	s_ashr_i32 s10, s8, 31
	s_add_u32 s69, s0, s8
	s_addc_u32 s70, s1, s10
	s_waitcnt lgkmcnt(0)
	s_mul_i32 s0, s33, s15
	s_mul_hi_u32 s1, s33, s14
	s_add_i32 s0, s1, s0
	s_mul_i32 s9, s9, s14
	s_add_i32 s0, s0, s9
	s_mul_i32 s1, s33, s14
	s_add_u32 s1, s48, s1
	s_mul_i32 s6, s6, s3
	s_addc_u32 s0, s49, s0
	s_ashr_i32 s3, s6, 31
	s_add_u32 s71, s1, s6
	v_lshrrev_b32_e32 v0, 3, v112
	v_and_b32_e32 v2, 28, v128
	s_addc_u32 s72, s0, s3
	v_add_u32_e32 v0, v0, v6
	v_lshlrev_b32_e32 v1, 2, v2
	s_movk_i32 s0, 0x90
	v_mad_u32_u24 v136, v0, s0, v1
	v_mul_lo_u32 v8, s68, v0
	v_mov_b32_e32 v0, 0x2400
	v_lshl_add_u32 v139, v4, 10, v0
	v_mov_b32_e32 v0, 0x4400
	v_lshl_add_u32 v140, v4, 9, v0
	v_lshrrev_b32_e32 v0, 4, v112
	v_lshl_add_u32 v0, v4, 1, v0
	v_mad_u64_u32 v[118:119], s[0:1], v5, s2, v[112:113]
	v_and_b32_e32 v4, 60, v128
	v_mul_lo_u32 v14, s61, v0
	v_lshl_add_u32 v10, s68, 5, v8
	v_lshlrev_b32_e32 v1, 2, v4
	v_lshl_add_u32 v16, s61, 4, v14
	v_mbcnt_hi_u32_b32 v119, -1, v7
	v_mov_b32_e32 v13, 0
	v_ashrrev_i32_e32 v9, 31, v8
	v_ashrrev_i32_e32 v11, 31, v10
	v_lshlrev_b32_e32 v141, 3, v112
	v_lshl_or_b32 v142, v0, 8, v1
	v_ashrrev_i32_e32 v15, 31, v14
	v_ashrrev_i32_e32 v17, 31, v16
	s_add_u32 s54, s4, 0xd0
	v_mov_b32_e32 v0, 0xfeffffff
	v_and_b32_e32 v1, 0x60, v119
	v_add_u32_e32 v137, 0x1200, v136
	v_mul_u32_u24_e32 v138, 0x90, v112
	v_add_u32_e32 v143, 0x1000, v142
	s_addc_u32 s55, s5, 0
	v_lshlrev_b64 v[120:121], 2, v[8:9]
	v_lshlrev_b32_e32 v144, 2, v2
	v_lshlrev_b64 v[122:123], 2, v[10:11]
	v_add_u32_e32 v130, 32, v1
	v_xor_b32_e32 v133, 16, v119
	v_xor_b32_e32 v134, 8, v119
	;; [unrolled: 1-line block ×5, first 2 shown]
	v_mov_b32_e32 v145, s67
	s_mov_b32 s6, 0x40051340
	s_mov_b32 s67, 0x3fb8aa3b
	;; [unrolled: 1-line block ×4, first 2 shown]
	v_mov_b32_e32 v146, 0x7f800000
	v_add_u32_e32 v147, v140, v141
	v_lshlrev_b64 v[124:125], 2, v[14:15]
	v_lshlrev_b32_e32 v148, 2, v4
	v_lshlrev_b64 v[126:127], 2, v[16:17]
	v_add_u32_e32 v149, 0x800, v141
	v_add_u32_e32 v150, 0x1000, v141
	v_add_u32_e32 v151, 0x1800, v141
	v_mov_b32_e32 v37, 0
	v_mov_b32_e32 v12, 0
	v_mov_b32_e32 v15, 0
	v_mov_b32_e32 v14, 0
	v_mov_b32_e32 v17, 0
	v_mov_b32_e32 v16, 0
	v_mov_b32_e32 v36, 0
	v_mov_b32_e32 v1, v0
	v_mov_b32_e32 v2, v0
	v_mov_b32_e32 v3, v0
	v_mov_b32_e32 v116, 0
	v_mov_b32_e32 v117, v13
	v_mov_b32_e32 v114, 0
	v_mov_b32_e32 v115, v13
.LBB5_9:                                ; =>This Inner Loop Header: Depth=1
	s_mul_hi_i32 s13, s60, s68
	s_mul_i32 s12, s60, s68
	v_cmp_lt_i32_e64 s[0:1], v134, v130
	v_add_u32_e32 v4, s60, v118
	v_cmp_lt_i32_e64 s[2:3], v135, v130
	v_cndmask_b32_e64 v7, v119, v134, s[0:1]
	s_lshl_b64 s[0:1], s[12:13], 2
	v_cmp_lt_i32_e32 vcc, v133, v130
	v_cmp_lt_i32_e64 s[10:11], v132, v130
	v_cmp_lt_i32_e64 s[8:9], v131, v130
	v_cndmask_b32_e64 v8, v119, v135, s[2:3]
	v_ashrrev_i32_e32 v5, 31, v4
	s_add_u32 s2, s69, s0
	v_cndmask_b32_e32 v6, v119, v133, vcc
	v_cndmask_b32_e64 v9, v119, v132, s[10:11]
	v_cndmask_b32_e64 v10, v119, v131, s[8:9]
	v_lshlrev_b64 v[4:5], 1, v[4:5]
	s_addc_u32 s8, s70, s1
	v_lshlrev_b32_e32 v44, 2, v6
	v_lshlrev_b32_e32 v43, 2, v7
	;; [unrolled: 1-line block ×3, first 2 shown]
	v_add_co_u32_e32 v4, vcc, s66, v4
	v_add_co_u32_e64 v6, s[0:1], s2, v122
	v_add_co_u32_e64 v7, s[2:3], s2, v120
	v_mov_b32_e32 v9, s8
	v_lshlrev_b32_e32 v42, 2, v8
	v_lshlrev_b32_e32 v40, 2, v10
	v_addc_co_u32_e32 v5, vcc, v145, v5, vcc
	v_mov_b32_e32 v10, s8
	v_add_co_u32_e64 v8, s[8:9], v7, v144
	v_addc_co_u32_e64 v7, s[2:3], v9, v121, s[2:3]
	v_add_co_u32_e32 v6, vcc, v6, v144
	v_addc_co_u32_e64 v10, s[0:1], v10, v123, s[0:1]
	v_addc_co_u32_e64 v9, s[8:9], 0, v7, s[8:9]
	v_addc_co_u32_e32 v7, vcc, 0, v10, vcc
	global_load_dwordx4 v[46:49], v[8:9], off
	global_load_dwordx4 v[50:53], v[6:7], off
	v_mov_b32_e32 v18, 0
	v_mov_b32_e32 v19, 0
	;; [unrolled: 1-line block ×8, first 2 shown]
	s_mul_hi_i32 s15, s60, s61
	s_mul_i32 s14, s60, s61
	s_lshl_b64 s[10:11], s[14:15], 2
	s_add_u32 s10, s71, s10
	s_addc_u32 s11, s72, s11
	s_or_b32 s12, s60, 32
	v_add_co_u32_e64 v11, s[0:1], s10, v124
	v_mov_b32_e32 v10, s11
	v_add_co_u32_e64 v28, s[2:3], s10, v126
	v_mov_b32_e32 v29, s11
	s_mul_hi_i32 s11, s12, s61
	s_mul_i32 s10, s12, s61
	v_add_co_u32_e64 v34, s[8:9], v11, v148
	v_addc_co_u32_e64 v10, s[0:1], v10, v125, s[0:1]
	v_addc_co_u32_e64 v11, s[0:1], v29, v127, s[2:3]
	s_lshl_b64 s[2:3], s[10:11], 2
	v_addc_co_u32_e64 v35, s[0:1], 0, v10, s[8:9]
	v_add_co_u32_e32 v32, vcc, v28, v148
	s_add_u32 s0, s71, s2
	v_addc_co_u32_e32 v33, vcc, 0, v11, vcc
	s_addc_u32 s2, s72, s3
	v_add_co_u32_e32 v10, vcc, s0, v126
	v_add_co_u32_e64 v11, s[0:1], s0, v124
	s_waitcnt vmcnt(1)
	ds_write_b128 v136, v[46:49]
	s_waitcnt vmcnt(0)
	ds_write_b128 v137, v[50:53]
	s_waitcnt lgkmcnt(0)
	s_barrier
	ds_read_b128 v[46:49], v139
	ds_read_b128 v[50:53], v138
	ds_read_b128 v[54:57], v138 offset:4608
	ds_read_b128 v[58:61], v139 offset:256
	;; [unrolled: 1-line block ×4, first 2 shown]
	s_waitcnt lgkmcnt(4)
	;;#ASMSTART
	v_dot2_f32_f16 v18, v50, v46, v18
	;;#ASMEND
	;;#ASMSTART
	v_dot2_f32_f16 v18, v51, v47, v18
	;;#ASMEND
	;;#ASMSTART
	v_dot2_f32_f16 v18, v52, v48, v18
	;;#ASMEND
	;;#ASMSTART
	v_dot2_f32_f16 v18, v53, v49, v18
	;;#ASMEND
	s_waitcnt lgkmcnt(2)
	;;#ASMSTART
	v_dot2_f32_f16 v19, v50, v58, v19
	;;#ASMEND
	;;#ASMSTART
	v_dot2_f32_f16 v19, v51, v59, v19
	;;#ASMEND
	;;#ASMSTART
	v_dot2_f32_f16 v19, v52, v60, v19
	;;#ASMEND
	;;#ASMSTART
	v_dot2_f32_f16 v19, v53, v61, v19
	;;#ASMEND
	;; [unrolled: 13-line block ×4, first 2 shown]
	;;#ASMSTART
	v_dot2_f32_f16 v22, v54, v46, v22
	;;#ASMEND
	;;#ASMSTART
	v_dot2_f32_f16 v22, v55, v47, v22
	;;#ASMEND
	;; [unrolled: 3-line block ×16, first 2 shown]
	ds_read_b128 v[46:49], v139 offset:16
	ds_read_b128 v[50:53], v138 offset:16
	;; [unrolled: 1-line block ×6, first 2 shown]
	s_waitcnt lgkmcnt(4)
	;;#ASMSTART
	v_dot2_f32_f16 v18, v50, v46, v18
	;;#ASMEND
	;;#ASMSTART
	v_dot2_f32_f16 v18, v51, v47, v18
	;;#ASMEND
	;;#ASMSTART
	v_dot2_f32_f16 v18, v52, v48, v18
	;;#ASMEND
	;;#ASMSTART
	v_dot2_f32_f16 v18, v53, v49, v18
	;;#ASMEND
	s_waitcnt lgkmcnt(2)
	;;#ASMSTART
	v_dot2_f32_f16 v19, v50, v58, v19
	;;#ASMEND
	;;#ASMSTART
	v_dot2_f32_f16 v19, v51, v59, v19
	;;#ASMEND
	;;#ASMSTART
	v_dot2_f32_f16 v19, v52, v60, v19
	;;#ASMEND
	;;#ASMSTART
	v_dot2_f32_f16 v19, v53, v61, v19
	;;#ASMEND
	;; [unrolled: 13-line block ×4, first 2 shown]
	;;#ASMSTART
	v_dot2_f32_f16 v22, v54, v46, v22
	;;#ASMEND
	;;#ASMSTART
	v_dot2_f32_f16 v22, v55, v47, v22
	;;#ASMEND
	;; [unrolled: 3-line block ×16, first 2 shown]
	ds_read_b128 v[46:49], v139 offset:32
	ds_read_b128 v[50:53], v138 offset:32
	;; [unrolled: 1-line block ×6, first 2 shown]
	s_waitcnt lgkmcnt(4)
	;;#ASMSTART
	v_dot2_f32_f16 v18, v50, v46, v18
	;;#ASMEND
	;;#ASMSTART
	v_dot2_f32_f16 v18, v51, v47, v18
	;;#ASMEND
	;;#ASMSTART
	v_dot2_f32_f16 v18, v52, v48, v18
	;;#ASMEND
	;;#ASMSTART
	v_dot2_f32_f16 v18, v53, v49, v18
	;;#ASMEND
	s_waitcnt lgkmcnt(2)
	;;#ASMSTART
	v_dot2_f32_f16 v19, v50, v58, v19
	;;#ASMEND
	;;#ASMSTART
	v_dot2_f32_f16 v19, v51, v59, v19
	;;#ASMEND
	;;#ASMSTART
	v_dot2_f32_f16 v19, v52, v60, v19
	;;#ASMEND
	;;#ASMSTART
	v_dot2_f32_f16 v19, v53, v61, v19
	;;#ASMEND
	;; [unrolled: 13-line block ×4, first 2 shown]
	;;#ASMSTART
	v_dot2_f32_f16 v22, v54, v46, v22
	;;#ASMEND
	;;#ASMSTART
	v_dot2_f32_f16 v22, v55, v47, v22
	;;#ASMEND
	;; [unrolled: 3-line block ×16, first 2 shown]
	ds_read_b128 v[46:49], v139 offset:48
	ds_read_b128 v[50:53], v138 offset:48
	;; [unrolled: 1-line block ×6, first 2 shown]
	s_waitcnt lgkmcnt(4)
	;;#ASMSTART
	v_dot2_f32_f16 v18, v50, v46, v18
	;;#ASMEND
	;;#ASMSTART
	v_dot2_f32_f16 v18, v51, v47, v18
	;;#ASMEND
	;;#ASMSTART
	v_dot2_f32_f16 v18, v52, v48, v18
	;;#ASMEND
	;;#ASMSTART
	v_dot2_f32_f16 v18, v53, v49, v18
	;;#ASMEND
	s_waitcnt lgkmcnt(2)
	;;#ASMSTART
	v_dot2_f32_f16 v19, v50, v58, v19
	;;#ASMEND
	;;#ASMSTART
	v_dot2_f32_f16 v19, v51, v59, v19
	;;#ASMEND
	;;#ASMSTART
	v_dot2_f32_f16 v19, v52, v60, v19
	;;#ASMEND
	;;#ASMSTART
	v_dot2_f32_f16 v19, v53, v61, v19
	;;#ASMEND
	;; [unrolled: 13-line block ×4, first 2 shown]
	;;#ASMSTART
	v_dot2_f32_f16 v22, v54, v46, v22
	;;#ASMEND
	;;#ASMSTART
	v_dot2_f32_f16 v22, v55, v47, v22
	;;#ASMEND
	;; [unrolled: 3-line block ×16, first 2 shown]
	ds_read_b128 v[46:49], v139 offset:64
	ds_read_b128 v[50:53], v138 offset:64
	;; [unrolled: 1-line block ×6, first 2 shown]
	s_waitcnt lgkmcnt(4)
	;;#ASMSTART
	v_dot2_f32_f16 v18, v50, v46, v18
	;;#ASMEND
	;;#ASMSTART
	v_dot2_f32_f16 v18, v51, v47, v18
	;;#ASMEND
	;;#ASMSTART
	v_dot2_f32_f16 v18, v52, v48, v18
	;;#ASMEND
	;;#ASMSTART
	v_dot2_f32_f16 v18, v53, v49, v18
	;;#ASMEND
	s_waitcnt lgkmcnt(2)
	;;#ASMSTART
	v_dot2_f32_f16 v19, v50, v58, v19
	;;#ASMEND
	;;#ASMSTART
	v_dot2_f32_f16 v19, v51, v59, v19
	;;#ASMEND
	;;#ASMSTART
	v_dot2_f32_f16 v19, v52, v60, v19
	;;#ASMEND
	;;#ASMSTART
	v_dot2_f32_f16 v19, v53, v61, v19
	;;#ASMEND
	;; [unrolled: 13-line block ×4, first 2 shown]
	;;#ASMSTART
	v_dot2_f32_f16 v22, v54, v46, v22
	;;#ASMEND
	;;#ASMSTART
	v_dot2_f32_f16 v22, v55, v47, v22
	;;#ASMEND
	;; [unrolled: 3-line block ×16, first 2 shown]
	ds_read_b128 v[46:49], v139 offset:80
	ds_read_b128 v[50:53], v138 offset:80
	;; [unrolled: 1-line block ×6, first 2 shown]
	s_waitcnt lgkmcnt(4)
	;;#ASMSTART
	v_dot2_f32_f16 v18, v50, v46, v18
	;;#ASMEND
	;;#ASMSTART
	v_dot2_f32_f16 v18, v51, v47, v18
	;;#ASMEND
	;;#ASMSTART
	v_dot2_f32_f16 v18, v52, v48, v18
	;;#ASMEND
	;;#ASMSTART
	v_dot2_f32_f16 v18, v53, v49, v18
	;;#ASMEND
	s_waitcnt lgkmcnt(2)
	;;#ASMSTART
	v_dot2_f32_f16 v19, v50, v58, v19
	;;#ASMEND
	;;#ASMSTART
	v_dot2_f32_f16 v19, v51, v59, v19
	;;#ASMEND
	;;#ASMSTART
	v_dot2_f32_f16 v19, v52, v60, v19
	;;#ASMEND
	;;#ASMSTART
	v_dot2_f32_f16 v19, v53, v61, v19
	;;#ASMEND
	;; [unrolled: 13-line block ×4, first 2 shown]
	;;#ASMSTART
	v_dot2_f32_f16 v22, v54, v46, v22
	;;#ASMEND
	;;#ASMSTART
	v_dot2_f32_f16 v22, v55, v47, v22
	;;#ASMEND
	;;#ASMSTART
	v_dot2_f32_f16 v22, v56, v48, v22
	;;#ASMEND
	;;#ASMSTART
	v_dot2_f32_f16 v22, v57, v49, v22
	;;#ASMEND
	;;#ASMSTART
	v_dot2_f32_f16 v23, v54, v58, v23
	;;#ASMEND
	;;#ASMSTART
	v_dot2_f32_f16 v23, v55, v59, v23
	;;#ASMEND
	;;#ASMSTART
	v_dot2_f32_f16 v23, v56, v60, v23
	;;#ASMEND
	;;#ASMSTART
	v_dot2_f32_f16 v23, v57, v61, v23
	;;#ASMEND
	;;#ASMSTART
	v_dot2_f32_f16 v39, v54, v62, v39
	;;#ASMEND
	;;#ASMSTART
	v_dot2_f32_f16 v39, v55, v63, v39
	;;#ASMEND
	;;#ASMSTART
	v_dot2_f32_f16 v39, v56, v64, v39
	;;#ASMEND
	;;#ASMSTART
	v_dot2_f32_f16 v39, v57, v65, v39
	;;#ASMEND
	;;#ASMSTART
	v_dot2_f32_f16 v21, v54, v66, v21
	;;#ASMEND
	;;#ASMSTART
	v_dot2_f32_f16 v21, v55, v67, v21
	;;#ASMEND
	;;#ASMSTART
	v_dot2_f32_f16 v21, v56, v68, v21
	;;#ASMEND
	;;#ASMSTART
	v_dot2_f32_f16 v21, v57, v69, v21
	;;#ASMEND
	ds_read_b128 v[46:49], v139 offset:96
	ds_read_b128 v[50:53], v138 offset:96
	;; [unrolled: 1-line block ×6, first 2 shown]
	s_waitcnt lgkmcnt(4)
	;;#ASMSTART
	v_dot2_f32_f16 v18, v50, v46, v18
	;;#ASMEND
	;;#ASMSTART
	v_dot2_f32_f16 v18, v51, v47, v18
	;;#ASMEND
	;;#ASMSTART
	v_dot2_f32_f16 v18, v52, v48, v18
	;;#ASMEND
	;;#ASMSTART
	v_dot2_f32_f16 v18, v53, v49, v18
	;;#ASMEND
	s_waitcnt lgkmcnt(2)
	;;#ASMSTART
	v_dot2_f32_f16 v19, v50, v58, v19
	;;#ASMEND
	;;#ASMSTART
	v_dot2_f32_f16 v19, v51, v59, v19
	;;#ASMEND
	;;#ASMSTART
	v_dot2_f32_f16 v19, v52, v60, v19
	;;#ASMEND
	;;#ASMSTART
	v_dot2_f32_f16 v19, v53, v61, v19
	;;#ASMEND
	;; [unrolled: 13-line block ×4, first 2 shown]
	;;#ASMSTART
	v_dot2_f32_f16 v22, v54, v46, v22
	;;#ASMEND
	;;#ASMSTART
	v_dot2_f32_f16 v22, v55, v47, v22
	;;#ASMEND
	;; [unrolled: 3-line block ×16, first 2 shown]
	ds_read_b128 v[46:49], v139 offset:112
	ds_read_b128 v[50:53], v138 offset:112
	;; [unrolled: 1-line block ×6, first 2 shown]
	s_waitcnt lgkmcnt(4)
	;;#ASMSTART
	v_dot2_f32_f16 v18, v50, v46, v18
	;;#ASMEND
	;;#ASMSTART
	v_dot2_f32_f16 v18, v51, v47, v18
	;;#ASMEND
	;;#ASMSTART
	v_dot2_f32_f16 v18, v52, v48, v18
	;;#ASMEND
	;;#ASMSTART
	v_dot2_f32_f16 v18, v53, v49, v18
	;;#ASMEND
	s_waitcnt lgkmcnt(2)
	;;#ASMSTART
	v_dot2_f32_f16 v19, v50, v58, v19
	;;#ASMEND
	;;#ASMSTART
	v_dot2_f32_f16 v19, v51, v59, v19
	;;#ASMEND
	;;#ASMSTART
	v_dot2_f32_f16 v19, v52, v60, v19
	;;#ASMEND
	;;#ASMSTART
	v_dot2_f32_f16 v19, v53, v61, v19
	;;#ASMEND
	;; [unrolled: 13-line block ×4, first 2 shown]
	;;#ASMSTART
	v_dot2_f32_f16 v22, v54, v46, v22
	;;#ASMEND
	;;#ASMSTART
	v_dot2_f32_f16 v22, v55, v47, v22
	;;#ASMEND
	;;#ASMSTART
	v_dot2_f32_f16 v22, v56, v48, v22
	;;#ASMEND
	;;#ASMSTART
	v_dot2_f32_f16 v22, v57, v49, v22
	;;#ASMEND
	;;#ASMSTART
	v_dot2_f32_f16 v23, v54, v58, v23
	;;#ASMEND
	;;#ASMSTART
	v_dot2_f32_f16 v23, v55, v59, v23
	;;#ASMEND
	;;#ASMSTART
	v_dot2_f32_f16 v23, v56, v60, v23
	;;#ASMEND
	;;#ASMSTART
	v_dot2_f32_f16 v23, v57, v61, v23
	;;#ASMEND
	;;#ASMSTART
	v_dot2_f32_f16 v39, v54, v62, v39
	;;#ASMEND
	;;#ASMSTART
	v_dot2_f32_f16 v39, v55, v63, v39
	;;#ASMEND
	;;#ASMSTART
	v_dot2_f32_f16 v39, v56, v64, v39
	;;#ASMEND
	;;#ASMSTART
	v_dot2_f32_f16 v39, v57, v65, v39
	;;#ASMEND
	;;#ASMSTART
	v_dot2_f32_f16 v21, v54, v66, v21
	;;#ASMEND
	;;#ASMSTART
	v_dot2_f32_f16 v21, v55, v67, v21
	;;#ASMEND
	;;#ASMSTART
	v_dot2_f32_f16 v21, v56, v68, v21
	;;#ASMEND
	;;#ASMSTART
	v_dot2_f32_f16 v21, v57, v69, v21
	;;#ASMEND
	s_barrier
	global_load_dwordx4 v[46:49], v[8:9], off offset:128
	global_load_dwordx4 v[50:53], v[6:7], off offset:128
	s_waitcnt vmcnt(1)
	ds_write_b128 v136, v[46:49]
	s_waitcnt vmcnt(0)
	ds_write_b128 v137, v[50:53]
	s_waitcnt lgkmcnt(0)
	s_barrier
	ds_read_b128 v[6:9], v139 offset:128
	ds_read_b128 v[46:49], v138
	ds_read_b128 v[50:53], v138 offset:4608
	ds_read_b128 v[54:57], v139 offset:384
	;; [unrolled: 1-line block ×4, first 2 shown]
	s_waitcnt lgkmcnt(4)
	;;#ASMSTART
	v_dot2_f32_f16 v18, v46, v6, v18
	;;#ASMEND
	;;#ASMSTART
	v_dot2_f32_f16 v18, v47, v7, v18
	;;#ASMEND
	;;#ASMSTART
	v_dot2_f32_f16 v18, v48, v8, v18
	;;#ASMEND
	;;#ASMSTART
	v_dot2_f32_f16 v18, v49, v9, v18
	;;#ASMEND
	s_waitcnt lgkmcnt(2)
	;;#ASMSTART
	v_dot2_f32_f16 v19, v46, v54, v19
	;;#ASMEND
	;;#ASMSTART
	v_dot2_f32_f16 v19, v47, v55, v19
	;;#ASMEND
	;;#ASMSTART
	v_dot2_f32_f16 v19, v48, v56, v19
	;;#ASMEND
	;;#ASMSTART
	v_dot2_f32_f16 v19, v49, v57, v19
	;;#ASMEND
	;; [unrolled: 13-line block ×4, first 2 shown]
	;;#ASMSTART
	v_dot2_f32_f16 v22, v50, v6, v22
	;;#ASMEND
	;;#ASMSTART
	v_dot2_f32_f16 v22, v51, v7, v22
	;;#ASMEND
	;; [unrolled: 3-line block ×16, first 2 shown]
	ds_read_b128 v[6:9], v139 offset:144
	ds_read_b128 v[46:49], v138 offset:16
	;; [unrolled: 1-line block ×6, first 2 shown]
	s_waitcnt lgkmcnt(4)
	;;#ASMSTART
	v_dot2_f32_f16 v18, v46, v6, v18
	;;#ASMEND
	;;#ASMSTART
	v_dot2_f32_f16 v18, v47, v7, v18
	;;#ASMEND
	;;#ASMSTART
	v_dot2_f32_f16 v18, v48, v8, v18
	;;#ASMEND
	;;#ASMSTART
	v_dot2_f32_f16 v18, v49, v9, v18
	;;#ASMEND
	s_waitcnt lgkmcnt(2)
	;;#ASMSTART
	v_dot2_f32_f16 v19, v46, v54, v19
	;;#ASMEND
	;;#ASMSTART
	v_dot2_f32_f16 v19, v47, v55, v19
	;;#ASMEND
	;;#ASMSTART
	v_dot2_f32_f16 v19, v48, v56, v19
	;;#ASMEND
	;;#ASMSTART
	v_dot2_f32_f16 v19, v49, v57, v19
	;;#ASMEND
	;; [unrolled: 13-line block ×4, first 2 shown]
	;;#ASMSTART
	v_dot2_f32_f16 v22, v50, v6, v22
	;;#ASMEND
	;;#ASMSTART
	v_dot2_f32_f16 v22, v51, v7, v22
	;;#ASMEND
	;;#ASMSTART
	v_dot2_f32_f16 v22, v52, v8, v22
	;;#ASMEND
	;;#ASMSTART
	v_dot2_f32_f16 v22, v53, v9, v22
	;;#ASMEND
	;;#ASMSTART
	v_dot2_f32_f16 v23, v50, v54, v23
	;;#ASMEND
	;;#ASMSTART
	v_dot2_f32_f16 v23, v51, v55, v23
	;;#ASMEND
	;;#ASMSTART
	v_dot2_f32_f16 v23, v52, v56, v23
	;;#ASMEND
	;;#ASMSTART
	v_dot2_f32_f16 v23, v53, v57, v23
	;;#ASMEND
	;;#ASMSTART
	v_dot2_f32_f16 v39, v50, v58, v39
	;;#ASMEND
	;;#ASMSTART
	v_dot2_f32_f16 v39, v51, v59, v39
	;;#ASMEND
	;;#ASMSTART
	v_dot2_f32_f16 v39, v52, v60, v39
	;;#ASMEND
	;;#ASMSTART
	v_dot2_f32_f16 v39, v53, v61, v39
	;;#ASMEND
	;;#ASMSTART
	v_dot2_f32_f16 v21, v50, v62, v21
	;;#ASMEND
	;;#ASMSTART
	v_dot2_f32_f16 v21, v51, v63, v21
	;;#ASMEND
	;;#ASMSTART
	v_dot2_f32_f16 v21, v52, v64, v21
	;;#ASMEND
	;;#ASMSTART
	v_dot2_f32_f16 v21, v53, v65, v21
	;;#ASMEND
	ds_read_b128 v[6:9], v139 offset:160
	ds_read_b128 v[46:49], v138 offset:32
	;; [unrolled: 1-line block ×6, first 2 shown]
	s_waitcnt lgkmcnt(4)
	;;#ASMSTART
	v_dot2_f32_f16 v18, v46, v6, v18
	;;#ASMEND
	;;#ASMSTART
	v_dot2_f32_f16 v18, v47, v7, v18
	;;#ASMEND
	;;#ASMSTART
	v_dot2_f32_f16 v18, v48, v8, v18
	;;#ASMEND
	;;#ASMSTART
	v_dot2_f32_f16 v18, v49, v9, v18
	;;#ASMEND
	s_waitcnt lgkmcnt(2)
	;;#ASMSTART
	v_dot2_f32_f16 v19, v46, v54, v19
	;;#ASMEND
	;;#ASMSTART
	v_dot2_f32_f16 v19, v47, v55, v19
	;;#ASMEND
	;;#ASMSTART
	v_dot2_f32_f16 v19, v48, v56, v19
	;;#ASMEND
	;;#ASMSTART
	v_dot2_f32_f16 v19, v49, v57, v19
	;;#ASMEND
	;; [unrolled: 13-line block ×4, first 2 shown]
	;;#ASMSTART
	v_dot2_f32_f16 v22, v50, v6, v22
	;;#ASMEND
	;;#ASMSTART
	v_dot2_f32_f16 v22, v51, v7, v22
	;;#ASMEND
	;; [unrolled: 3-line block ×16, first 2 shown]
	ds_read_b128 v[6:9], v139 offset:176
	ds_read_b128 v[46:49], v138 offset:48
	;; [unrolled: 1-line block ×6, first 2 shown]
	s_waitcnt lgkmcnt(4)
	;;#ASMSTART
	v_dot2_f32_f16 v18, v46, v6, v18
	;;#ASMEND
	;;#ASMSTART
	v_dot2_f32_f16 v18, v47, v7, v18
	;;#ASMEND
	;;#ASMSTART
	v_dot2_f32_f16 v18, v48, v8, v18
	;;#ASMEND
	;;#ASMSTART
	v_dot2_f32_f16 v18, v49, v9, v18
	;;#ASMEND
	s_waitcnt lgkmcnt(2)
	;;#ASMSTART
	v_dot2_f32_f16 v19, v46, v54, v19
	;;#ASMEND
	;;#ASMSTART
	v_dot2_f32_f16 v19, v47, v55, v19
	;;#ASMEND
	;;#ASMSTART
	v_dot2_f32_f16 v19, v48, v56, v19
	;;#ASMEND
	;;#ASMSTART
	v_dot2_f32_f16 v19, v49, v57, v19
	;;#ASMEND
	;; [unrolled: 13-line block ×4, first 2 shown]
	;;#ASMSTART
	v_dot2_f32_f16 v22, v50, v6, v22
	;;#ASMEND
	;;#ASMSTART
	v_dot2_f32_f16 v22, v51, v7, v22
	;;#ASMEND
	;; [unrolled: 3-line block ×16, first 2 shown]
	ds_read_b128 v[6:9], v139 offset:192
	ds_read_b128 v[46:49], v138 offset:64
	;; [unrolled: 1-line block ×6, first 2 shown]
	s_waitcnt lgkmcnt(4)
	;;#ASMSTART
	v_dot2_f32_f16 v18, v46, v6, v18
	;;#ASMEND
	;;#ASMSTART
	v_dot2_f32_f16 v18, v47, v7, v18
	;;#ASMEND
	;;#ASMSTART
	v_dot2_f32_f16 v18, v48, v8, v18
	;;#ASMEND
	;;#ASMSTART
	v_dot2_f32_f16 v18, v49, v9, v18
	;;#ASMEND
	s_waitcnt lgkmcnt(2)
	;;#ASMSTART
	v_dot2_f32_f16 v19, v46, v54, v19
	;;#ASMEND
	;;#ASMSTART
	v_dot2_f32_f16 v19, v47, v55, v19
	;;#ASMEND
	;;#ASMSTART
	v_dot2_f32_f16 v19, v48, v56, v19
	;;#ASMEND
	;;#ASMSTART
	v_dot2_f32_f16 v19, v49, v57, v19
	;;#ASMEND
	;; [unrolled: 13-line block ×4, first 2 shown]
	;;#ASMSTART
	v_dot2_f32_f16 v22, v50, v6, v22
	;;#ASMEND
	;;#ASMSTART
	v_dot2_f32_f16 v22, v51, v7, v22
	;;#ASMEND
	;; [unrolled: 3-line block ×16, first 2 shown]
	ds_read_b128 v[6:9], v139 offset:208
	ds_read_b128 v[46:49], v138 offset:80
	;; [unrolled: 1-line block ×6, first 2 shown]
	s_waitcnt lgkmcnt(4)
	;;#ASMSTART
	v_dot2_f32_f16 v18, v46, v6, v18
	;;#ASMEND
	;;#ASMSTART
	v_dot2_f32_f16 v18, v47, v7, v18
	;;#ASMEND
	;;#ASMSTART
	v_dot2_f32_f16 v18, v48, v8, v18
	;;#ASMEND
	;;#ASMSTART
	v_dot2_f32_f16 v18, v49, v9, v18
	;;#ASMEND
	s_waitcnt lgkmcnt(2)
	;;#ASMSTART
	v_dot2_f32_f16 v19, v46, v54, v19
	;;#ASMEND
	;;#ASMSTART
	v_dot2_f32_f16 v19, v47, v55, v19
	;;#ASMEND
	;;#ASMSTART
	v_dot2_f32_f16 v19, v48, v56, v19
	;;#ASMEND
	;;#ASMSTART
	v_dot2_f32_f16 v19, v49, v57, v19
	;;#ASMEND
	;; [unrolled: 13-line block ×4, first 2 shown]
	;;#ASMSTART
	v_dot2_f32_f16 v22, v50, v6, v22
	;;#ASMEND
	;;#ASMSTART
	v_dot2_f32_f16 v22, v51, v7, v22
	;;#ASMEND
	;; [unrolled: 3-line block ×16, first 2 shown]
	ds_read_b128 v[6:9], v139 offset:224
	ds_read_b128 v[46:49], v138 offset:96
	;; [unrolled: 1-line block ×6, first 2 shown]
	s_waitcnt lgkmcnt(4)
	;;#ASMSTART
	v_dot2_f32_f16 v18, v46, v6, v18
	;;#ASMEND
	;;#ASMSTART
	v_dot2_f32_f16 v18, v47, v7, v18
	;;#ASMEND
	;;#ASMSTART
	v_dot2_f32_f16 v18, v48, v8, v18
	;;#ASMEND
	;;#ASMSTART
	v_dot2_f32_f16 v18, v49, v9, v18
	;;#ASMEND
	s_waitcnt lgkmcnt(2)
	;;#ASMSTART
	v_dot2_f32_f16 v19, v46, v54, v19
	;;#ASMEND
	;;#ASMSTART
	v_dot2_f32_f16 v19, v47, v55, v19
	;;#ASMEND
	;;#ASMSTART
	v_dot2_f32_f16 v19, v48, v56, v19
	;;#ASMEND
	;;#ASMSTART
	v_dot2_f32_f16 v19, v49, v57, v19
	;;#ASMEND
	;; [unrolled: 13-line block ×4, first 2 shown]
	;;#ASMSTART
	v_dot2_f32_f16 v22, v50, v6, v22
	;;#ASMEND
	;;#ASMSTART
	v_dot2_f32_f16 v22, v51, v7, v22
	;;#ASMEND
	;;#ASMSTART
	v_dot2_f32_f16 v22, v52, v8, v22
	;;#ASMEND
	;;#ASMSTART
	v_dot2_f32_f16 v22, v53, v9, v22
	;;#ASMEND
	;;#ASMSTART
	v_dot2_f32_f16 v23, v50, v54, v23
	;;#ASMEND
	;;#ASMSTART
	v_dot2_f32_f16 v23, v51, v55, v23
	;;#ASMEND
	;;#ASMSTART
	v_dot2_f32_f16 v23, v52, v56, v23
	;;#ASMEND
	;;#ASMSTART
	v_dot2_f32_f16 v23, v53, v57, v23
	;;#ASMEND
	;;#ASMSTART
	v_dot2_f32_f16 v39, v50, v58, v39
	;;#ASMEND
	;;#ASMSTART
	v_dot2_f32_f16 v39, v51, v59, v39
	;;#ASMEND
	;;#ASMSTART
	v_dot2_f32_f16 v39, v52, v60, v39
	;;#ASMEND
	;;#ASMSTART
	v_dot2_f32_f16 v39, v53, v61, v39
	;;#ASMEND
	;;#ASMSTART
	v_dot2_f32_f16 v21, v50, v62, v21
	;;#ASMEND
	;;#ASMSTART
	v_dot2_f32_f16 v21, v51, v63, v21
	;;#ASMEND
	;;#ASMSTART
	v_dot2_f32_f16 v21, v52, v64, v21
	;;#ASMEND
	;;#ASMSTART
	v_dot2_f32_f16 v21, v53, v65, v21
	;;#ASMEND
	ds_read_b128 v[6:9], v139 offset:240
	ds_read_b128 v[46:49], v138 offset:112
	;; [unrolled: 1-line block ×6, first 2 shown]
	s_waitcnt lgkmcnt(4)
	;;#ASMSTART
	v_dot2_f32_f16 v18, v46, v6, v18
	;;#ASMEND
	;;#ASMSTART
	v_dot2_f32_f16 v18, v47, v7, v18
	;;#ASMEND
	;;#ASMSTART
	v_dot2_f32_f16 v18, v48, v8, v18
	;;#ASMEND
	;;#ASMSTART
	v_dot2_f32_f16 v18, v49, v9, v18
	;;#ASMEND
	s_waitcnt lgkmcnt(2)
	;;#ASMSTART
	v_dot2_f32_f16 v19, v46, v54, v19
	;;#ASMEND
	;;#ASMSTART
	v_dot2_f32_f16 v19, v47, v55, v19
	;;#ASMEND
	;;#ASMSTART
	v_dot2_f32_f16 v19, v48, v56, v19
	;;#ASMEND
	;;#ASMSTART
	v_dot2_f32_f16 v19, v49, v57, v19
	;;#ASMEND
	;; [unrolled: 13-line block ×4, first 2 shown]
	;;#ASMSTART
	v_dot2_f32_f16 v22, v50, v6, v22
	;;#ASMEND
	;;#ASMSTART
	v_dot2_f32_f16 v22, v51, v7, v22
	;;#ASMEND
	;; [unrolled: 3-line block ×16, first 2 shown]
	flat_load_ushort v45, v[4:5]
	flat_load_ushort v46, v[4:5] offset:64
	v_mov_b32_e32 v29, s2
	v_mov_b32_e32 v31, s2
	v_add_co_u32_e64 v28, s[2:3], v10, v148
	v_add_co_u32_e64 v30, s[8:9], v11, v148
	v_addc_co_u32_e64 v10, s[0:1], v29, v125, s[0:1]
	v_addc_co_u32_e32 v11, vcc, v31, v127, vcc
	v_addc_co_u32_e64 v31, vcc, 0, v10, s[8:9]
	v_addc_co_u32_e64 v29, vcc, 0, v11, s[2:3]
	s_waitcnt lgkmcnt(0)
	s_barrier
	global_load_dwordx4 v[4:7], v[34:35], off
	global_load_dwordx4 v[8:11], v[32:33], off
	v_mov_b32_e32 v24, v2
	v_mov_b32_e32 v25, v3
	v_mov_b32_e32 v26, v0
	v_mov_b32_e32 v27, v1
	s_waitcnt vmcnt(0)
	v_cvt_f32_f16_e32 v32, v45
	v_cvt_f32_f16_e32 v33, v46
	v_add_f32_e32 v34, v38, v32
	v_pk_add_f32 v[20:21], v[20:21], v[32:33]
	v_add_f32_e32 v38, v39, v33
	v_pk_add_f32 v[18:19], v[18:19], v[32:33] op_sel_hi:[1,0]
	v_mov_b32_e32 v32, v33
	v_mov_b32_e32 v35, v20
	;; [unrolled: 1-line block ×3, first 2 shown]
	v_pk_add_f32 v[22:23], v[22:23], v[32:33] op_sel_hi:[1,0]
	v_pk_add_f32 v[32:33], v[34:35], s[6:7] op_sel_hi:[1,0]
	;; [unrolled: 1-line block ×5, first 2 shown]
	v_max3_f32 v3, v3, v33, v49
	v_max3_f32 v2, v2, v32, v48
	;; [unrolled: 1-line block ×4, first 2 shown]
	ds_bpermute_b32 v32, v44, v3
	ds_bpermute_b32 v33, v44, v2
	ds_bpermute_b32 v35, v44, v1
	ds_bpermute_b32 v39, v44, v0
	s_waitcnt lgkmcnt(3)
	v_max_f32_e32 v32, v32, v32
	s_waitcnt lgkmcnt(2)
	v_max_f32_e32 v33, v33, v33
	s_waitcnt lgkmcnt(1)
	v_max_f32_e32 v35, v35, v35
	s_waitcnt lgkmcnt(0)
	v_max_f32_e32 v39, v39, v39
	v_max_f32_e32 v3, v3, v32
	v_max_f32_e32 v2, v2, v33
	v_max_f32_e32 v1, v1, v35
	v_max_f32_e32 v0, v0, v39
	ds_bpermute_b32 v32, v43, v3
	ds_bpermute_b32 v33, v43, v2
	ds_bpermute_b32 v35, v43, v1
	ds_bpermute_b32 v39, v43, v0
	s_waitcnt lgkmcnt(3)
	v_max_f32_e32 v32, v32, v32
	s_waitcnt lgkmcnt(2)
	v_max_f32_e32 v33, v33, v33
	s_waitcnt lgkmcnt(1)
	v_max_f32_e32 v35, v35, v35
	s_waitcnt lgkmcnt(0)
	v_max_f32_e32 v39, v39, v39
	v_max_f32_e32 v3, v3, v32
	v_max_f32_e32 v2, v2, v33
	v_max_f32_e32 v1, v1, v35
	v_max_f32_e32 v0, v0, v39
	ds_bpermute_b32 v32, v42, v3
	ds_bpermute_b32 v33, v42, v2
	ds_bpermute_b32 v35, v42, v1
	ds_bpermute_b32 v39, v42, v0
	s_waitcnt lgkmcnt(3)
	v_max_f32_e32 v32, v32, v32
	s_waitcnt lgkmcnt(2)
	v_max_f32_e32 v33, v33, v33
	s_waitcnt lgkmcnt(1)
	v_max_f32_e32 v35, v35, v35
	s_waitcnt lgkmcnt(0)
	v_max_f32_e32 v39, v39, v39
	v_max_f32_e32 v3, v3, v32
	v_max_f32_e32 v2, v2, v33
	v_max_f32_e32 v1, v1, v35
	v_max_f32_e32 v0, v0, v39
	ds_bpermute_b32 v32, v41, v3
	ds_bpermute_b32 v33, v41, v2
	ds_bpermute_b32 v35, v41, v1
	ds_bpermute_b32 v39, v41, v0
	s_waitcnt lgkmcnt(3)
	v_max_f32_e32 v32, v32, v32
	s_waitcnt lgkmcnt(2)
	v_max_f32_e32 v33, v33, v33
	s_waitcnt lgkmcnt(1)
	v_max_f32_e32 v35, v35, v35
	s_waitcnt lgkmcnt(0)
	v_max_f32_e32 v39, v39, v39
	v_max_f32_e32 v3, v3, v32
	v_max_f32_e32 v2, v2, v33
	v_max_f32_e32 v1, v1, v35
	v_max_f32_e32 v0, v0, v39
	ds_bpermute_b32 v32, v40, v3
	ds_bpermute_b32 v33, v40, v2
	ds_bpermute_b32 v35, v40, v1
	ds_bpermute_b32 v39, v40, v0
	s_waitcnt lgkmcnt(3)
	v_max_f32_e32 v32, v32, v32
	s_waitcnt lgkmcnt(2)
	v_max_f32_e32 v33, v33, v33
	s_waitcnt lgkmcnt(1)
	v_max_f32_e32 v35, v35, v35
	s_waitcnt lgkmcnt(0)
	v_max_f32_e32 v39, v39, v39
	v_max_f32_e32 v3, v3, v32
	v_max_f32_e32 v2, v2, v33
	v_max_f32_e32 v1, v1, v35
	v_max_f32_e32 v0, v0, v39
	v_sub_f32_e32 v33, v34, v2
	v_sub_f32_e32 v34, v38, v2
	v_pk_add_f32 v[24:25], v[24:25], v[2:3] neg_lo:[0,1] neg_hi:[0,1]
	v_mov_b32_e32 v32, v3
	v_pk_add_f32 v[18:19], v[18:19], v[0:1] neg_lo:[0,1] neg_hi:[0,1]
	v_pk_add_f32 v[22:23], v[22:23], v[0:1] neg_lo:[0,1] neg_hi:[0,1]
	;; [unrolled: 1-line block ×3, first 2 shown]
	v_mul_f32_e32 v35, 0x3fb8aa3b, v33
	v_mul_f32_e32 v38, 0x3fb8aa3b, v34
	;; [unrolled: 1-line block ×4, first 2 shown]
	v_pk_add_f32 v[20:21], v[20:21], v[32:33] op_sel_hi:[1,0] neg_lo:[0,1] neg_hi:[0,1]
	v_mul_f32_e32 v32, 0x3fb8aa3b, v19
	v_mul_f32_e32 v41, 0x3fb8aa3b, v18
	;; [unrolled: 1-line block ×5, first 2 shown]
	v_fma_f32 v46, v33, s67, -v35
	v_rndne_f32_e32 v47, v35
	v_fma_f32 v48, v34, s67, -v38
	v_rndne_f32_e32 v49, v38
	;; [unrolled: 2-line block ×4, first 2 shown]
	v_mul_f32_e32 v54, 0x3fb8aa3b, v21
	v_mul_f32_e32 v55, 0x3fb8aa3b, v20
	;; [unrolled: 1-line block ×3, first 2 shown]
	v_cmp_ngt_f32_e32 vcc, s73, v34
	v_cmp_ngt_f32_e64 s[0:1], s73, v25
	v_cmp_ngt_f32_e64 s[50:51], s73, v24
	;; [unrolled: 1-line block ×3, first 2 shown]
	v_cmp_nlt_f32_e64 s[18:19], s74, v34
	v_cmp_nlt_f32_e64 s[20:21], s74, v25
	;; [unrolled: 1-line block ×4, first 2 shown]
	v_fma_f32 v56, v19, s67, -v32
	v_rndne_f32_e32 v57, v32
	v_fma_f32 v58, v18, s67, -v41
	v_rndne_f32_e32 v59, v41
	;; [unrolled: 2-line block ×5, first 2 shown]
	v_fmac_f32_e32 v46, 0x32a5705f, v33
	v_sub_f32_e32 v33, v35, v47
	v_cvt_i32_f32_e32 v35, v47
	v_fmac_f32_e32 v48, 0x32a5705f, v34
	v_sub_f32_e32 v34, v38, v49
	v_cvt_i32_f32_e32 v38, v49
	;; [unrolled: 3-line block ×4, first 2 shown]
	v_fma_f32 v47, v21, s67, -v54
	v_rndne_f32_e32 v49, v54
	v_fma_f32 v51, v20, s67, -v55
	v_rndne_f32_e32 v53, v55
	v_cmp_ngt_f32_e64 s[2:3], s73, v19
	v_cmp_ngt_f32_e64 s[8:9], s73, v18
	;; [unrolled: 1-line block ×5, first 2 shown]
	v_cmp_nlt_f32_e64 s[24:25], s74, v19
	v_cmp_nlt_f32_e64 s[26:27], s74, v18
	;; [unrolled: 1-line block ×5, first 2 shown]
	v_fma_f32 v66, v26, s67, -v45
	v_rndne_f32_e32 v67, v45
	v_cmp_ngt_f32_e64 s[44:45], s73, v21
	v_cmp_ngt_f32_e64 s[46:47], s73, v20
	v_cmp_nlt_f32_e64 s[42:43], s74, v20
	v_cmp_nlt_f32_e64 s[48:49], s74, v21
	v_fmac_f32_e32 v56, 0x32a5705f, v19
	v_sub_f32_e32 v19, v32, v57
	v_fmac_f32_e32 v58, 0x32a5705f, v18
	v_sub_f32_e32 v18, v41, v59
	;; [unrolled: 2-line block ×5, first 2 shown]
	v_add_f32_e32 v33, v33, v46
	v_add_f32_e32 v34, v34, v48
	v_fmac_f32_e32 v47, 0x32a5705f, v21
	v_sub_f32_e32 v21, v54, v49
	v_fmac_f32_e32 v51, 0x32a5705f, v20
	v_sub_f32_e32 v20, v55, v53
	v_cmp_ngt_f32_e64 s[16:17], s73, v26
	v_cmp_nlt_f32_e64 s[38:39], s74, v26
	v_fmac_f32_e32 v66, 0x32a5705f, v26
	v_sub_f32_e32 v26, v45, v67
	v_add_f32_e32 v25, v25, v50
	v_add_f32_e32 v24, v24, v52
	;; [unrolled: 1-line block ×7, first 2 shown]
	v_exp_f32_e32 v33, v33
	v_exp_f32_e32 v34, v34
	v_add_f32_e32 v21, v21, v47
	v_add_f32_e32 v20, v20, v51
	v_cvt_i32_f32_e32 v32, v57
	v_cvt_i32_f32_e32 v41, v59
	v_cvt_i32_f32_e32 v42, v61
	v_cvt_i32_f32_e32 v43, v63
	v_cvt_i32_f32_e32 v44, v65
	v_cvt_i32_f32_e32 v46, v49
	v_cvt_i32_f32_e32 v48, v53
	v_add_f32_e32 v26, v26, v66
	v_exp_f32_e32 v25, v25
	v_exp_f32_e32 v24, v24
	;; [unrolled: 1-line block ×9, first 2 shown]
	v_cvt_i32_f32_e32 v45, v67
	v_exp_f32_e32 v26, v26
	v_ldexp_f32 v33, v33, v35
	v_ldexp_f32 v34, v34, v38
	;; [unrolled: 1-line block ×9, first 2 shown]
	v_cndmask_b32_e64 v32, 0, v33, s[36:37]
	v_cndmask_b32_e32 v33, 0, v34, vcc
	v_ldexp_f32 v21, v21, v46
	v_ldexp_f32 v34, v20, v48
	;; [unrolled: 1-line block ×3, first 2 shown]
	v_cndmask_b32_e64 v25, 0, v25, s[0:1]
	v_cndmask_b32_e64 v24, 0, v24, s[50:51]
	;; [unrolled: 1-line block ×22, first 2 shown]
	v_cvt_f16_f32_e32 v35, v18
	v_cvt_f16_f32_e32 v38, v20
	;; [unrolled: 1-line block ×9, first 2 shown]
	v_pk_add_f32 v[24:25], v[24:25], v[26:27]
	v_cvt_f16_f32_e32 v26, v19
	v_cvt_f16_f32_e32 v27, v21
	;; [unrolled: 1-line block ×3, first 2 shown]
	v_pk_add_f32 v[18:19], v[18:19], v[20:21]
	v_pk_mul_f16 v160, v110, v12 op_sel_hi:[0,1]
	v_pk_mul_f16 v161, v34, v15 op_sel_hi:[0,1]
	;; [unrolled: 1-line block ×4, first 2 shown]
	v_pack_b32_f16 v12, v40, v39
	v_pack_b32_f16 v14, v41, v42
	;; [unrolled: 1-line block ×4, first 2 shown]
	v_pk_fma_f32 v[116:117], v[116:117], v[32:33], v[24:25]
	v_pk_fma_f32 v[114:115], v[114:115], v[22:23], v[18:19]
	ds_write2_b64 v147, v[12:13], v[14:15] offset1:32
	ds_write_b128 v142, v[4:7]
	ds_write_b128 v143, v[8:11]
	s_waitcnt lgkmcnt(0)
	s_barrier
	ds_read2_b64 v[4:7], v141 offset1:32
	ds_read_b128 v[8:11], v140
	ds_read_b128 v[12:15], v140 offset:16
	ds_read_b128 v[18:21], v140 offset:32
	;; [unrolled: 1-line block ×3, first 2 shown]
	ds_read2_b64 v[32:35], v141 offset0:64 offset1:96
	ds_read2_b64 v[38:41], v141 offset0:128 offset1:160
	;; [unrolled: 1-line block ×3, first 2 shown]
	ds_read2_b64 v[46:49], v149 offset1:32
	ds_read2_b64 v[50:53], v149 offset0:64 offset1:96
	ds_read_b128 v[54:57], v140 offset:64
	ds_read_b128 v[58:61], v140 offset:80
	ds_read2_b64 v[62:65], v149 offset0:128 offset1:160
	ds_read2_b64 v[66:69], v149 offset0:192 offset1:224
	ds_read_b128 v[70:73], v140 offset:96
	ds_read_b128 v[74:77], v140 offset:112
	ds_read2_b64 v[78:81], v150 offset1:32
	ds_read2_b64 v[82:85], v150 offset0:64 offset1:96
	ds_read_b128 v[86:89], v140 offset:128
	ds_read_b128 v[90:93], v140 offset:144
	ds_read2_b64 v[94:97], v150 offset0:128 offset1:160
	ds_read2_b64 v[98:101], v150 offset0:192 offset1:224
	ds_read_b128 v[102:105], v140 offset:160
	ds_read_b128 v[106:109], v140 offset:176
	ds_read2_b64 v[152:155], v151 offset1:32
	s_waitcnt lgkmcnt(14)
	v_pk_mul_f16 v26, v4, v8 op_sel_hi:[1,0]
	v_pk_mul_f16 v16, v111, v16 op_sel_hi:[0,1]
	v_pk_fma_f16 v26, v111, v37, v26 op_sel_hi:[0,1,1]
	v_pk_mul_f16 v27, v4, v8 op_sel:[0,1]
	v_pk_mul_f16 v37, v4, v9 op_sel_hi:[1,0]
	v_pk_fma_f16 v27, v156, v36, v27 op_sel_hi:[0,1,1]
	v_pk_fma_f16 v17, v110, v17, v37 op_sel_hi:[0,1,1]
	v_pk_fma_f16 v4, v4, v9, v161 op_sel:[0,1,0]
	v_pk_fma_f16 v16, v5, v8, v16 op_sel_hi:[1,0,1]
	v_pk_fma_f16 v8, v5, v8, v163 op_sel:[0,1,0]
	;; [unrolled: 2-line block ×3, first 2 shown]
	v_pk_fma_f16 v37, v6, v11, v4 op_sel:[0,1,0]
	v_pk_fma_f16 v16, v7, v10, v16 op_sel_hi:[1,0,1]
	v_pk_fma_f16 v110, v7, v10, v8 op_sel:[0,1,0]
	v_pk_fma_f16 v36, v7, v11, v36 op_sel_hi:[1,0,1]
	;; [unrolled: 2-line block ×24, first 2 shown]
	ds_read2_b64 v[156:159], v151 offset0:64 offset1:96
	ds_read_b128 v[4:7], v140 offset:192
	ds_read_b128 v[8:11], v140 offset:208
	ds_read2_b64 v[12:15], v151 offset0:128 offset1:160
	ds_read2_b64 v[32:35], v151 offset0:192 offset1:224
	ds_read_b128 v[16:19], v140 offset:224
	ds_read_b128 v[36:39], v140 offset:240
	s_waitcnt lgkmcnt(0)
	s_barrier
	v_pk_fma_f16 v40, v44, v25, v40 op_sel:[0,1,0]
	v_pk_fma_f16 v42, v45, v24, v110 op_sel_hi:[1,0,1]
	v_pk_fma_f16 v43, v45, v24, v27 op_sel:[0,1,0]
	v_pk_fma_f16 v110, v45, v25, v111 op_sel_hi:[1,0,1]
	;; [unrolled: 2-line block ×4, first 2 shown]
	global_load_dwordx4 v[20:23], v[30:31], off
	global_load_dwordx4 v[24:27], v[28:29], off
	v_pk_fma_f16 v28, v46, v55, v40 op_sel:[0,1,0]
	v_pk_fma_f16 v29, v47, v54, v42 op_sel_hi:[1,0,1]
	v_pk_fma_f16 v30, v47, v54, v43 op_sel:[0,1,0]
	v_pk_fma_f16 v31, v47, v55, v110 op_sel_hi:[1,0,1]
	;; [unrolled: 2-line block ×96, first 2 shown]
	s_waitcnt vmcnt(1)
	ds_write_b128 v142, v[20:23]
	s_waitcnt vmcnt(0)
	ds_write_b128 v143, v[24:27]
	s_waitcnt lgkmcnt(0)
	s_barrier
	ds_read2_b64 v[104:107], v141 offset1:32
	ds_read_b128 v[108:111], v140 offset:256
	ds_read_b128 v[28:31], v140 offset:272
	;; [unrolled: 1-line block ×4, first 2 shown]
	ds_read2_b64 v[64:67], v141 offset0:64 offset1:96
	ds_read2_b64 v[20:23], v141 offset0:128 offset1:160
	;; [unrolled: 1-line block ×3, first 2 shown]
	ds_read2_b64 v[16:19], v149 offset1:32
	ds_read2_b64 v[24:27], v149 offset0:64 offset1:96
	ds_read_b128 v[52:55], v140 offset:320
	ds_read_b128 v[32:35], v140 offset:336
	ds_read2_b64 v[36:39], v149 offset0:128 offset1:160
	ds_read2_b64 v[40:43], v149 offset0:192 offset1:224
	ds_read_b128 v[72:75], v140 offset:352
	ds_read_b128 v[44:47], v140 offset:368
	ds_read2_b64 v[48:51], v150 offset1:32
	ds_read2_b64 v[56:59], v150 offset0:64 offset1:96
	ds_read_b128 v[88:91], v140 offset:384
	ds_read_b128 v[60:63], v140 offset:400
	ds_read2_b64 v[68:71], v150 offset0:128 offset1:160
	ds_read2_b64 v[76:79], v150 offset0:192 offset1:224
	ds_read_b128 v[96:99], v140 offset:416
	ds_read_b128 v[80:83], v140 offset:432
	ds_read2_b64 v[84:87], v151 offset1:32
	ds_read2_b64 v[92:95], v151 offset0:64 offset1:96
	ds_read_b128 v[100:103], v140 offset:448
	s_waitcnt lgkmcnt(14)
	v_pk_fma_f16 v157, v104, v108, v157 op_sel_hi:[1,0,1]
	v_pk_fma_f16 v158, v104, v108, v158 op_sel:[0,1,0]
	v_pk_fma_f16 v159, v104, v109, v159 op_sel_hi:[1,0,1]
	v_pk_fma_f16 v104, v104, v109, v152 op_sel:[0,1,0]
	;; [unrolled: 2-line block ×48, first 2 shown]
	s_waitcnt lgkmcnt(12)
	v_pk_fma_f16 v7, v36, v72, v7 op_sel_hi:[1,0,1]
	v_pk_fma_f16 v13, v36, v72, v13 op_sel:[0,1,0]
	v_pk_fma_f16 v15, v36, v73, v15 op_sel_hi:[1,0,1]
	v_pk_fma_f16 v12, v36, v73, v12 op_sel:[0,1,0]
	v_pk_fma_f16 v14, v37, v72, v14 op_sel_hi:[1,0,1]
	v_pk_fma_f16 v4, v37, v72, v4 op_sel:[0,1,0]
	v_pk_fma_f16 v6, v37, v73, v6 op_sel_hi:[1,0,1]
	v_pk_fma_f16 v5, v37, v73, v5 op_sel:[0,1,0]
	v_pk_fma_f16 v7, v38, v74, v7 op_sel_hi:[1,0,1]
	v_pk_fma_f16 v13, v38, v74, v13 op_sel:[0,1,0]
	v_pk_fma_f16 v15, v38, v75, v15 op_sel_hi:[1,0,1]
	v_pk_fma_f16 v12, v38, v75, v12 op_sel:[0,1,0]
	v_pk_fma_f16 v14, v39, v74, v14 op_sel_hi:[1,0,1]
	v_pk_fma_f16 v4, v39, v74, v4 op_sel:[0,1,0]
	v_pk_fma_f16 v6, v39, v75, v6 op_sel_hi:[1,0,1]
	v_pk_fma_f16 v5, v39, v75, v5 op_sel:[0,1,0]
	s_waitcnt lgkmcnt(11)
	v_pk_fma_f16 v7, v40, v44, v7 op_sel_hi:[1,0,1]
	v_pk_fma_f16 v13, v40, v44, v13 op_sel:[0,1,0]
	v_pk_fma_f16 v15, v40, v45, v15 op_sel_hi:[1,0,1]
	v_pk_fma_f16 v12, v40, v45, v12 op_sel:[0,1,0]
	v_pk_fma_f16 v14, v41, v44, v14 op_sel_hi:[1,0,1]
	v_pk_fma_f16 v4, v41, v44, v4 op_sel:[0,1,0]
	v_pk_fma_f16 v6, v41, v45, v6 op_sel_hi:[1,0,1]
	v_pk_fma_f16 v5, v41, v45, v5 op_sel:[0,1,0]
	v_pk_fma_f16 v7, v42, v46, v7 op_sel_hi:[1,0,1]
	v_pk_fma_f16 v13, v42, v46, v13 op_sel:[0,1,0]
	v_pk_fma_f16 v15, v42, v47, v15 op_sel_hi:[1,0,1]
	v_pk_fma_f16 v12, v42, v47, v12 op_sel:[0,1,0]
	v_pk_fma_f16 v14, v43, v46, v14 op_sel_hi:[1,0,1]
	v_pk_fma_f16 v4, v43, v46, v4 op_sel:[0,1,0]
	v_pk_fma_f16 v6, v43, v47, v6 op_sel_hi:[1,0,1]
	v_pk_fma_f16 v5, v43, v47, v5 op_sel:[0,1,0]
	;; [unrolled: 17-line block ×5, first 2 shown]
	ds_read_b128 v[104:107], v140 offset:464
	ds_read2_b64 v[108:111], v151 offset0:128 offset1:160
	s_waitcnt lgkmcnt(5)
	v_pk_fma_f16 v7, v76, v80, v7 op_sel_hi:[1,0,1]
	v_pk_fma_f16 v13, v76, v80, v13 op_sel:[0,1,0]
	v_pk_fma_f16 v15, v76, v81, v15 op_sel_hi:[1,0,1]
	v_pk_fma_f16 v12, v76, v81, v12 op_sel:[0,1,0]
	;; [unrolled: 2-line block ×4, first 2 shown]
	ds_read2_b64 v[28:31], v151 offset0:192 offset1:224
	ds_read_b128 v[64:67], v140 offset:480
	v_pk_fma_f16 v7, v78, v82, v7 op_sel_hi:[1,0,1]
	v_pk_fma_f16 v13, v78, v82, v13 op_sel:[0,1,0]
	v_pk_fma_f16 v15, v78, v83, v15 op_sel_hi:[1,0,1]
	v_pk_fma_f16 v12, v78, v83, v12 op_sel:[0,1,0]
	;; [unrolled: 2-line block ×4, first 2 shown]
	ds_read_b128 v[8:11], v140 offset:496
	s_waitcnt lgkmcnt(0)
	s_barrier
	s_load_dword s0, s[54:55], 0x4
	v_pk_fma_f16 v7, v84, v100, v7 op_sel_hi:[1,0,1]
	v_pk_fma_f16 v13, v84, v100, v13 op_sel:[0,1,0]
	v_pk_fma_f16 v15, v84, v101, v15 op_sel_hi:[1,0,1]
	v_pk_fma_f16 v12, v84, v101, v12 op_sel:[0,1,0]
	;; [unrolled: 2-line block ×20, first 2 shown]
	s_waitcnt lgkmcnt(0)
	s_lshl_b32 s0, s0, 6
	v_pk_fma_f16 v7, v110, v66, v7 op_sel_hi:[1,0,1]
	v_pk_fma_f16 v13, v110, v66, v13 op_sel:[0,1,0]
	v_pk_fma_f16 v15, v110, v67, v15 op_sel_hi:[1,0,1]
	v_pk_fma_f16 v12, v110, v67, v12 op_sel:[0,1,0]
	;; [unrolled: 2-line block ×4, first 2 shown]
	s_add_i32 s60, s0, s60
	v_pk_fma_f16 v7, v28, v8, v7 op_sel_hi:[1,0,1]
	v_pk_fma_f16 v13, v28, v8, v13 op_sel:[0,1,0]
	v_pk_fma_f16 v15, v28, v9, v15 op_sel_hi:[1,0,1]
	v_pk_fma_f16 v12, v28, v9, v12 op_sel:[0,1,0]
	;; [unrolled: 2-line block ×4, first 2 shown]
	s_cmp_ge_i32 s60, s64
	v_pk_fma_f16 v37, v30, v10, v7 op_sel_hi:[1,0,1]
	v_pk_fma_f16 v36, v30, v10, v13 op_sel:[0,1,0]
	v_pk_fma_f16 v17, v30, v11, v15 op_sel_hi:[1,0,1]
	v_pk_fma_f16 v15, v30, v11, v12 op_sel:[0,1,0]
	;; [unrolled: 2-line block ×4, first 2 shown]
	s_cbranch_scc0 .LBB5_9
.LBB5_10:
	v_cmp_lt_i32_e32 vcc, v133, v130
	v_cndmask_b32_e32 v4, v119, v133, vcc
	v_cmp_lt_i32_e32 vcc, v134, v130
	v_lshlrev_b32_e32 v7, 2, v4
	v_cndmask_b32_e32 v4, v119, v134, vcc
	v_cmp_lt_i32_e32 vcc, v135, v130
	v_lshlrev_b32_e32 v11, 2, v4
	v_cndmask_b32_e32 v4, v119, v135, vcc
	v_lshlrev_b32_e32 v18, 2, v4
	ds_bpermute_b32 v4, v7, v116
	ds_bpermute_b32 v5, v7, v117
	;; [unrolled: 1-line block ×4, first 2 shown]
	v_cmp_lt_i32_e32 vcc, v132, v130
	v_cndmask_b32_e32 v19, v119, v132, vcc
	s_waitcnt lgkmcnt(2)
	v_pk_add_f32 v[4:5], v[116:117], v[4:5]
	ds_bpermute_b32 v8, v11, v4
	s_waitcnt lgkmcnt(1)
	v_pk_add_f32 v[6:7], v[114:115], v[6:7]
	ds_bpermute_b32 v9, v11, v5
	ds_bpermute_b32 v10, v11, v6
	ds_bpermute_b32 v11, v11, v7
	v_lshlrev_b32_e32 v19, 2, v19
	v_cmp_lt_i32_e32 vcc, v131, v130
	s_waitcnt lgkmcnt(2)
	v_pk_add_f32 v[4:5], v[4:5], v[8:9]
	ds_bpermute_b32 v8, v18, v4
	s_waitcnt lgkmcnt(1)
	v_pk_add_f32 v[6:7], v[6:7], v[10:11]
	ds_bpermute_b32 v9, v18, v5
	ds_bpermute_b32 v10, v18, v6
	;; [unrolled: 1-line block ×3, first 2 shown]
	v_cndmask_b32_e32 v18, v119, v131, vcc
	s_cmp_lg_u64 s[52:53], 0
	s_waitcnt lgkmcnt(2)
	v_pk_add_f32 v[4:5], v[4:5], v[8:9]
	ds_bpermute_b32 v8, v19, v4
	s_waitcnt lgkmcnt(1)
	v_pk_add_f32 v[6:7], v[6:7], v[10:11]
	ds_bpermute_b32 v9, v19, v5
	ds_bpermute_b32 v10, v19, v6
	;; [unrolled: 1-line block ×3, first 2 shown]
	v_lshlrev_b32_e32 v19, 2, v18
	s_cselect_b64 s[0:1], -1, 0
	s_waitcnt lgkmcnt(2)
	v_pk_add_f32 v[4:5], v[4:5], v[8:9]
	ds_bpermute_b32 v8, v19, v4
	s_waitcnt lgkmcnt(1)
	v_pk_add_f32 v[10:11], v[6:7], v[10:11]
	ds_bpermute_b32 v9, v19, v5
	ds_bpermute_b32 v18, v19, v10
	;; [unrolled: 1-line block ×3, first 2 shown]
	s_cmp_eq_u32 s7, 0
	s_cselect_b64 s[2:3], -1, 0
	s_and_b64 s[0:1], s[2:3], s[0:1]
	s_waitcnt lgkmcnt(2)
	v_pk_add_f32 v[6:7], v[4:5], v[8:9]
	s_waitcnt lgkmcnt(0)
	v_pk_add_f32 v[4:5], v[10:11], v[18:19]
	s_and_b64 vcc, exec, s[0:1]
	s_cbranch_vccz .LBB5_12
; %bb.11:
	v_add_u32_e32 v8, s65, v129
	v_ashrrev_i32_e32 v9, 31, v8
	v_lshlrev_b64 v[8:9], 2, v[8:9]
	v_mov_b32_e32 v10, s53
	v_add_co_u32_e32 v8, vcc, s52, v8
	v_addc_co_u32_e32 v9, vcc, v10, v9, vcc
	global_load_dwordx4 v[8:11], v[8:9], off
	v_max_f32_e32 v18, v1, v1
	v_max_f32_e32 v20, v0, v0
	;; [unrolled: 1-line block ×4, first 2 shown]
	s_mov_b32 s2, 0x3fb8aa3b
	s_mov_b32 s0, 0xc2ce8ed0
	;; [unrolled: 1-line block ×3, first 2 shown]
	v_mov_b32_e32 v22, 0x7f800000
	s_waitcnt vmcnt(0)
	v_max_f32_e32 v19, v9, v9
	v_max_f32_e32 v24, v8, v8
	;; [unrolled: 1-line block ×6, first 2 shown]
	v_pk_add_f32 v[0:1], v[0:1], v[18:19] neg_lo:[0,1] neg_hi:[0,1]
	v_max_f32_e32 v21, v21, v25
	v_max_f32_e32 v20, v23, v26
	v_mul_f32_e32 v23, 0x3fb8aa3b, v1
	v_pk_add_f32 v[2:3], v[2:3], v[20:21] neg_lo:[0,1] neg_hi:[0,1]
	v_mul_f32_e32 v24, 0x3fb8aa3b, v0
	v_fma_f32 v29, v1, s2, -v23
	v_rndne_f32_e32 v30, v23
	v_mul_f32_e32 v25, 0x3fb8aa3b, v3
	v_fma_f32 v31, v0, s2, -v24
	v_rndne_f32_e32 v32, v24
	v_fmac_f32_e32 v29, 0x32a5705f, v1
	v_sub_f32_e32 v23, v23, v30
	v_mul_f32_e32 v26, 0x3fb8aa3b, v2
	v_fma_f32 v33, v3, s2, -v25
	v_rndne_f32_e32 v34, v25
	v_fmac_f32_e32 v31, 0x32a5705f, v0
	v_sub_f32_e32 v24, v24, v32
	v_add_f32_e32 v23, v23, v29
	v_fma_f32 v35, v2, s2, -v26
	v_rndne_f32_e32 v38, v26
	v_cvt_i32_f32_e32 v30, v30
	v_fmac_f32_e32 v33, 0x32a5705f, v3
	v_sub_f32_e32 v25, v25, v34
	v_add_f32_e32 v24, v24, v31
	v_exp_f32_e32 v23, v23
	v_cvt_i32_f32_e32 v32, v32
	v_fmac_f32_e32 v35, 0x32a5705f, v2
	v_sub_f32_e32 v26, v26, v38
	v_add_f32_e32 v25, v25, v33
	v_exp_f32_e32 v24, v24
	v_cvt_i32_f32_e32 v34, v34
	v_add_f32_e32 v26, v26, v35
	v_exp_f32_e32 v25, v25
	v_cvt_i32_f32_e32 v38, v38
	v_exp_f32_e32 v26, v26
	v_ldexp_f32 v23, v23, v30
	v_cmp_ngt_f32_e32 vcc, s0, v1
	v_ldexp_f32 v24, v24, v32
	v_cndmask_b32_e32 v23, 0, v23, vcc
	v_cmp_ngt_f32_e32 vcc, s0, v0
	v_ldexp_f32 v25, v25, v34
	v_cndmask_b32_e32 v24, 0, v24, vcc
	;; [unrolled: 3-line block ×3, first 2 shown]
	v_cmp_ngt_f32_e32 vcc, s0, v2
	v_cndmask_b32_e32 v26, 0, v26, vcc
	v_cmp_nlt_f32_e32 vcc, s1, v1
	v_cndmask_b32_e32 v1, v22, v23, vcc
	v_cmp_nlt_f32_e32 vcc, s1, v0
	;; [unrolled: 2-line block ×4, first 2 shown]
	v_cndmask_b32_e32 v2, v22, v26, vcc
	v_cvt_f16_f32_e32 v23, v0
	v_cvt_f16_f32_e32 v24, v1
	v_pk_add_f32 v[10:11], v[10:11], v[20:21] neg_lo:[0,1] neg_hi:[0,1]
	v_cvt_f16_f32_e32 v25, v2
	v_mul_f32_e32 v27, 0x3fb8aa3b, v11
	v_mul_f32_e32 v28, 0x3fb8aa3b, v10
	v_fma_f32 v39, v11, s2, -v27
	v_rndne_f32_e32 v40, v27
	v_fmac_f32_e32 v39, 0x32a5705f, v11
	v_sub_f32_e32 v27, v27, v40
	v_pk_mul_f16 v37, v23, v37 op_sel_hi:[0,1]
	v_pk_mul_f16 v16, v23, v16 op_sel_hi:[0,1]
	;; [unrolled: 1-line block ×4, first 2 shown]
	v_fma_f32 v23, v10, s2, -v28
	v_rndne_f32_e32 v24, v28
	v_add_f32_e32 v27, v27, v39
	v_pk_mul_f16 v17, v25, v17 op_sel_hi:[0,1]
	v_pk_mul_f16 v12, v25, v12 op_sel_hi:[0,1]
	v_fmac_f32_e32 v23, 0x32a5705f, v10
	v_sub_f32_e32 v25, v28, v24
	v_cvt_i32_f32_e32 v40, v40
	v_exp_f32_e32 v27, v27
	v_add_f32_e32 v23, v25, v23
	v_exp_f32_e32 v23, v23
	v_cvt_i32_f32_e32 v24, v24
	v_cvt_f16_f32_e32 v26, v3
	v_pk_add_f32 v[8:9], v[8:9], v[18:19] neg_lo:[0,1] neg_hi:[0,1]
	v_ldexp_f32 v27, v27, v40
	v_cmp_ngt_f32_e32 vcc, s0, v11
	v_cndmask_b32_e32 v25, 0, v27, vcc
	v_cmp_nlt_f32_e32 vcc, s1, v11
	v_ldexp_f32 v23, v23, v24
	v_mul_f32_e32 v24, 0x3fb8aa3b, v9
	v_pk_mul_f16 v15, v26, v15 op_sel_hi:[0,1]
	v_pk_mul_f16 v13, v26, v13 op_sel_hi:[0,1]
	v_cndmask_b32_e32 v11, v22, v25, vcc
	v_fma_f32 v25, v9, s2, -v24
	v_rndne_f32_e32 v26, v24
	v_fmac_f32_e32 v25, 0x32a5705f, v9
	v_sub_f32_e32 v24, v24, v26
	v_add_f32_e32 v24, v24, v25
	v_exp_f32_e32 v24, v24
	v_cvt_i32_f32_e32 v25, v26
	v_cmp_ngt_f32_e32 vcc, s0, v10
	v_cndmask_b32_e32 v23, 0, v23, vcc
	v_cmp_nlt_f32_e32 vcc, s1, v10
	v_cndmask_b32_e32 v10, v22, v23, vcc
	v_ldexp_f32 v23, v24, v25
	v_mul_f32_e32 v24, 0x3fb8aa3b, v8
	v_fma_f32 v25, v8, s2, -v24
	v_rndne_f32_e32 v26, v24
	v_fmac_f32_e32 v25, 0x32a5705f, v8
	v_sub_f32_e32 v24, v24, v26
	v_add_f32_e32 v24, v24, v25
	v_exp_f32_e32 v24, v24
	v_cvt_i32_f32_e32 v25, v26
	v_cmp_ngt_f32_e32 vcc, s0, v9
	v_cndmask_b32_e32 v23, 0, v23, vcc
	v_cmp_nlt_f32_e32 vcc, s1, v9
	v_cndmask_b32_e32 v9, v22, v23, vcc
	v_ldexp_f32 v23, v24, v25
	v_cmp_ngt_f32_e32 vcc, s0, v8
	v_cndmask_b32_e32 v23, 0, v23, vcc
	v_cmp_nlt_f32_e32 vcc, s1, v8
	v_cndmask_b32_e32 v8, v22, v23, vcc
	v_pk_fma_f32 v[4:5], v[4:5], v[2:3], v[10:11]
	v_pk_fma_f32 v[6:7], v[6:7], v[0:1], v[8:9]
	v_pk_mov_b32 v[0:1], v[18:19], v[18:19] op_sel:[0,1]
	v_pk_mov_b32 v[2:3], v[20:21], v[20:21] op_sel:[0,1]
.LBB5_12:
	v_cmp_gt_i32_e32 vcc, s62, v113
	s_and_saveexec_b64 s[0:1], vcc
	s_cbranch_execz .LBB5_29
; %bb.13:
	s_load_dword s6, s[4:5], 0xd4
	v_mov_b32_e32 v10, 1.0
	s_waitcnt lgkmcnt(0)
	s_cmp_lg_u32 s6, 1
	s_cselect_b64 s[0:1], -1, 0
	s_cmp_eq_u32 s6, 1
	s_cselect_b64 s[4:5], -1, 0
	s_and_b64 vcc, exec, s[0:1]
	s_cbranch_vccnz .LBB5_15
; %bb.14:
	v_div_scale_f32 v8, s[2:3], v6, v6, 1.0
	v_rcp_f32_e32 v9, v8
	v_div_scale_f32 v10, vcc, 1.0, v6, 1.0
	v_fma_f32 v11, -v8, v9, 1.0
	v_fmac_f32_e32 v9, v11, v9
	v_mul_f32_e32 v11, v10, v9
	v_fma_f32 v18, -v8, v11, v10
	v_fmac_f32_e32 v11, v18, v9
	v_fma_f32 v8, -v8, v11, v10
	v_div_fmas_f32 v8, v8, v9, v11
	v_div_fixup_f32 v10, v8, v6, 1.0
.LBB5_15:
	s_mul_i32 s33, s33, s62
	v_add_u32_e32 v8, s33, v113
	v_mul_lo_u32 v8, v8, s63
	v_add3_u32 v8, s65, v129, v8
	v_mul_lo_u32 v8, s6, v8
	v_add_u32_e32 v8, s7, v8
	v_cvt_f32_f16_sdwa v21, v37 dst_sel:DWORD dst_unused:UNUSED_PAD src0_sel:WORD_1
	v_cvt_f32_f16_e32 v20, v37
	v_cvt_f32_f16_sdwa v23, v16 dst_sel:DWORD dst_unused:UNUSED_PAD src0_sel:WORD_1
	v_cvt_f32_f16_e32 v22, v16
	v_lshl_add_u32 v18, v8, 7, v128
	v_mov_b32_e32 v19, 0
	v_cmp_eq_u32_e32 vcc, 0, v112
	v_lshlrev_b64 v[18:19], 2, v[18:19]
	s_and_b64 s[2:3], vcc, s[0:1]
	v_mov_b32_e32 v9, s57
	v_add_co_u32_e32 v24, vcc, s56, v18
	v_addc_co_u32_e32 v25, vcc, v9, v19, vcc
	v_pk_mul_f32 v[18:19], v[10:11], v[20:21] op_sel_hi:[0,1]
	v_pk_mul_f32 v[20:21], v[10:11], v[22:23] op_sel_hi:[0,1]
	global_store_dwordx4 v[24:25], v[18:21], off
	s_and_saveexec_b64 s[0:1], s[2:3]
	s_cbranch_execz .LBB5_17
; %bb.16:
	v_ashrrev_i32_e32 v9, 31, v8
	v_lshlrev_b64 v[10:11], 3, v[8:9]
	v_mov_b32_e32 v9, s59
	v_add_co_u32_e32 v10, vcc, s58, v10
	v_addc_co_u32_e32 v11, vcc, v9, v11, vcc
	v_mov_b32_e32 v18, v0
	v_mov_b32_e32 v19, v6
	global_store_dwordx2 v[10:11], v[18:19], off
.LBB5_17:
	s_or_b64 exec, exec, s[0:1]
	v_cndmask_b32_e64 v0, 0, 1, s[4:5]
	v_cmp_ne_u32_e64 s[0:1], 1, v0
	s_andn2_b64 vcc, exec, s[4:5]
	v_mov_b32_e32 v0, 1.0
	s_cbranch_vccnz .LBB5_19
; %bb.18:
	v_div_scale_f32 v0, s[4:5], v7, v7, 1.0
	v_rcp_f32_e32 v6, v0
	v_div_scale_f32 v9, vcc, 1.0, v7, 1.0
	v_fma_f32 v10, -v0, v6, 1.0
	v_fmac_f32_e32 v6, v10, v6
	v_mul_f32_e32 v10, v9, v6
	v_fma_f32 v11, -v0, v10, v9
	v_fmac_f32_e32 v10, v11, v6
	v_fma_f32 v0, -v0, v10, v9
	v_div_fmas_f32 v0, v0, v6, v10
	v_div_fixup_f32 v0, v0, v7, 1.0
.LBB5_19:
	v_add_u32_e32 v8, s6, v8
	v_cvt_f32_f16_sdwa v19, v36 dst_sel:DWORD dst_unused:UNUSED_PAD src0_sel:WORD_1
	v_cvt_f32_f16_e32 v18, v36
	v_cvt_f32_f16_sdwa v21, v14 dst_sel:DWORD dst_unused:UNUSED_PAD src0_sel:WORD_1
	v_cvt_f32_f16_e32 v20, v14
	v_lshl_add_u32 v10, v8, 7, v128
	v_mov_b32_e32 v11, 0
	v_lshlrev_b64 v[10:11], 2, v[10:11]
	v_mov_b32_e32 v6, s57
	v_add_co_u32_e32 v10, vcc, s56, v10
	v_addc_co_u32_e32 v11, vcc, v6, v11, vcc
	v_pk_mul_f32 v[18:19], v[0:1], v[18:19] op_sel_hi:[0,1]
	v_pk_mul_f32 v[20:21], v[0:1], v[20:21] op_sel_hi:[0,1]
	global_store_dwordx4 v[10:11], v[18:21], off
	s_and_saveexec_b64 s[4:5], s[2:3]
	s_cbranch_execz .LBB5_21
; %bb.20:
	v_ashrrev_i32_e32 v9, 31, v8
	v_lshlrev_b64 v[10:11], 3, v[8:9]
	v_mov_b32_e32 v0, s59
	v_add_co_u32_e32 v10, vcc, s58, v10
	v_addc_co_u32_e32 v11, vcc, v0, v11, vcc
	v_mov_b32_e32 v6, v1
	global_store_dwordx2 v[10:11], v[6:7], off
.LBB5_21:
	s_or_b64 exec, exec, s[4:5]
	s_and_b64 vcc, exec, s[0:1]
	v_mov_b32_e32 v6, 1.0
	s_cbranch_vccnz .LBB5_23
; %bb.22:
	v_div_scale_f32 v0, s[4:5], v4, v4, 1.0
	v_rcp_f32_e32 v1, v0
	v_div_scale_f32 v6, vcc, 1.0, v4, 1.0
	v_fma_f32 v7, -v0, v1, 1.0
	v_fmac_f32_e32 v1, v7, v1
	v_mul_f32_e32 v7, v6, v1
	v_fma_f32 v9, -v0, v7, v6
	v_fmac_f32_e32 v7, v9, v1
	v_fma_f32 v0, -v0, v7, v6
	v_div_fmas_f32 v0, v0, v1, v7
	v_div_fixup_f32 v6, v0, v4, 1.0
.LBB5_23:
	v_add_u32_e32 v0, s6, v8
	v_cvt_f32_f16_sdwa v11, v17 dst_sel:DWORD dst_unused:UNUSED_PAD src0_sel:WORD_1
	v_cvt_f32_f16_e32 v10, v17
	v_cvt_f32_f16_sdwa v17, v12 dst_sel:DWORD dst_unused:UNUSED_PAD src0_sel:WORD_1
	v_cvt_f32_f16_e32 v16, v12
	v_lshl_add_u32 v8, v0, 7, v128
	v_mov_b32_e32 v9, 0
	v_lshlrev_b64 v[8:9], 2, v[8:9]
	v_mov_b32_e32 v1, s57
	v_add_co_u32_e32 v18, vcc, s56, v8
	v_addc_co_u32_e32 v19, vcc, v1, v9, vcc
	v_pk_mul_f32 v[8:9], v[6:7], v[10:11] op_sel_hi:[0,1]
	v_pk_mul_f32 v[10:11], v[6:7], v[16:17] op_sel_hi:[0,1]
	global_store_dwordx4 v[18:19], v[8:11], off
	s_and_saveexec_b64 s[4:5], s[2:3]
	s_cbranch_execz .LBB5_25
; %bb.24:
	v_ashrrev_i32_e32 v1, 31, v0
	v_lshlrev_b64 v[6:7], 3, v[0:1]
	v_mov_b32_e32 v1, s59
	v_add_co_u32_e32 v6, vcc, s58, v6
	v_addc_co_u32_e32 v7, vcc, v1, v7, vcc
	v_mov_b32_e32 v8, v2
	v_mov_b32_e32 v9, v4
	global_store_dwordx2 v[6:7], v[8:9], off
.LBB5_25:
	s_or_b64 exec, exec, s[4:5]
	s_and_b64 vcc, exec, s[0:1]
	v_mov_b32_e32 v2, 1.0
	s_cbranch_vccnz .LBB5_27
; %bb.26:
	v_div_scale_f32 v1, s[0:1], v5, v5, 1.0
	v_rcp_f32_e32 v2, v1
	v_div_scale_f32 v4, vcc, 1.0, v5, 1.0
	v_fma_f32 v6, -v1, v2, 1.0
	v_fmac_f32_e32 v2, v6, v2
	v_mul_f32_e32 v6, v4, v2
	v_fma_f32 v7, -v1, v6, v4
	v_fmac_f32_e32 v6, v7, v2
	v_fma_f32 v1, -v1, v6, v4
	v_div_fmas_f32 v1, v1, v2, v6
	v_div_fixup_f32 v2, v1, v5, 1.0
.LBB5_27:
	v_add_u32_e32 v0, s6, v0
	v_cvt_f32_f16_sdwa v9, v15 dst_sel:DWORD dst_unused:UNUSED_PAD src0_sel:WORD_1
	v_cvt_f32_f16_e32 v8, v15
	v_cvt_f32_f16_sdwa v11, v13 dst_sel:DWORD dst_unused:UNUSED_PAD src0_sel:WORD_1
	v_cvt_f32_f16_e32 v10, v13
	v_lshl_add_u32 v6, v0, 7, v128
	v_mov_b32_e32 v7, 0
	v_lshlrev_b64 v[6:7], 2, v[6:7]
	v_mov_b32_e32 v1, s57
	v_add_co_u32_e32 v12, vcc, s56, v6
	v_addc_co_u32_e32 v13, vcc, v1, v7, vcc
	v_pk_mul_f32 v[6:7], v[2:3], v[8:9] op_sel_hi:[0,1]
	v_pk_mul_f32 v[8:9], v[2:3], v[10:11] op_sel_hi:[0,1]
	global_store_dwordx4 v[12:13], v[6:9], off
	s_and_b64 exec, exec, s[2:3]
	s_cbranch_execz .LBB5_29
; %bb.28:
	v_ashrrev_i32_e32 v1, 31, v0
	v_lshlrev_b64 v[0:1], 3, v[0:1]
	v_mov_b32_e32 v2, s59
	v_add_co_u32_e32 v0, vcc, s58, v0
	v_addc_co_u32_e32 v1, vcc, v2, v1, vcc
	v_mov_b32_e32 v4, v3
	global_store_dwordx2 v[0:1], v[4:5], off
.LBB5_29:
	s_endpgm
	.section	.rodata,"a",@progbits
	.p2align	6, 0x0
	.amdhsa_kernel _ZL15flash_attn_tileILi128ELi128ELi4ELi8ELb0EEvPKcS1_S1_S1_S1_PKiPfP15HIP_vector_typeIfLj2EEffffjfiS5_IjLj3EEiiiiiiiiiiiliiliiiiil
		.amdhsa_group_segment_fixed_size 21504
		.amdhsa_private_segment_fixed_size 0
		.amdhsa_kernarg_size 464
		.amdhsa_user_sgpr_count 6
		.amdhsa_user_sgpr_private_segment_buffer 1
		.amdhsa_user_sgpr_dispatch_ptr 0
		.amdhsa_user_sgpr_queue_ptr 0
		.amdhsa_user_sgpr_kernarg_segment_ptr 1
		.amdhsa_user_sgpr_dispatch_id 0
		.amdhsa_user_sgpr_flat_scratch_init 0
		.amdhsa_user_sgpr_kernarg_preload_length 0
		.amdhsa_user_sgpr_kernarg_preload_offset 0
		.amdhsa_user_sgpr_private_segment_size 0
		.amdhsa_uses_dynamic_stack 0
		.amdhsa_system_sgpr_private_segment_wavefront_offset 0
		.amdhsa_system_sgpr_workgroup_id_x 1
		.amdhsa_system_sgpr_workgroup_id_y 1
		.amdhsa_system_sgpr_workgroup_id_z 1
		.amdhsa_system_sgpr_workgroup_info 0
		.amdhsa_system_vgpr_workitem_id 1
		.amdhsa_next_free_vgpr 164
		.amdhsa_next_free_sgpr 75
		.amdhsa_accum_offset 164
		.amdhsa_reserve_vcc 1
		.amdhsa_reserve_flat_scratch 0
		.amdhsa_float_round_mode_32 0
		.amdhsa_float_round_mode_16_64 0
		.amdhsa_float_denorm_mode_32 3
		.amdhsa_float_denorm_mode_16_64 3
		.amdhsa_dx10_clamp 1
		.amdhsa_ieee_mode 1
		.amdhsa_fp16_overflow 0
		.amdhsa_tg_split 0
		.amdhsa_exception_fp_ieee_invalid_op 0
		.amdhsa_exception_fp_denorm_src 0
		.amdhsa_exception_fp_ieee_div_zero 0
		.amdhsa_exception_fp_ieee_overflow 0
		.amdhsa_exception_fp_ieee_underflow 0
		.amdhsa_exception_fp_ieee_inexact 0
		.amdhsa_exception_int_div_zero 0
	.end_amdhsa_kernel
	.section	.text._ZL15flash_attn_tileILi128ELi128ELi4ELi8ELb0EEvPKcS1_S1_S1_S1_PKiPfP15HIP_vector_typeIfLj2EEffffjfiS5_IjLj3EEiiiiiiiiiiiliiliiiiil,"axG",@progbits,_ZL15flash_attn_tileILi128ELi128ELi4ELi8ELb0EEvPKcS1_S1_S1_S1_PKiPfP15HIP_vector_typeIfLj2EEffffjfiS5_IjLj3EEiiiiiiiiiiiliiliiiiil,comdat
.Lfunc_end5:
	.size	_ZL15flash_attn_tileILi128ELi128ELi4ELi8ELb0EEvPKcS1_S1_S1_S1_PKiPfP15HIP_vector_typeIfLj2EEffffjfiS5_IjLj3EEiiiiiiiiiiiliiliiiiil, .Lfunc_end5-_ZL15flash_attn_tileILi128ELi128ELi4ELi8ELb0EEvPKcS1_S1_S1_S1_PKiPfP15HIP_vector_typeIfLj2EEffffjfiS5_IjLj3EEiiiiiiiiiiiliiliiiiil
                                        ; -- End function
	.section	.AMDGPU.csdata,"",@progbits
; Kernel info:
; codeLenInByte = 16352
; NumSgprs: 79
; NumVgprs: 164
; NumAgprs: 0
; TotalNumVgprs: 164
; ScratchSize: 0
; MemoryBound: 0
; FloatMode: 240
; IeeeMode: 1
; LDSByteSize: 21504 bytes/workgroup (compile time only)
; SGPRBlocks: 9
; VGPRBlocks: 20
; NumSGPRsForWavesPerEU: 79
; NumVGPRsForWavesPerEU: 164
; AccumOffset: 164
; Occupancy: 3
; WaveLimiterHint : 1
; COMPUTE_PGM_RSRC2:SCRATCH_EN: 0
; COMPUTE_PGM_RSRC2:USER_SGPR: 6
; COMPUTE_PGM_RSRC2:TRAP_HANDLER: 0
; COMPUTE_PGM_RSRC2:TGID_X_EN: 1
; COMPUTE_PGM_RSRC2:TGID_Y_EN: 1
; COMPUTE_PGM_RSRC2:TGID_Z_EN: 1
; COMPUTE_PGM_RSRC2:TIDIG_COMP_CNT: 1
; COMPUTE_PGM_RSRC3_GFX90A:ACCUM_OFFSET: 40
; COMPUTE_PGM_RSRC3_GFX90A:TG_SPLIT: 0
	.section	.text._ZL25flash_attn_mask_to_KV_maxILi4EEvPK7__half2Piiii,"axG",@progbits,_ZL25flash_attn_mask_to_KV_maxILi4EEvPK7__half2Piiii,comdat
	.globl	_ZL25flash_attn_mask_to_KV_maxILi4EEvPK7__half2Piiii ; -- Begin function _ZL25flash_attn_mask_to_KV_maxILi4EEvPK7__half2Piiii
	.p2align	8
	.type	_ZL25flash_attn_mask_to_KV_maxILi4EEvPK7__half2Piiii,@function
_ZL25flash_attn_mask_to_KV_maxILi4EEvPK7__half2Piiii: ; @_ZL25flash_attn_mask_to_KV_maxILi4EEvPK7__half2Piiii
; %bb.0:
	s_load_dwordx4 s[8:11], s[4:5], 0x0
	v_cmp_gt_u32_e32 vcc, 32, v0
	s_and_saveexec_b64 s[0:1], vcc
	s_cbranch_execz .LBB6_2
; %bb.1:
	v_lshlrev_b32_e32 v1, 2, v0
	v_mov_b32_e32 v2, 1
	ds_write_b32 v1, v2
.LBB6_2:
	s_or_b64 exec, exec, s[0:1]
	s_load_dwordx4 s[12:15], s[4:5], 0x10
	s_load_dword s24, s[4:5], 0x20
	v_and_b32_e32 v2, 31, v0
	v_lshlrev_b32_e32 v6, 2, v2
	v_lshrrev_b32_e32 v1, 3, v0
	s_waitcnt lgkmcnt(0)
	s_mul_i32 s1, s6, s13
	s_mul_i32 s0, s7, s14
	s_lshl_b32 s1, s1, 2
	s_add_i32 s0, s0, s1
	s_ashr_i32 s1, s0, 31
	s_lshl_b64 s[0:1], s[0:1], 2
	s_add_u32 s25, s8, s0
	s_addc_u32 s26, s9, s1
	v_cmp_eq_u32_e64 s[0:1], 0, v2
	v_mbcnt_lo_u32_b32 v2, -1, 0
	v_mbcnt_hi_u32_b32 v7, -1, v2
	v_and_b32_e32 v2, 0x60, v7
	s_lshl_b32 s12, s12, 8
	s_mov_b64 s[4:5], 0
	v_mov_b32_e32 v3, 0
	s_movk_i32 s27, 0x204
	s_movk_i32 s28, 0x7fff
	;; [unrolled: 1-line block ×3, first 2 shown]
	v_add_u32_e32 v8, 32, v2
	v_xor_b32_e32 v9, 16, v7
	v_xor_b32_e32 v10, 8, v7
	;; [unrolled: 1-line block ×5, first 2 shown]
	s_barrier
	s_waitcnt lgkmcnt(0)
                                        ; implicit-def: $sgpr2_sgpr3
	s_branch .LBB6_5
.LBB6_3:                                ;   in Loop: Header=BB6_5 Depth=1
	s_or_b64 exec, exec, s[8:9]
	s_waitcnt lgkmcnt(0)
	s_barrier
	ds_read_b32 v16, v6
	s_waitcnt lgkmcnt(0)
	s_barrier
	ds_bpermute_b32 v2, v2, v16
	v_cmp_ne_u32_e32 vcc, 0, v16
	s_waitcnt lgkmcnt(0)
	v_cmp_ne_u32_e64 s[2:3], 0, v2
	s_and_b64 s[2:3], vcc, s[2:3]
	v_cndmask_b32_e64 v2, 0, 1, s[2:3]
	ds_bpermute_b32 v2, v4, v2
	s_waitcnt lgkmcnt(0)
	v_cmp_ne_u32_e32 vcc, 0, v2
	s_and_b64 s[2:3], vcc, s[2:3]
	v_cndmask_b32_e64 v2, 0, 1, s[2:3]
	ds_bpermute_b32 v2, v5, v2
	s_waitcnt lgkmcnt(0)
	v_cmp_ne_u32_e32 vcc, 0, v2
	;; [unrolled: 5-line block ×3, first 2 shown]
	s_and_b64 s[2:3], vcc, s[2:3]
	v_cndmask_b32_e64 v2, 0, 1, s[2:3]
	ds_bpermute_b32 v2, v15, v2
	s_xor_b64 s[2:3], s[2:3], -1
	s_waitcnt lgkmcnt(0)
	v_cmp_eq_u32_e32 vcc, 0, v2
	s_or_b64 s[2:3], vcc, s[2:3]
.LBB6_4:                                ;   in Loop: Header=BB6_5 Depth=1
	s_and_b64 s[8:9], exec, s[2:3]
	s_or_b64 s[4:5], s[8:9], s[4:5]
	v_mov_b32_e32 v2, s12
	s_mov_b32 s12, s30
	s_andn2_b64 exec, exec, s[4:5]
	s_cbranch_execz .LBB6_20
.LBB6_5:                                ; =>This Inner Loop Header: Depth=1
	s_add_i32 s30, s12, 0xffffff00
	s_or_b64 s[2:3], s[2:3], exec
	s_cmp_lt_i32 s30, 0
	s_cbranch_scc1 .LBB6_4
; %bb.6:                                ;   in Loop: Header=BB6_5 Depth=1
	s_lshr_b32 s2, s30, 1
	v_add_u32_e32 v2, s2, v0
	v_lshlrev_b64 v[4:5], 2, v[2:3]
	v_mov_b32_e32 v14, s26
	v_add_co_u32_e32 v4, vcc, s25, v4
	v_addc_co_u32_e32 v5, vcc, v14, v5, vcc
	global_load_dword v4, v[4:5], off
	s_mov_b64 s[8:9], 0
	s_waitcnt vmcnt(0)
	v_cmp_class_f16_e64 s[2:3], v4, s27
	v_and_b32_sdwa v4, s28, v4 dst_sel:DWORD dst_unused:UNUSED_PAD src0_sel:DWORD src1_sel:WORD_1
	v_cmp_eq_f16_e32 vcc, s29, v4
	s_and_b64 s[14:15], s[2:3], vcc
	s_and_saveexec_b64 s[2:3], s[14:15]
	s_cbranch_execz .LBB6_18
; %bb.7:                                ;   in Loop: Header=BB6_5 Depth=1
	v_add_u32_e32 v4, s13, v2
	v_ashrrev_i32_e32 v5, 31, v4
	v_lshlrev_b64 v[14:15], 2, v[4:5]
	v_mov_b32_e32 v2, s26
	v_add_co_u32_e32 v14, vcc, s25, v14
	v_addc_co_u32_e32 v15, vcc, v2, v15, vcc
	global_load_dword v2, v[14:15], off
	s_mov_b64 s[14:15], 0
	s_waitcnt vmcnt(0)
	v_cmp_class_f16_e64 s[16:17], v2, s27
	s_and_saveexec_b64 s[8:9], s[16:17]
	s_cbranch_execz .LBB6_17
; %bb.8:                                ;   in Loop: Header=BB6_5 Depth=1
	v_cmp_class_f16_sdwa s[18:19], v2, s27 src0_sel:WORD_1 src1_sel:DWORD
	s_mov_b64 s[16:17], 0
	s_and_saveexec_b64 s[14:15], s[18:19]
	s_cbranch_execz .LBB6_16
; %bb.9:                                ;   in Loop: Header=BB6_5 Depth=1
	v_add_u32_e32 v4, s13, v4
	v_ashrrev_i32_e32 v5, 31, v4
	v_lshlrev_b64 v[14:15], 2, v[4:5]
	v_mov_b32_e32 v2, s26
	v_add_co_u32_e32 v14, vcc, s25, v14
	v_addc_co_u32_e32 v15, vcc, v2, v15, vcc
	global_load_dword v2, v[14:15], off
	s_mov_b64 s[18:19], 0
	s_waitcnt vmcnt(0)
	v_cmp_class_f16_e64 s[20:21], v2, s27
	s_and_saveexec_b64 s[16:17], s[20:21]
	s_cbranch_execz .LBB6_15
; %bb.10:                               ;   in Loop: Header=BB6_5 Depth=1
	v_cmp_class_f16_sdwa s[22:23], v2, s27 src0_sel:WORD_1 src1_sel:DWORD
	s_mov_b64 s[20:21], 0
	s_and_saveexec_b64 s[18:19], s[22:23]
	s_cbranch_execz .LBB6_14
; %bb.11:                               ;   in Loop: Header=BB6_5 Depth=1
	v_add_u32_e32 v4, s13, v4
	v_ashrrev_i32_e32 v5, 31, v4
	v_lshlrev_b64 v[4:5], 2, v[4:5]
	v_mov_b32_e32 v2, s26
	v_add_co_u32_e32 v4, vcc, s25, v4
	v_addc_co_u32_e32 v5, vcc, v2, v5, vcc
	global_load_dword v2, v[4:5], off
	s_waitcnt vmcnt(0)
	v_cmp_class_f16_e64 s[34:35], v2, s27
	s_and_saveexec_b64 s[22:23], s[34:35]
; %bb.12:                               ;   in Loop: Header=BB6_5 Depth=1
	v_cmp_class_f16_sdwa s[20:21], v2, s27 src0_sel:WORD_1 src1_sel:DWORD
	s_and_b64 s[20:21], s[20:21], exec
; %bb.13:                               ;   in Loop: Header=BB6_5 Depth=1
	s_or_b64 exec, exec, s[22:23]
	s_and_b64 s[20:21], s[20:21], exec
.LBB6_14:                               ;   in Loop: Header=BB6_5 Depth=1
	s_or_b64 exec, exec, s[18:19]
	s_and_b64 s[18:19], s[20:21], exec
.LBB6_15:                               ;   in Loop: Header=BB6_5 Depth=1
	s_or_b64 exec, exec, s[16:17]
	s_and_b64 s[16:17], s[18:19], exec
.LBB6_16:                               ;   in Loop: Header=BB6_5 Depth=1
	s_or_b64 exec, exec, s[14:15]
	s_and_b64 s[14:15], s[16:17], exec
.LBB6_17:                               ;   in Loop: Header=BB6_5 Depth=1
	s_or_b64 exec, exec, s[8:9]
	s_and_b64 s[8:9], s[14:15], exec
.LBB6_18:                               ;   in Loop: Header=BB6_5 Depth=1
	s_or_b64 exec, exec, s[2:3]
	v_cmp_lt_i32_e32 vcc, v9, v8
	v_cndmask_b32_e32 v2, v7, v9, vcc
	v_cndmask_b32_e64 v4, 0, 1, s[8:9]
	v_lshlrev_b32_e32 v2, 2, v2
	ds_bpermute_b32 v4, v2, v4
	s_waitcnt lgkmcnt(0)
	v_cmp_ne_u32_e32 vcc, 0, v4
	s_and_b64 s[2:3], s[8:9], vcc
	v_cmp_lt_i32_e32 vcc, v10, v8
	v_cndmask_b32_e32 v4, v7, v10, vcc
	v_cndmask_b32_e64 v5, 0, 1, s[2:3]
	v_lshlrev_b32_e32 v4, 2, v4
	ds_bpermute_b32 v5, v4, v5
	s_waitcnt lgkmcnt(0)
	v_cmp_ne_u32_e32 vcc, 0, v5
	s_and_b64 s[2:3], vcc, s[2:3]
	v_cmp_lt_i32_e32 vcc, v11, v8
	v_cndmask_b32_e32 v5, v7, v11, vcc
	v_cndmask_b32_e64 v14, 0, 1, s[2:3]
	v_lshlrev_b32_e32 v5, 2, v5
	ds_bpermute_b32 v14, v5, v14
	s_waitcnt lgkmcnt(0)
	v_cmp_ne_u32_e32 vcc, 0, v14
	s_and_b64 s[2:3], vcc, s[2:3]
	;; [unrolled: 8-line block ×3, first 2 shown]
	v_cmp_lt_i32_e32 vcc, v13, v8
	v_cndmask_b32_e32 v15, v7, v13, vcc
	v_cndmask_b32_e64 v16, 0, 1, s[2:3]
	v_lshlrev_b32_e32 v15, 2, v15
	ds_bpermute_b32 v16, v15, v16
	s_and_saveexec_b64 s[8:9], s[0:1]
	s_cbranch_execz .LBB6_3
; %bb.19:                               ;   in Loop: Header=BB6_5 Depth=1
	s_waitcnt lgkmcnt(0)
	v_cmp_ne_u32_e32 vcc, 0, v16
	s_and_b64 s[2:3], vcc, s[2:3]
	v_cndmask_b32_e64 v16, 0, 1, s[2:3]
	ds_write_b32 v1, v16
	s_branch .LBB6_3
.LBB6_20:
	s_or_b64 exec, exec, s[4:5]
	v_cmp_eq_u32_e32 vcc, 0, v0
	s_and_saveexec_b64 s[0:1], vcc
	s_cbranch_execz .LBB6_22
; %bb.21:
	s_mul_i32 s0, s24, s7
	s_add_i32 s0, s0, s6
	s_ashr_i32 s1, s0, 31
	s_lshl_b64 s[0:1], s[0:1], 2
	s_add_u32 s0, s10, s0
	s_addc_u32 s1, s11, s1
	v_mov_b32_e32 v0, 0
	global_store_dword v0, v2, s[0:1]
.LBB6_22:
	s_endpgm
	.section	.rodata,"a",@progbits
	.p2align	6, 0x0
	.amdhsa_kernel _ZL25flash_attn_mask_to_KV_maxILi4EEvPK7__half2Piiii
		.amdhsa_group_segment_fixed_size 128
		.amdhsa_private_segment_fixed_size 0
		.amdhsa_kernarg_size 288
		.amdhsa_user_sgpr_count 6
		.amdhsa_user_sgpr_private_segment_buffer 1
		.amdhsa_user_sgpr_dispatch_ptr 0
		.amdhsa_user_sgpr_queue_ptr 0
		.amdhsa_user_sgpr_kernarg_segment_ptr 1
		.amdhsa_user_sgpr_dispatch_id 0
		.amdhsa_user_sgpr_flat_scratch_init 0
		.amdhsa_user_sgpr_kernarg_preload_length 0
		.amdhsa_user_sgpr_kernarg_preload_offset 0
		.amdhsa_user_sgpr_private_segment_size 0
		.amdhsa_uses_dynamic_stack 0
		.amdhsa_system_sgpr_private_segment_wavefront_offset 0
		.amdhsa_system_sgpr_workgroup_id_x 1
		.amdhsa_system_sgpr_workgroup_id_y 1
		.amdhsa_system_sgpr_workgroup_id_z 0
		.amdhsa_system_sgpr_workgroup_info 0
		.amdhsa_system_vgpr_workitem_id 0
		.amdhsa_next_free_vgpr 17
		.amdhsa_next_free_sgpr 36
		.amdhsa_accum_offset 20
		.amdhsa_reserve_vcc 1
		.amdhsa_reserve_flat_scratch 0
		.amdhsa_float_round_mode_32 0
		.amdhsa_float_round_mode_16_64 0
		.amdhsa_float_denorm_mode_32 3
		.amdhsa_float_denorm_mode_16_64 3
		.amdhsa_dx10_clamp 1
		.amdhsa_ieee_mode 1
		.amdhsa_fp16_overflow 0
		.amdhsa_tg_split 0
		.amdhsa_exception_fp_ieee_invalid_op 0
		.amdhsa_exception_fp_denorm_src 0
		.amdhsa_exception_fp_ieee_div_zero 0
		.amdhsa_exception_fp_ieee_overflow 0
		.amdhsa_exception_fp_ieee_underflow 0
		.amdhsa_exception_fp_ieee_inexact 0
		.amdhsa_exception_int_div_zero 0
	.end_amdhsa_kernel
	.section	.text._ZL25flash_attn_mask_to_KV_maxILi4EEvPK7__half2Piiii,"axG",@progbits,_ZL25flash_attn_mask_to_KV_maxILi4EEvPK7__half2Piiii,comdat
.Lfunc_end6:
	.size	_ZL25flash_attn_mask_to_KV_maxILi4EEvPK7__half2Piiii, .Lfunc_end6-_ZL25flash_attn_mask_to_KV_maxILi4EEvPK7__half2Piiii
                                        ; -- End function
	.section	.AMDGPU.csdata,"",@progbits
; Kernel info:
; codeLenInByte = 1040
; NumSgprs: 40
; NumVgprs: 17
; NumAgprs: 0
; TotalNumVgprs: 17
; ScratchSize: 0
; MemoryBound: 0
; FloatMode: 240
; IeeeMode: 1
; LDSByteSize: 128 bytes/workgroup (compile time only)
; SGPRBlocks: 4
; VGPRBlocks: 2
; NumSGPRsForWavesPerEU: 40
; NumVGPRsForWavesPerEU: 17
; AccumOffset: 20
; Occupancy: 8
; WaveLimiterHint : 0
; COMPUTE_PGM_RSRC2:SCRATCH_EN: 0
; COMPUTE_PGM_RSRC2:USER_SGPR: 6
; COMPUTE_PGM_RSRC2:TRAP_HANDLER: 0
; COMPUTE_PGM_RSRC2:TGID_X_EN: 1
; COMPUTE_PGM_RSRC2:TGID_Y_EN: 1
; COMPUTE_PGM_RSRC2:TGID_Z_EN: 0
; COMPUTE_PGM_RSRC2:TIDIG_COMP_CNT: 0
; COMPUTE_PGM_RSRC3_GFX90A:ACCUM_OFFSET: 4
; COMPUTE_PGM_RSRC3_GFX90A:TG_SPLIT: 0
	.section	.text._ZL33flash_attn_stream_k_fixup_uniformILi128ELi4ELi8EEvPfPK15HIP_vector_typeIfLj2EEiiiiiiS1_IjLj3EES5_S5_,"axG",@progbits,_ZL33flash_attn_stream_k_fixup_uniformILi128ELi4ELi8EEvPfPK15HIP_vector_typeIfLj2EEiiiiiiS1_IjLj3EES5_S5_,comdat
	.globl	_ZL33flash_attn_stream_k_fixup_uniformILi128ELi4ELi8EEvPfPK15HIP_vector_typeIfLj2EEiiiiiiS1_IjLj3EES5_S5_ ; -- Begin function _ZL33flash_attn_stream_k_fixup_uniformILi128ELi4ELi8EEvPfPK15HIP_vector_typeIfLj2EEiiiiiiS1_IjLj3EES5_S5_
	.p2align	8
	.type	_ZL33flash_attn_stream_k_fixup_uniformILi128ELi4ELi8EEvPfPK15HIP_vector_typeIfLj2EEiiiiiiS1_IjLj3EES5_S5_,@function
_ZL33flash_attn_stream_k_fixup_uniformILi128ELi4ELi8EEvPfPK15HIP_vector_typeIfLj2EEiiiiiiS1_IjLj3EES5_S5_: ; @_ZL33flash_attn_stream_k_fixup_uniformILi128ELi4ELi8EEvPfPK15HIP_vector_typeIfLj2EEiiiiiiS1_IjLj3EES5_S5_
; %bb.0:
	s_load_dwordx8 s[12:19], s[4:5], 0x1c
	s_load_dwordx2 s[10:11], s[4:5], 0x10
	s_load_dwordx4 s[0:3], s[4:5], 0x3c
	s_waitcnt lgkmcnt(0)
	s_mul_hi_u32 s9, s15, s6
	s_add_i32 s9, s6, s9
	s_lshr_b32 s9, s9, s16
	s_mul_i32 s15, s9, s17
	s_sub_i32 s15, s6, s15
	s_mul_hi_u32 s16, s15, s18
	s_add_i32 s16, s15, s16
	s_lshr_b32 s16, s16, s19
	s_mul_i32 s0, s16, s0
	s_sub_i32 s0, s15, s0
	s_mul_hi_u32 s1, s0, s1
	s_add_i32 s1, s0, s1
	s_lshr_b32 s1, s1, s2
	s_mul_i32 s2, s1, s3
	s_sub_i32 s17, s0, s2
	s_lshl_b32 s0, s17, 2
	s_lshl_b32 s15, s1, 3
	s_add_i32 s0, s0, s7
	s_cmp_lt_i32 s0, s10
	s_cselect_b64 s[0:1], -1, 0
	s_add_i32 s2, s15, s8
	s_cmp_lt_i32 s2, s13
	s_cselect_b64 s[2:3], -1, 0
	s_and_b64 s[0:1], s[0:1], s[2:3]
	s_andn2_b64 vcc, exec, s[0:1]
	s_cbranch_vccnz .LBB7_6
; %bb.1:
	s_load_dwordx4 s[0:3], s[4:5], 0x0
	s_mul_i32 s4, s9, s10
	s_add_i32 s4, s4, s7
	s_mul_i32 s4, s4, s11
	s_mul_i32 s16, s16, s13
	s_add_i32 s4, s4, s8
	s_add_i32 s4, s4, s16
	s_mul_i32 s5, s11, s17
	s_add_i32 s4, s4, s15
	s_lshl_b32 s5, s5, 9
	s_lshl_b32 s4, s4, 7
	s_add_i32 s5, s5, s4
	v_or_b32_e32 v2, s5, v0
	v_ashrrev_i32_e32 v3, 31, v2
	v_lshlrev_b64 v[2:3], 2, v[2:3]
	s_waitcnt lgkmcnt(0)
	v_mov_b32_e32 v1, s1
	v_add_co_u32_e32 v2, vcc, s0, v2
	v_addc_co_u32_e32 v3, vcc, v1, v3, vcc
	global_load_dword v8, v[2:3], off
	s_mul_i32 s9, s6, s14
	s_lshl_b32 s4, s7, 3
	s_add_i32 s11, s9, s14
	s_add_i32 s0, s4, s8
	s_lshl_b32 s1, s11, 5
	s_add_i32 s0, s0, s1
	s_sub_i32 s0, s0, 32
	s_ashr_i32 s1, s0, 31
	s_lshl_b64 s[0:1], s[0:1], 3
	s_add_u32 s0, s2, s0
	s_addc_u32 s1, s3, s1
	s_load_dword s5, s[0:1], 0x4
	s_add_i32 s10, s11, -2
	s_cmp_lt_i32 s10, s9
	s_cbranch_scc1 .LBB7_4
; %bb.2:
	s_lshl_b32 s16, s12, 7
	s_ashr_i32 s17, s16, 31
	s_lshl_b64 s[16:17], s[16:17], 2
	s_add_u32 s10, s2, s16
	s_addc_u32 s13, s3, s17
	s_add_i32 s6, s6, 1
	s_load_dword s0, s[0:1], 0x0
	s_mul_i32 s1, s14, s6
	s_lshl_b32 s7, s7, 10
	s_lshl_b32 s14, s8, 7
	;; [unrolled: 1-line block ×3, first 2 shown]
	s_add_i32 s7, s14, s7
	s_lshl_b32 s1, s1, 5
	s_add_i32 s7, s7, s6
	s_add_i32 s1, s8, s1
	s_lshl_b32 s6, s12, 5
	s_add_i32 s1, s1, s6
	v_or_b32_e32 v0, s7, v0
	s_add_i32 s1, s1, s4
	s_add_i32 s11, s11, -1
	v_add_u32_e32 v0, 0xffffe000, v0
	s_sub_i32 s4, s1, 64
	s_waitcnt lgkmcnt(0)
	v_mov_b32_e32 v7, s5
	v_mov_b32_e32 v6, s0
	;; [unrolled: 1-line block ×3, first 2 shown]
	s_mov_b32 s6, 0x3fb8aa3b
	s_mov_b32 s7, 0xc2ce8ed0
	;; [unrolled: 1-line block ×3, first 2 shown]
	v_mov_b32_e32 v5, 0x7f800000
	s_mov_b32 s12, 0xc1a00000
.LBB7_3:                                ; =>This Inner Loop Header: Depth=1
	v_ashrrev_i32_e32 v1, 31, v0
	v_lshlrev_b64 v[10:11], 2, v[0:1]
	v_add_co_u32_e32 v10, vcc, s10, v10
	v_addc_co_u32_e32 v11, vcc, v4, v11, vcc
	global_load_dword v1, v[10:11], off
	s_ashr_i32 s5, s4, 31
	s_lshl_b64 s[0:1], s[4:5], 3
	s_add_u32 s0, s2, s0
	s_addc_u32 s1, s3, s1
	s_load_dwordx2 s[14:15], s[0:1], 0x0
	s_waitcnt vmcnt(1)
	v_mov_b32_e32 v9, v8
	v_max_f32_e32 v8, v6, v6
	v_mov_b32_e32 v10, v7
	s_add_i32 s11, s11, -1
	s_waitcnt lgkmcnt(0)
	v_max_f32_e64 v7, s14, s14
	v_max_f32_e32 v7, v8, v7
	v_sub_f32_e32 v11, s14, v7
	v_sub_f32_e32 v8, v6, v7
	v_mul_f32_e32 v12, 0x3fb8aa3b, v11
	v_mov_b32_e32 v6, v7
	v_mul_f32_e32 v7, 0x3fb8aa3b, v8
	v_fma_f32 v15, v11, s6, -v12
	v_rndne_f32_e32 v16, v12
	v_fma_f32 v13, v8, s6, -v7
	v_rndne_f32_e32 v14, v7
	v_fmac_f32_e32 v15, 0x32a5705f, v11
	v_sub_f32_e32 v12, v12, v16
	v_fmac_f32_e32 v13, 0x32a5705f, v8
	v_sub_f32_e32 v7, v7, v14
	v_add_f32_e32 v12, v12, v15
	v_cvt_i32_f32_e32 v16, v16
	v_add_f32_e32 v7, v7, v13
	v_exp_f32_e32 v12, v12
	v_cvt_i32_f32_e32 v14, v14
	v_exp_f32_e32 v7, v7
	v_cmp_ngt_f32_e32 vcc, s7, v11
	v_ldexp_f32 v12, v12, v16
	v_cmp_ngt_f32_e64 s[0:1], s7, v8
	v_ldexp_f32 v7, v7, v14
	v_cndmask_b32_e32 v12, 0, v12, vcc
	v_cmp_nlt_f32_e32 vcc, s8, v11
	v_cndmask_b32_e64 v7, 0, v7, s[0:1]
	v_cmp_nlt_f32_e64 s[0:1], s8, v8
	v_cndmask_b32_e32 v12, v5, v12, vcc
	v_cmp_le_f32_e32 vcc, s12, v11
	v_cndmask_b32_e64 v7, v5, v7, s[0:1]
	v_cmp_le_f32_e64 s[0:1], s12, v8
	v_cndmask_b32_e32 v8, 0, v12, vcc
	s_sub_i32 s4, s4, 32
	v_cndmask_b32_e64 v11, 0, v7, s[0:1]
	v_mul_f32_e32 v7, s15, v8
	v_add_u32_e32 v0, 0xfffff000, v0
	s_cmp_le_i32 s11, s9
	v_fmac_f32_e32 v7, v10, v11
	s_waitcnt vmcnt(0)
	v_mul_f32_e32 v8, v1, v8
	v_fmac_f32_e32 v8, v9, v11
	s_cbranch_scc0 .LBB7_3
	s_branch .LBB7_5
.LBB7_4:
	s_waitcnt lgkmcnt(0)
	v_mov_b32_e32 v7, s5
.LBB7_5:
	s_waitcnt vmcnt(0)
	v_div_scale_f32 v0, s[0:1], v7, v7, v8
	v_rcp_f32_e32 v1, v0
	v_div_scale_f32 v4, vcc, v8, v7, v8
	v_fma_f32 v5, -v0, v1, 1.0
	v_fmac_f32_e32 v1, v5, v1
	v_mul_f32_e32 v5, v4, v1
	v_fma_f32 v6, -v0, v5, v4
	v_fmac_f32_e32 v5, v6, v1
	v_fma_f32 v0, -v0, v5, v4
	v_div_fmas_f32 v0, v0, v1, v5
	v_div_fixup_f32 v0, v0, v7, v8
	global_store_dword v[2:3], v0, off
.LBB7_6:
	s_endpgm
	.section	.rodata,"a",@progbits
	.p2align	6, 0x0
	.amdhsa_kernel _ZL33flash_attn_stream_k_fixup_uniformILi128ELi4ELi8EEvPfPK15HIP_vector_typeIfLj2EEiiiiiiS1_IjLj3EES5_S5_
		.amdhsa_group_segment_fixed_size 0
		.amdhsa_private_segment_fixed_size 0
		.amdhsa_kernarg_size 76
		.amdhsa_user_sgpr_count 6
		.amdhsa_user_sgpr_private_segment_buffer 1
		.amdhsa_user_sgpr_dispatch_ptr 0
		.amdhsa_user_sgpr_queue_ptr 0
		.amdhsa_user_sgpr_kernarg_segment_ptr 1
		.amdhsa_user_sgpr_dispatch_id 0
		.amdhsa_user_sgpr_flat_scratch_init 0
		.amdhsa_user_sgpr_kernarg_preload_length 0
		.amdhsa_user_sgpr_kernarg_preload_offset 0
		.amdhsa_user_sgpr_private_segment_size 0
		.amdhsa_uses_dynamic_stack 0
		.amdhsa_system_sgpr_private_segment_wavefront_offset 0
		.amdhsa_system_sgpr_workgroup_id_x 1
		.amdhsa_system_sgpr_workgroup_id_y 1
		.amdhsa_system_sgpr_workgroup_id_z 1
		.amdhsa_system_sgpr_workgroup_info 0
		.amdhsa_system_vgpr_workitem_id 0
		.amdhsa_next_free_vgpr 17
		.amdhsa_next_free_sgpr 20
		.amdhsa_accum_offset 20
		.amdhsa_reserve_vcc 1
		.amdhsa_reserve_flat_scratch 0
		.amdhsa_float_round_mode_32 0
		.amdhsa_float_round_mode_16_64 0
		.amdhsa_float_denorm_mode_32 3
		.amdhsa_float_denorm_mode_16_64 3
		.amdhsa_dx10_clamp 1
		.amdhsa_ieee_mode 1
		.amdhsa_fp16_overflow 0
		.amdhsa_tg_split 0
		.amdhsa_exception_fp_ieee_invalid_op 0
		.amdhsa_exception_fp_denorm_src 0
		.amdhsa_exception_fp_ieee_div_zero 0
		.amdhsa_exception_fp_ieee_overflow 0
		.amdhsa_exception_fp_ieee_underflow 0
		.amdhsa_exception_fp_ieee_inexact 0
		.amdhsa_exception_int_div_zero 0
	.end_amdhsa_kernel
	.section	.text._ZL33flash_attn_stream_k_fixup_uniformILi128ELi4ELi8EEvPfPK15HIP_vector_typeIfLj2EEiiiiiiS1_IjLj3EES5_S5_,"axG",@progbits,_ZL33flash_attn_stream_k_fixup_uniformILi128ELi4ELi8EEvPfPK15HIP_vector_typeIfLj2EEiiiiiiS1_IjLj3EES5_S5_,comdat
.Lfunc_end7:
	.size	_ZL33flash_attn_stream_k_fixup_uniformILi128ELi4ELi8EEvPfPK15HIP_vector_typeIfLj2EEiiiiiiS1_IjLj3EES5_S5_, .Lfunc_end7-_ZL33flash_attn_stream_k_fixup_uniformILi128ELi4ELi8EEvPfPK15HIP_vector_typeIfLj2EEiiiiiiS1_IjLj3EES5_S5_
                                        ; -- End function
	.section	.AMDGPU.csdata,"",@progbits
; Kernel info:
; codeLenInByte = 856
; NumSgprs: 24
; NumVgprs: 17
; NumAgprs: 0
; TotalNumVgprs: 17
; ScratchSize: 0
; MemoryBound: 0
; FloatMode: 240
; IeeeMode: 1
; LDSByteSize: 0 bytes/workgroup (compile time only)
; SGPRBlocks: 2
; VGPRBlocks: 2
; NumSGPRsForWavesPerEU: 24
; NumVGPRsForWavesPerEU: 17
; AccumOffset: 20
; Occupancy: 8
; WaveLimiterHint : 0
; COMPUTE_PGM_RSRC2:SCRATCH_EN: 0
; COMPUTE_PGM_RSRC2:USER_SGPR: 6
; COMPUTE_PGM_RSRC2:TRAP_HANDLER: 0
; COMPUTE_PGM_RSRC2:TGID_X_EN: 1
; COMPUTE_PGM_RSRC2:TGID_Y_EN: 1
; COMPUTE_PGM_RSRC2:TGID_Z_EN: 1
; COMPUTE_PGM_RSRC2:TIDIG_COMP_CNT: 0
; COMPUTE_PGM_RSRC3_GFX90A:ACCUM_OFFSET: 4
; COMPUTE_PGM_RSRC3_GFX90A:TG_SPLIT: 0
	.section	.text._ZL33flash_attn_stream_k_fixup_generalILi128ELi4ELi8EEvPfPK15HIP_vector_typeIfLj2EEiiiiS1_IjLj3EES5_S5_S5_,"axG",@progbits,_ZL33flash_attn_stream_k_fixup_generalILi128ELi4ELi8EEvPfPK15HIP_vector_typeIfLj2EEiiiiS1_IjLj3EES5_S5_S5_,comdat
	.globl	_ZL33flash_attn_stream_k_fixup_generalILi128ELi4ELi8EEvPfPK15HIP_vector_typeIfLj2EEiiiiS1_IjLj3EES5_S5_S5_ ; -- Begin function _ZL33flash_attn_stream_k_fixup_generalILi128ELi4ELi8EEvPfPK15HIP_vector_typeIfLj2EEiiiiS1_IjLj3EES5_S5_S5_
	.p2align	8
	.type	_ZL33flash_attn_stream_k_fixup_generalILi128ELi4ELi8EEvPfPK15HIP_vector_typeIfLj2EEiiiiS1_IjLj3EES5_S5_S5_,@function
_ZL33flash_attn_stream_k_fixup_generalILi128ELi4ELi8EEvPfPK15HIP_vector_typeIfLj2EEiiiiS1_IjLj3EES5_S5_S5_: ; @_ZL33flash_attn_stream_k_fixup_generalILi128ELi4ELi8EEvPfPK15HIP_vector_typeIfLj2EEiiiiS1_IjLj3EES5_S5_S5_
; %bb.0:
	s_load_dwordx4 s[12:15], s[4:5], 0x10
	s_load_dword s9, s[4:5], 0x50
	s_mov_b32 s2, 0
	s_waitcnt lgkmcnt(0)
	s_mul_hi_i32 s3, s15, s6
	s_cmp_lg_u64 s[2:3], 0
	s_mul_i32 s2, s15, s6
	s_cbranch_scc0 .LBB8_21
; %bb.1:
	v_cvt_f32_u32_e32 v1, s9
	v_cvt_f32_ubyte0_e32 v2, 0
	s_sub_u32 s10, 0, s9
	s_subb_u32 s11, 0, 0
	v_madmk_f32 v1, v2, 0x4f800000, v1
	v_rcp_f32_e32 v1, v1
	v_mul_f32_e32 v1, 0x5f7ffffc, v1
	v_mul_f32_e32 v2, 0x2f800000, v1
	v_trunc_f32_e32 v2, v2
	v_madmk_f32 v1, v2, 0xcf800000, v1
	v_cvt_u32_f32_e32 v2, v2
	v_cvt_u32_f32_e32 v1, v1
	v_readfirstlane_b32 s16, v2
	v_readfirstlane_b32 s17, v1
	s_mul_i32 s18, s10, s16
	s_mul_hi_u32 s20, s10, s17
	s_mul_i32 s19, s11, s17
	s_add_i32 s18, s20, s18
	s_add_i32 s18, s18, s19
	s_mul_i32 s21, s10, s17
	s_mul_hi_u32 s19, s17, s18
	s_mul_i32 s20, s17, s18
	s_mul_hi_u32 s17, s17, s21
	s_add_u32 s17, s17, s20
	s_addc_u32 s19, 0, s19
	s_mul_hi_u32 s22, s16, s21
	s_mul_i32 s21, s16, s21
	s_add_u32 s17, s17, s21
	s_mul_hi_u32 s20, s16, s18
	s_addc_u32 s17, s19, s22
	s_addc_u32 s19, s20, 0
	s_mul_i32 s18, s16, s18
	s_add_u32 s17, s17, s18
	s_addc_u32 s18, 0, s19
	v_add_co_u32_e32 v1, vcc, s17, v1
	s_cmp_lg_u64 vcc, 0
	s_addc_u32 s16, s16, s18
	v_readfirstlane_b32 s18, v1
	s_mul_i32 s17, s10, s16
	s_mul_hi_u32 s19, s10, s18
	s_add_i32 s17, s19, s17
	s_mul_i32 s11, s11, s18
	s_add_i32 s17, s17, s11
	s_mul_i32 s10, s10, s18
	s_mul_hi_u32 s19, s16, s10
	s_mul_i32 s20, s16, s10
	s_mul_i32 s22, s18, s17
	s_mul_hi_u32 s10, s18, s10
	s_mul_hi_u32 s21, s18, s17
	s_add_u32 s10, s10, s22
	s_addc_u32 s18, 0, s21
	s_add_u32 s10, s10, s20
	s_mul_hi_u32 s11, s16, s17
	s_addc_u32 s10, s18, s19
	s_addc_u32 s11, s11, 0
	s_mul_i32 s17, s16, s17
	s_add_u32 s10, s10, s17
	s_addc_u32 s11, 0, s11
	v_add_co_u32_e32 v1, vcc, s10, v1
	s_cmp_lg_u64 vcc, 0
	s_addc_u32 s18, s16, s11
	s_ashr_i32 s10, s3, 31
	s_add_u32 s16, s2, s10
	s_mov_b32 s11, s10
	s_addc_u32 s17, s3, s10
	s_xor_b64 s[16:17], s[16:17], s[10:11]
	v_readfirstlane_b32 s20, v1
	s_mul_i32 s19, s16, s18
	s_mul_hi_u32 s21, s16, s20
	s_mul_hi_u32 s3, s16, s18
	s_add_u32 s19, s21, s19
	s_addc_u32 s3, 0, s3
	s_mul_hi_u32 s22, s17, s20
	s_mul_i32 s20, s17, s20
	s_add_u32 s19, s19, s20
	s_mul_hi_u32 s21, s17, s18
	s_addc_u32 s3, s3, s22
	s_addc_u32 s19, s21, 0
	s_mul_i32 s18, s17, s18
	s_add_u32 s3, s3, s18
	s_addc_u32 s18, 0, s19
	s_add_u32 s19, s3, 1
	s_addc_u32 s20, s18, 0
	s_add_u32 s21, s3, 2
	s_mul_i32 s23, s9, s18
	s_mul_hi_u32 s24, s9, s3
	s_addc_u32 s22, s18, 0
	s_add_i32 s24, s24, s23
	s_mul_i32 s23, s9, s3
	v_mov_b32_e32 v1, s23
	v_sub_co_u32_e32 v1, vcc, s16, v1
	s_cmp_lg_u64 vcc, 0
	s_subb_u32 s16, s17, s24
	v_subrev_co_u32_e32 v2, vcc, s9, v1
	s_cmp_lg_u64 vcc, 0
	s_subb_u32 s17, s16, 0
	v_readfirstlane_b32 s23, v2
	s_cmp_ge_u32 s23, s9
	s_cselect_b32 s23, -1, 0
	s_cmp_eq_u32 s17, 0
	s_cselect_b32 s17, s23, -1
	s_cmp_lg_u32 s17, 0
	s_cselect_b32 s17, s22, s20
	v_readfirstlane_b32 s20, v1
	s_cselect_b32 s19, s21, s19
	s_cmp_ge_u32 s20, s9
	s_cselect_b32 s20, -1, 0
	s_cmp_eq_u32 s16, 0
	s_cselect_b32 s16, s20, -1
	s_cmp_lg_u32 s16, 0
	s_cselect_b32 s17, s17, s18
	s_cselect_b32 s16, s19, s3
	s_xor_b64 s[16:17], s[16:17], s[10:11]
	s_sub_u32 s20, s16, s10
	s_load_dwordx4 s[16:19], s[4:5], 0x44
	s_cbranch_execnz .LBB8_3
.LBB8_2:
	v_cvt_f32_u32_e32 v1, s9
	s_sub_i32 s0, 0, s9
	v_rcp_iflag_f32_e32 v1, v1
	v_mul_f32_e32 v1, 0x4f7ffffe, v1
	v_cvt_u32_f32_e32 v1, v1
	v_readfirstlane_b32 s1, v1
	s_mul_i32 s0, s0, s1
	s_mul_hi_u32 s0, s1, s0
	s_add_i32 s1, s1, s0
	s_mul_hi_u32 s0, s2, s1
	s_mul_i32 s3, s0, s9
	s_sub_i32 s2, s2, s3
	s_add_i32 s1, s0, 1
	s_sub_i32 s3, s2, s9
	s_cmp_ge_u32 s2, s9
	s_cselect_b32 s0, s1, s0
	s_cselect_b32 s2, s3, s2
	s_add_i32 s1, s0, 1
	s_cmp_ge_u32 s2, s9
	s_cselect_b32 s20, s1, s0
.LBB8_3:
	s_add_i32 s0, s6, 1
	s_mul_hi_i32 s3, s15, s0
	s_mov_b32 s2, 0
	s_cmp_lg_u64 s[2:3], 0
	s_mul_i32 s2, s15, s0
	s_cbranch_scc0 .LBB8_22
; %bb.4:
	v_cvt_f32_u32_e32 v1, s9
	v_cvt_f32_ubyte0_e32 v2, 0
	s_sub_u32 s10, 0, s9
	s_subb_u32 s11, 0, 0
	v_madmk_f32 v1, v2, 0x4f800000, v1
	v_rcp_f32_e32 v1, v1
	v_mul_f32_e32 v1, 0x5f7ffffc, v1
	v_mul_f32_e32 v2, 0x2f800000, v1
	v_trunc_f32_e32 v2, v2
	v_madmk_f32 v1, v2, 0xcf800000, v1
	v_cvt_u32_f32_e32 v2, v2
	v_cvt_u32_f32_e32 v1, v1
	s_waitcnt lgkmcnt(0)
	v_readfirstlane_b32 s19, v2
	v_readfirstlane_b32 s21, v1
	s_mul_i32 s22, s10, s19
	s_mul_hi_u32 s24, s10, s21
	s_mul_i32 s23, s11, s21
	s_add_i32 s22, s24, s22
	s_add_i32 s22, s22, s23
	s_mul_i32 s25, s10, s21
	s_mul_hi_u32 s23, s21, s22
	s_mul_i32 s24, s21, s22
	s_mul_hi_u32 s21, s21, s25
	s_add_u32 s21, s21, s24
	s_addc_u32 s23, 0, s23
	s_mul_hi_u32 s26, s19, s25
	s_mul_i32 s25, s19, s25
	s_add_u32 s21, s21, s25
	s_mul_hi_u32 s24, s19, s22
	s_addc_u32 s21, s23, s26
	s_addc_u32 s23, s24, 0
	s_mul_i32 s22, s19, s22
	s_add_u32 s21, s21, s22
	s_addc_u32 s22, 0, s23
	v_add_co_u32_e32 v1, vcc, s21, v1
	s_cmp_lg_u64 vcc, 0
	s_addc_u32 s19, s19, s22
	v_readfirstlane_b32 s22, v1
	s_mul_i32 s21, s10, s19
	s_mul_hi_u32 s23, s10, s22
	s_add_i32 s21, s23, s21
	s_mul_i32 s11, s11, s22
	s_add_i32 s21, s21, s11
	s_mul_i32 s10, s10, s22
	s_mul_hi_u32 s23, s19, s10
	s_mul_i32 s24, s19, s10
	s_mul_i32 s26, s22, s21
	s_mul_hi_u32 s10, s22, s10
	s_mul_hi_u32 s25, s22, s21
	s_add_u32 s10, s10, s26
	s_addc_u32 s22, 0, s25
	s_add_u32 s10, s10, s24
	s_mul_hi_u32 s11, s19, s21
	s_addc_u32 s10, s22, s23
	s_addc_u32 s11, s11, 0
	s_mul_i32 s21, s19, s21
	s_add_u32 s10, s10, s21
	s_addc_u32 s11, 0, s11
	v_add_co_u32_e32 v1, vcc, s10, v1
	s_cmp_lg_u64 vcc, 0
	s_addc_u32 s19, s19, s11
	s_ashr_i32 s10, s3, 31
	s_add_u32 s22, s2, s10
	s_mov_b32 s11, s10
	s_addc_u32 s23, s3, s10
	s_xor_b64 s[22:23], s[22:23], s[10:11]
	v_readfirstlane_b32 s21, v1
	s_mul_i32 s11, s22, s19
	s_mul_hi_u32 s24, s22, s21
	s_mul_hi_u32 s3, s22, s19
	s_add_u32 s11, s24, s11
	s_addc_u32 s3, 0, s3
	s_mul_hi_u32 s25, s23, s21
	s_mul_i32 s21, s23, s21
	s_add_u32 s11, s11, s21
	s_mul_hi_u32 s24, s23, s19
	s_addc_u32 s3, s3, s25
	s_addc_u32 s11, s24, 0
	s_mul_i32 s19, s23, s19
	s_add_u32 s3, s3, s19
	s_addc_u32 s11, 0, s11
	s_mul_i32 s11, s9, s11
	s_mul_hi_u32 s24, s9, s3
	s_add_i32 s24, s24, s11
	s_mul_i32 s11, s9, s3
	v_mov_b32_e32 v1, s11
	s_add_u32 s19, s3, 1
	s_add_u32 s21, s3, 2
	v_sub_co_u32_e32 v1, vcc, s22, v1
	s_cmp_lg_u64 vcc, 0
	s_subb_u32 s11, s23, s24
	v_subrev_co_u32_e32 v2, vcc, s9, v1
	s_cmp_lg_u64 vcc, 0
	s_subb_u32 s22, s11, 0
	v_cmp_le_u32_e32 vcc, s9, v2
	s_cmp_eq_u32 s22, 0
	v_cndmask_b32_e64 v2, 0, -1, vcc
	s_cselect_b64 vcc, -1, 0
	v_cndmask_b32_e32 v2, -1, v2, vcc
	v_mov_b32_e32 v3, s19
	v_mov_b32_e32 v4, s21
	v_cmp_ne_u32_e32 vcc, 0, v2
	v_cndmask_b32_e32 v2, v3, v4, vcc
	v_cmp_le_u32_e32 vcc, s9, v1
	s_cmp_eq_u32 s11, 0
	v_cndmask_b32_e64 v1, 0, -1, vcc
	s_cselect_b64 vcc, -1, 0
	v_cndmask_b32_e32 v1, -1, v1, vcc
	v_mov_b32_e32 v3, s3
	v_cmp_ne_u32_e32 vcc, 0, v1
	v_cndmask_b32_e32 v1, v3, v2, vcc
	v_xor_b32_e32 v1, s10, v1
	v_subrev_co_u32_e32 v2, vcc, s10, v1
	s_cbranch_execnz .LBB8_6
.LBB8_5:
	v_cvt_f32_u32_e32 v1, s9
	s_sub_i32 s0, 0, s9
	s_mov_b32 s1, 0
	v_rcp_iflag_f32_e32 v1, v1
	v_mul_f32_e32 v1, 0x4f7ffffe, v1
	v_cvt_u32_f32_e32 v1, v1
	v_readfirstlane_b32 s3, v1
	s_mul_i32 s0, s0, s3
	s_mul_hi_u32 s0, s3, s0
	s_add_i32 s3, s3, s0
	s_mul_hi_u32 s0, s2, s3
	s_mul_i32 s10, s0, s9
	s_sub_i32 s2, s2, s10
	s_add_i32 s3, s0, 1
	s_sub_i32 s10, s2, s9
	s_cmp_ge_u32 s2, s9
	s_cselect_b32 s0, s3, s0
	s_cselect_b32 s2, s10, s2
	s_add_i32 s3, s0, 1
	s_cmp_ge_u32 s2, s9
	s_cselect_b32 s0, s3, s0
	v_pk_mov_b32 v[2:3], s[0:1], s[0:1] op_sel:[0,1]
.LBB8_6:
	s_waitcnt lgkmcnt(0)
	s_mul_hi_u32 s0, s20, s16
	s_add_i32 s0, s0, s20
	v_mul_hi_u32 v1, v2, s16
	s_lshr_b32 s19, s0, s17
	v_add_u32_e32 v1, v1, v2
	s_mul_i32 s0, s19, s18
	v_lshrrev_b32_e32 v1, s17, v1
	s_cmp_eq_u32 s0, s20
	v_cmp_eq_u32_e64 s[0:1], s19, v1
	v_mul_lo_u32 v1, v1, s18
	v_cmp_eq_u32_e32 vcc, s20, v2
	s_cselect_b64 s[10:11], -1, 0
	v_cmp_ne_u32_e64 s[2:3], v1, v2
	s_and_b64 s[0:1], s[0:1], s[2:3]
	s_or_b64 s[2:3], vcc, s[10:11]
	s_or_b64 s[0:1], s[2:3], s[0:1]
	s_and_b64 vcc, exec, s[0:1]
	s_cbranch_vccnz .LBB8_24
; %bb.7:
	s_load_dwordx8 s[24:31], s[4:5], 0x20
	s_load_dword s0, s[4:5], 0x40
	s_mov_b32 s10, 0
	s_waitcnt lgkmcnt(0)
	s_mul_hi_u32 s1, s20, s24
	s_add_i32 s1, s1, s20
	s_lshr_b32 s11, s1, s25
	s_mul_i32 s1, s11, s26
	s_sub_i32 s1, s20, s1
	s_mul_hi_u32 s2, s1, s27
	s_add_i32 s2, s1, s2
	s_lshr_b32 s24, s2, s28
	s_mul_i32 s2, s24, s29
	s_sub_i32 s1, s1, s2
	;; [unrolled: 5-line block ×3, first 2 shown]
	s_mul_hi_u32 s1, s0, s16
	s_add_i32 s0, s0, s1
	s_lshr_b32 s26, s0, s17
	s_lshl_b32 s0, s26, 2
	s_lshl_b32 s25, s2, 3
	s_add_i32 s0, s0, s7
	s_cmp_lt_i32 s0, s12
	s_cselect_b64 s[0:1], -1, 0
	s_add_i32 s2, s25, s8
	s_cmp_lt_i32 s2, s14
	s_cselect_b64 s[2:3], -1, 0
	s_and_b64 s[0:1], s[0:1], s[2:3]
	s_andn2_b64 vcc, exec, s[0:1]
	s_cbranch_vccnz .LBB8_24
; %bb.8:
	s_load_dwordx4 s[0:3], s[4:5], 0x0
	s_lshl_b32 s21, s7, 3
	s_lshl_b32 s4, s9, 7
	s_mov_b32 s5, s10
	s_add_i32 s21, s21, s8
	s_lshl_b64 s[4:5], s[4:5], 2
	s_waitcnt lgkmcnt(0)
	s_add_u32 s22, s2, s4
	s_mul_i32 s4, s11, s12
	s_addc_u32 s23, s3, s5
	s_add_i32 s4, s4, s7
	s_mul_i32 s4, s4, s13
	s_mul_i32 s24, s24, s14
	s_add_i32 s4, s4, s8
	s_add_i32 s4, s4, s24
	s_mul_i32 s5, s13, s26
	s_add_i32 s4, s4, s25
	s_lshl_b32 s5, s5, 9
	s_lshl_b32 s4, s4, 7
	s_add_i32 s5, s5, s4
	v_or_b32_e32 v2, s5, v0
	v_ashrrev_i32_e32 v3, 31, v2
	v_lshlrev_b64 v[2:3], 2, v[2:3]
	v_mov_b32_e32 v1, s1
	v_add_co_u32_e32 v2, vcc, s0, v2
	v_addc_co_u32_e32 v3, vcc, v1, v3, vcc
	global_load_dword v5, v[2:3], off
	v_lshl_or_b32 v4, s21, 7, v0
	v_cvt_f32_u32_e32 v0, s9
	v_cvt_f32_ubyte0_e32 v1, 0
	s_lshl_b32 s0, s6, 5
	s_add_i32 s0, s21, s0
	v_mac_f32_e32 v0, 0x4f800000, v1
	v_rcp_f32_e32 v0, v0
	v_cvt_f32_u32_e32 v1, s9
	s_ashr_i32 s1, s0, 31
	s_lshl_b64 s[0:1], s[0:1], 3
	v_mul_f32_e32 v0, 0x5f7ffffc, v0
	v_rcp_iflag_f32_e32 v1, v1
	s_add_u32 s0, s2, s0
	v_mul_f32_e32 v9, 0x2f800000, v0
	s_addc_u32 s1, s3, s1
	v_trunc_f32_e32 v10, v9
	s_load_dwordx2 s[0:1], s[0:1], 0x0
	v_mac_f32_e32 v0, 0xcf800000, v10
	v_cvt_u32_f32_e32 v9, v0
	v_mul_f32_e32 v0, 0x4f7ffffe, v1
	v_cvt_u32_f32_e32 v10, v10
	v_cvt_u32_f32_e32 v11, v0
	s_add_i32 s8, s6, -1
	s_waitcnt lgkmcnt(0)
	v_mov_b32_e32 v6, s1
	v_mov_b32_e32 v7, s0
	v_mov_b32_e32 v8, s20
	s_mov_b32 s6, 0x3fb8aa3b
	s_mov_b32 s7, 0xc2ce8ed0
	;; [unrolled: 1-line block ×4, first 2 shown]
	v_mov_b32_e32 v12, 0x7f800000
	s_mul_hi_i32 s11, s8, s15
	s_cmp_lg_u64 s[10:11], 0
	s_mul_i32 s4, s8, s15
	s_cbranch_scc0 .LBB8_15
.LBB8_9:
	s_sub_u32 s0, 0, s9
	v_readfirstlane_b32 s5, v9
	v_readfirstlane_b32 s24, v10
	s_subb_u32 s1, 0, 0
	s_mul_hi_u32 s20, s0, s5
	s_mul_i32 s25, s0, s24
	s_mul_i32 s14, s1, s5
	s_add_i32 s20, s20, s25
	s_add_i32 s20, s20, s14
	s_mul_i32 s26, s0, s5
	s_mul_hi_u32 s14, s5, s20
	s_mul_i32 s25, s5, s20
	s_mul_hi_u32 s5, s5, s26
	s_add_u32 s5, s5, s25
	s_addc_u32 s14, 0, s14
	s_mul_hi_u32 s27, s24, s26
	s_mul_i32 s26, s24, s26
	s_add_u32 s5, s5, s26
	s_mul_hi_u32 s25, s24, s20
	s_addc_u32 s5, s14, s27
	s_addc_u32 s14, s25, 0
	s_mul_i32 s20, s24, s20
	s_add_u32 s5, s5, s20
	s_addc_u32 s14, 0, s14
	v_add_co_u32_e32 v0, vcc, s5, v9
	s_cmp_lg_u64 vcc, 0
	s_addc_u32 s5, s24, s14
	v_readfirstlane_b32 s20, v0
	s_mul_i32 s14, s0, s5
	s_mul_hi_u32 s24, s0, s20
	s_add_i32 s14, s24, s14
	s_mul_i32 s1, s1, s20
	s_add_i32 s14, s14, s1
	s_mul_i32 s0, s0, s20
	s_mul_hi_u32 s24, s5, s0
	s_mul_i32 s25, s5, s0
	s_mul_i32 s27, s20, s14
	s_mul_hi_u32 s0, s20, s0
	s_mul_hi_u32 s26, s20, s14
	s_add_u32 s0, s0, s27
	s_addc_u32 s20, 0, s26
	s_add_u32 s0, s0, s25
	s_mul_hi_u32 s1, s5, s14
	s_addc_u32 s0, s20, s24
	s_addc_u32 s1, s1, 0
	s_mul_i32 s14, s5, s14
	s_add_u32 s0, s0, s14
	s_addc_u32 s1, 0, s1
	v_add_co_u32_e32 v0, vcc, s0, v0
	s_cmp_lg_u64 vcc, 0
	s_addc_u32 s5, s5, s1
	s_ashr_i32 s0, s11, 31
	s_add_u32 s24, s4, s0
	s_mov_b32 s1, s0
	s_addc_u32 s25, s11, s0
	s_xor_b64 s[24:25], s[24:25], s[0:1]
	v_readfirstlane_b32 s14, v0
	s_mul_i32 s11, s24, s5
	s_mul_hi_u32 s20, s24, s14
	s_mul_hi_u32 s1, s24, s5
	s_add_u32 s11, s20, s11
	s_addc_u32 s1, 0, s1
	s_mul_hi_u32 s26, s25, s14
	s_mul_i32 s14, s25, s14
	s_add_u32 s11, s11, s14
	s_mul_hi_u32 s20, s25, s5
	s_addc_u32 s1, s1, s26
	s_addc_u32 s11, s20, 0
	s_mul_i32 s5, s25, s5
	s_add_u32 s1, s1, s5
	s_addc_u32 s5, 0, s11
	s_mul_i32 s5, s9, s5
	s_mul_hi_u32 s20, s9, s1
	s_add_i32 s20, s20, s5
	s_mul_i32 s5, s9, s1
	v_mov_b32_e32 v0, s5
	s_add_u32 s11, s1, 1
	s_add_u32 s14, s1, 2
	v_sub_co_u32_e32 v0, vcc, s24, v0
	s_cmp_lg_u64 vcc, 0
	s_subb_u32 s5, s25, s20
	v_subrev_co_u32_e32 v1, vcc, s9, v0
	s_cmp_lg_u64 vcc, 0
	s_subb_u32 s20, s5, 0
	v_cmp_le_u32_e32 vcc, s9, v1
	s_cmp_eq_u32 s20, 0
	v_cndmask_b32_e64 v1, 0, -1, vcc
	s_cselect_b64 vcc, -1, 0
	v_cndmask_b32_e32 v1, -1, v1, vcc
	v_mov_b32_e32 v13, s11
	v_mov_b32_e32 v14, s14
	v_cmp_ne_u32_e32 vcc, 0, v1
	v_cndmask_b32_e32 v1, v13, v14, vcc
	v_cmp_le_u32_e32 vcc, s9, v0
	s_cmp_eq_u32 s5, 0
	v_cndmask_b32_e64 v0, 0, -1, vcc
	s_cselect_b64 vcc, -1, 0
	v_cndmask_b32_e32 v0, -1, v0, vcc
	v_mov_b32_e32 v13, s1
	v_cmp_ne_u32_e32 vcc, 0, v0
	v_cndmask_b32_e32 v0, v13, v1, vcc
	v_xor_b32_e32 v0, s0, v0
	v_subrev_co_u32_e32 v0, vcc, s0, v0
	s_cbranch_execnz .LBB8_11
.LBB8_10:
	s_sub_i32 s0, 0, s9
	v_mul_lo_u32 v0, s0, v11
	v_mul_hi_u32 v0, v11, v0
	v_add_u32_e32 v0, v11, v0
	v_mul_hi_u32 v0, s4, v0
	v_mul_lo_u32 v13, v0, s9
	v_sub_u32_e32 v13, s4, v13
	v_add_u32_e32 v1, 1, v0
	v_subrev_u32_e32 v14, s9, v13
	v_cmp_le_u32_e32 vcc, s9, v13
	v_cndmask_b32_e32 v13, v13, v14, vcc
	v_cndmask_b32_e32 v0, v0, v1, vcc
	v_add_u32_e32 v1, 1, v0
	v_cmp_le_u32_e32 vcc, s9, v13
	v_cndmask_b32_e32 v0, v0, v1, vcc
.LBB8_11:
	v_cmp_ne_u32_e32 vcc, v8, v0
	s_cbranch_vccz .LBB8_14
; %bb.12:
	s_add_i32 s0, s8, s9
	s_lshl_b32 s0, s0, 5
	v_mul_hi_u32 v1, v0, s16
	s_add_i32 s0, s0, s21
	s_mov_b32 s1, s10
	v_add_u32_e32 v1, v1, v0
	s_lshl_b64 s[0:1], s[0:1], 3
	v_lshrrev_b32_e32 v1, s17, v1
	s_add_u32 s4, s2, s0
	v_mul_lo_u32 v13, v1, s18
	s_addc_u32 s5, s3, s1
	v_cmp_eq_u32_e32 vcc, v13, v0
	v_cmp_gt_u32_e64 s[0:1], s19, v1
	s_or_b64 s[0:1], s[0:1], vcc
	s_and_b64 vcc, exec, s[0:1]
	s_cbranch_vccnz .LBB8_16
; %bb.13:
	s_add_i32 s11, s8, -1
	s_mov_b64 s[0:1], 0
	s_branch .LBB8_17
.LBB8_14:
                                        ; implicit-def: $sgpr0_sgpr1
                                        ; implicit-def: $vgpr14
                                        ; implicit-def: $vgpr1
                                        ; implicit-def: $vgpr13
                                        ; implicit-def: $sgpr11
                                        ; implicit-def: $vgpr0
	s_branch .LBB8_18
.LBB8_15:
                                        ; implicit-def: $vgpr0_vgpr1
	s_branch .LBB8_10
.LBB8_16:
	s_mov_b64 s[0:1], -1
	s_mov_b32 s11, s8
	v_mov_b32_e32 v0, v8
.LBB8_17:
	v_lshl_add_u32 v14, s8, 12, v4
	v_ashrrev_i32_e32 v15, 31, v14
	v_lshlrev_b64 v[14:15], 2, v[14:15]
	v_mov_b32_e32 v1, s23
	v_add_co_u32_e32 v14, vcc, s22, v14
	v_addc_co_u32_e32 v15, vcc, v1, v15, vcc
	global_load_dword v14, v[14:15], off
	s_load_dwordx2 s[4:5], s[4:5], 0x0
	v_max_f32_e32 v1, v7, v7
	s_waitcnt lgkmcnt(0)
	v_max_f32_e64 v13, s4, s4
	v_max_f32_e32 v1, v1, v13
	v_sub_f32_e32 v13, v7, v1
	v_sub_f32_e32 v15, s4, v1
	v_mul_f32_e32 v16, 0x3fb8aa3b, v13
	v_mul_f32_e32 v17, 0x3fb8aa3b, v15
	v_fma_f32 v18, v13, s6, -v16
	v_rndne_f32_e32 v19, v16
	v_fma_f32 v20, v15, s6, -v17
	v_rndne_f32_e32 v21, v17
	v_fmac_f32_e32 v18, 0x32a5705f, v13
	v_sub_f32_e32 v16, v16, v19
	v_fmac_f32_e32 v20, 0x32a5705f, v15
	v_sub_f32_e32 v17, v17, v21
	v_add_f32_e32 v16, v16, v18
	v_cvt_i32_f32_e32 v19, v19
	v_add_f32_e32 v17, v17, v20
	v_exp_f32_e32 v16, v16
	v_cvt_i32_f32_e32 v21, v21
	v_exp_f32_e32 v17, v17
	v_cmp_ngt_f32_e32 vcc, s7, v13
	v_ldexp_f32 v16, v16, v19
	v_cndmask_b32_e32 v16, 0, v16, vcc
	v_ldexp_f32 v17, v17, v21
	v_cmp_ngt_f32_e32 vcc, s7, v15
	v_cndmask_b32_e32 v17, 0, v17, vcc
	v_cmp_nlt_f32_e32 vcc, s12, v13
	v_cndmask_b32_e32 v16, v12, v16, vcc
	v_cmp_nlt_f32_e32 vcc, s12, v15
	v_cndmask_b32_e32 v17, v12, v17, vcc
	v_cmp_le_f32_e32 vcc, s13, v13
	v_cndmask_b32_e32 v16, 0, v16, vcc
	v_cmp_le_f32_e32 vcc, s13, v15
	v_cndmask_b32_e32 v15, 0, v17, vcc
	v_mul_f32_e32 v13, s5, v15
	v_fmac_f32_e32 v13, v6, v16
	s_waitcnt vmcnt(0)
	v_mul_f32_e32 v14, v14, v15
	v_fmac_f32_e32 v14, v5, v16
	s_cbranch_execnz .LBB8_19
.LBB8_18:
	s_add_i32 s11, s8, -1
	s_mov_b64 s[0:1], 0
	v_mov_b32_e32 v0, v8
	v_mov_b32_e32 v13, v6
	;; [unrolled: 1-line block ×3, first 2 shown]
	s_waitcnt vmcnt(0)
	v_mov_b32_e32 v14, v5
.LBB8_19:
	s_andn2_b64 vcc, exec, s[0:1]
	s_cbranch_vccz .LBB8_23
; %bb.20:
	v_mov_b32_e32 v8, v0
	s_mov_b32 s8, s11
	v_mov_b32_e32 v6, v13
	v_mov_b32_e32 v7, v1
	s_waitcnt vmcnt(0)
	v_mov_b32_e32 v5, v14
	s_mul_hi_i32 s11, s8, s15
	s_cmp_lg_u64 s[10:11], 0
	s_mul_i32 s4, s8, s15
	s_cbranch_scc1 .LBB8_9
	s_branch .LBB8_15
.LBB8_21:
                                        ; implicit-def: $sgpr20_sgpr21
	s_load_dwordx4 s[16:19], s[4:5], 0x44
	s_branch .LBB8_2
.LBB8_22:
                                        ; implicit-def: $vgpr2_vgpr3
	s_branch .LBB8_5
.LBB8_23:
	v_div_scale_f32 v0, s[0:1], v13, v13, v14
	v_rcp_f32_e32 v1, v0
	v_div_scale_f32 v4, vcc, v14, v13, v14
	s_waitcnt vmcnt(0)
	v_fma_f32 v5, -v0, v1, 1.0
	v_fmac_f32_e32 v1, v5, v1
	v_mul_f32_e32 v5, v4, v1
	v_fma_f32 v6, -v0, v5, v4
	v_fmac_f32_e32 v5, v6, v1
	v_fma_f32 v0, -v0, v5, v4
	v_div_fmas_f32 v0, v0, v1, v5
	v_div_fixup_f32 v0, v0, v13, v14
	global_store_dword v[2:3], v0, off
.LBB8_24:
	s_endpgm
	.section	.rodata,"a",@progbits
	.p2align	6, 0x0
	.amdhsa_kernel _ZL33flash_attn_stream_k_fixup_generalILi128ELi4ELi8EEvPfPK15HIP_vector_typeIfLj2EEiiiiS1_IjLj3EES5_S5_S5_
		.amdhsa_group_segment_fixed_size 0
		.amdhsa_private_segment_fixed_size 0
		.amdhsa_kernarg_size 336
		.amdhsa_user_sgpr_count 6
		.amdhsa_user_sgpr_private_segment_buffer 1
		.amdhsa_user_sgpr_dispatch_ptr 0
		.amdhsa_user_sgpr_queue_ptr 0
		.amdhsa_user_sgpr_kernarg_segment_ptr 1
		.amdhsa_user_sgpr_dispatch_id 0
		.amdhsa_user_sgpr_flat_scratch_init 0
		.amdhsa_user_sgpr_kernarg_preload_length 0
		.amdhsa_user_sgpr_kernarg_preload_offset 0
		.amdhsa_user_sgpr_private_segment_size 0
		.amdhsa_uses_dynamic_stack 0
		.amdhsa_system_sgpr_private_segment_wavefront_offset 0
		.amdhsa_system_sgpr_workgroup_id_x 1
		.amdhsa_system_sgpr_workgroup_id_y 1
		.amdhsa_system_sgpr_workgroup_id_z 1
		.amdhsa_system_sgpr_workgroup_info 0
		.amdhsa_system_vgpr_workitem_id 0
		.amdhsa_next_free_vgpr 22
		.amdhsa_next_free_sgpr 32
		.amdhsa_accum_offset 24
		.amdhsa_reserve_vcc 1
		.amdhsa_reserve_flat_scratch 0
		.amdhsa_float_round_mode_32 0
		.amdhsa_float_round_mode_16_64 0
		.amdhsa_float_denorm_mode_32 3
		.amdhsa_float_denorm_mode_16_64 3
		.amdhsa_dx10_clamp 1
		.amdhsa_ieee_mode 1
		.amdhsa_fp16_overflow 0
		.amdhsa_tg_split 0
		.amdhsa_exception_fp_ieee_invalid_op 0
		.amdhsa_exception_fp_denorm_src 0
		.amdhsa_exception_fp_ieee_div_zero 0
		.amdhsa_exception_fp_ieee_overflow 0
		.amdhsa_exception_fp_ieee_underflow 0
		.amdhsa_exception_fp_ieee_inexact 0
		.amdhsa_exception_int_div_zero 0
	.end_amdhsa_kernel
	.section	.text._ZL33flash_attn_stream_k_fixup_generalILi128ELi4ELi8EEvPfPK15HIP_vector_typeIfLj2EEiiiiS1_IjLj3EES5_S5_S5_,"axG",@progbits,_ZL33flash_attn_stream_k_fixup_generalILi128ELi4ELi8EEvPfPK15HIP_vector_typeIfLj2EEiiiiS1_IjLj3EES5_S5_S5_,comdat
.Lfunc_end8:
	.size	_ZL33flash_attn_stream_k_fixup_generalILi128ELi4ELi8EEvPfPK15HIP_vector_typeIfLj2EEiiiiS1_IjLj3EES5_S5_S5_, .Lfunc_end8-_ZL33flash_attn_stream_k_fixup_generalILi128ELi4ELi8EEvPfPK15HIP_vector_typeIfLj2EEiiiiS1_IjLj3EES5_S5_S5_
                                        ; -- End function
	.section	.AMDGPU.csdata,"",@progbits
; Kernel info:
; codeLenInByte = 2824
; NumSgprs: 36
; NumVgprs: 22
; NumAgprs: 0
; TotalNumVgprs: 22
; ScratchSize: 0
; MemoryBound: 0
; FloatMode: 240
; IeeeMode: 1
; LDSByteSize: 0 bytes/workgroup (compile time only)
; SGPRBlocks: 4
; VGPRBlocks: 2
; NumSGPRsForWavesPerEU: 36
; NumVGPRsForWavesPerEU: 22
; AccumOffset: 24
; Occupancy: 8
; WaveLimiterHint : 0
; COMPUTE_PGM_RSRC2:SCRATCH_EN: 0
; COMPUTE_PGM_RSRC2:USER_SGPR: 6
; COMPUTE_PGM_RSRC2:TRAP_HANDLER: 0
; COMPUTE_PGM_RSRC2:TGID_X_EN: 1
; COMPUTE_PGM_RSRC2:TGID_Y_EN: 1
; COMPUTE_PGM_RSRC2:TGID_Z_EN: 1
; COMPUTE_PGM_RSRC2:TIDIG_COMP_CNT: 0
; COMPUTE_PGM_RSRC3_GFX90A:ACCUM_OFFSET: 5
; COMPUTE_PGM_RSRC3_GFX90A:TG_SPLIT: 0
	.section	.text._ZL15flash_attn_tileILi128ELi128ELi2ELi8ELb0EEvPKcS1_S1_S1_S1_PKiPfP15HIP_vector_typeIfLj2EEffffjfiS5_IjLj3EEiiiiiiiiiiiliiliiiiil,"axG",@progbits,_ZL15flash_attn_tileILi128ELi128ELi2ELi8ELb0EEvPKcS1_S1_S1_S1_PKiPfP15HIP_vector_typeIfLj2EEffffjfiS5_IjLj3EEiiiiiiiiiiiliiliiiiil,comdat
	.globl	_ZL15flash_attn_tileILi128ELi128ELi2ELi8ELb0EEvPKcS1_S1_S1_S1_PKiPfP15HIP_vector_typeIfLj2EEffffjfiS5_IjLj3EEiiiiiiiiiiiliiliiiiil ; -- Begin function _ZL15flash_attn_tileILi128ELi128ELi2ELi8ELb0EEvPKcS1_S1_S1_S1_PKiPfP15HIP_vector_typeIfLj2EEffffjfiS5_IjLj3EEiiiiiiiiiiiliiliiiiil
	.p2align	8
	.type	_ZL15flash_attn_tileILi128ELi128ELi2ELi8ELb0EEvPKcS1_S1_S1_S1_PKiPfP15HIP_vector_typeIfLj2EEffffjfiS5_IjLj3EEiiiiiiiiiiiliiliiiiil,@function
_ZL15flash_attn_tileILi128ELi128ELi2ELi8ELb0EEvPKcS1_S1_S1_S1_PKiPfP15HIP_vector_typeIfLj2EEffffjfiS5_IjLj3EEiiiiiiiiiiiliiliiiiil: ; @_ZL15flash_attn_tileILi128ELi128ELi2ELi8ELb0EEvPKcS1_S1_S1_S1_PKiPfP15HIP_vector_typeIfLj2EEffffjfiS5_IjLj3EEiiiiiiiiiiiliiliiiiil
; %bb.0:
	s_load_dwordx4 s[24:27], s[4:5], 0x5c
	s_load_dwordx2 s[28:29], s[4:5], 0x80
	s_load_dwordx16 s[36:51], s[4:5], 0x0
	s_mov_b64 s[30:31], 0
	s_waitcnt lgkmcnt(0)
	s_ashr_i32 s0, s27, 31
	s_lshr_b32 s0, s0, 29
	s_add_i32 s0, s27, s0
	s_ashr_i32 s0, s0, 3
	v_cvt_f32_u32_e32 v1, s0
	s_sub_i32 s1, 0, s0
	v_rcp_iflag_f32_e32 v1, v1
	v_mul_f32_e32 v1, 0x4f7ffffe, v1
	v_cvt_u32_f32_e32 v1, v1
	v_readfirstlane_b32 s2, v1
	s_mul_i32 s1, s1, s2
	s_mul_hi_u32 s1, s2, s1
	s_add_i32 s2, s2, s1
	s_mul_hi_u32 s1, s8, s2
	s_mul_i32 s2, s1, s0
	s_sub_i32 s2, s8, s2
	s_add_i32 s3, s1, 1
	s_sub_i32 s9, s2, s0
	s_cmp_ge_u32 s2, s0
	s_cselect_b32 s1, s3, s1
	s_cselect_b32 s2, s9, s2
	s_add_i32 s3, s1, 1
	s_cmp_ge_u32 s2, s0
	s_cselect_b32 s33, s3, s1
	s_abs_i32 s0, s29
	v_cvt_f32_u32_e32 v1, s0
	s_lshl_b32 s1, s8, 3
	s_mul_i32 s8, s33, s27
	s_xor_b32 s2, s27, s29
	v_rcp_iflag_f32_e32 v1, v1
	s_sub_i32 s9, 0, s0
	s_sub_i32 s29, s1, s8
	s_abs_i32 s3, s27
	v_mul_f32_e32 v1, 0x4f7ffffe, v1
	v_cvt_u32_f32_e32 v1, v1
	s_ashr_i32 s2, s2, 31
	v_readfirstlane_b32 s1, v1
	s_mul_i32 s9, s9, s1
	s_mul_hi_u32 s8, s1, s9
	s_add_i32 s1, s1, s8
	s_mul_hi_u32 s1, s3, s1
	s_mul_i32 s8, s1, s0
	s_sub_i32 s3, s3, s8
	s_add_i32 s9, s1, 1
	s_sub_i32 s8, s3, s0
	s_cmp_ge_u32 s3, s0
	s_cselect_b32 s1, s9, s1
	s_cselect_b32 s3, s8, s3
	s_add_i32 s8, s1, 1
	s_cmp_ge_u32 s3, s0
	s_cselect_b32 s0, s8, s1
	s_xor_b32 s0, s0, s2
	s_sub_i32 s11, s0, s2
	s_abs_i32 s10, s11
	v_cvt_f32_u32_e32 v1, s10
	s_load_dwordx2 s[8:9], s[4:5], 0xb8
	s_cmp_eq_u64 s[42:43], 0
	v_rcp_iflag_f32_e32 v1, v1
	v_mul_f32_e32 v1, 0x4f7ffffe, v1
	v_cvt_u32_f32_e32 v1, v1
	v_readfirstlane_b32 s12, v1
	s_cbranch_scc1 .LBB9_2
; %bb.1:
	s_waitcnt lgkmcnt(0)
	s_abs_i32 s2, s8
	v_cvt_f32_u32_e32 v1, s2
	s_sub_i32 s13, 0, s2
	s_abs_i32 s8, s33
	s_ashr_i32 s3, s33, 31
	v_rcp_iflag_f32_e32 v1, v1
	s_load_dwordx2 s[0:1], s[4:5], 0xc8
	v_mul_f32_e32 v1, 0x4f7ffffe, v1
	v_cvt_u32_f32_e32 v1, v1
	v_readfirstlane_b32 s14, v1
	s_mul_i32 s13, s13, s14
	s_mul_hi_u32 s13, s14, s13
	s_add_i32 s14, s14, s13
	s_mul_hi_u32 s13, s8, s14
	s_mul_i32 s13, s13, s2
	s_sub_i32 s8, s8, s13
	s_sub_i32 s13, s8, s2
	s_cmp_ge_u32 s8, s2
	s_cselect_b32 s8, s13, s8
	s_sub_i32 s13, s8, s2
	s_cmp_ge_u32 s8, s2
	s_cselect_b32 s2, s13, s8
	s_xor_b32 s2, s2, s3
	s_sub_i32 s2, s2, s3
	s_ashr_i32 s3, s2, 31
	s_waitcnt lgkmcnt(0)
	s_mul_i32 s1, s2, s1
	s_mul_hi_u32 s8, s2, s0
	s_add_i32 s1, s8, s1
	s_mul_i32 s3, s3, s0
	s_add_i32 s1, s1, s3
	s_mul_i32 s2, s2, s0
	s_add_u32 s30, s42, s2
	s_addc_u32 s31, s43, s1
.LBB9_2:
	s_load_dwordx4 s[0:3], s[4:5], 0x70
	v_bfe_u32 v1, v0, 10, 10
	v_lshrrev_b32_e32 v2, 2, v1
	v_lshl_add_u32 v21, s6, 1, v2
	v_mul_hi_u32 v2, s24, v21
	s_waitcnt lgkmcnt(0)
	s_mul_i32 s2, s33, s2
	s_ashr_i32 s8, s2, 31
	s_mul_i32 s3, s29, s1
	s_add_u32 s2, s36, s2
	s_addc_u32 s8, s37, s8
	s_ashr_i32 s13, s3, 31
	v_add_u32_e32 v2, v21, v2
	s_add_u32 s14, s2, s3
	v_lshrrev_b32_e32 v2, s25, v2
	s_addc_u32 s8, s8, s13
	v_mul_lo_u32 v2, v2, s26
	s_ashr_i32 s15, s0, 31
	v_mov_b32_e32 v4, s0
	v_sub_u32_e32 v2, v21, v2
	v_alignbit_b32 v4, s15, v4, 2
	v_mad_u64_u32 v[4:5], s[2:3], v4, v2, 0
	v_mov_b32_e32 v6, v5
	s_lshr_b32 s0, s15, 2
	v_mad_u64_u32 v[6:7], s[2:3], s0, v2, v[6:7]
	v_mov_b32_e32 v5, v6
	v_lshlrev_b64 v[4:5], 2, v[4:5]
	v_and_b32_e32 v20, 0x3ff, v0
	v_mov_b32_e32 v0, s8
	v_add_co_u32_e32 v4, vcc, s14, v4
	v_addc_co_u32_e32 v0, vcc, v0, v5, vcc
	v_lshlrev_b32_e32 v5, 4, v20
	v_add_co_u32_e32 v12, vcc, v4, v5
	v_lshlrev_b32_e32 v3, 1, v1
	s_ashr_i32 s13, s1, 31
	v_addc_co_u32_e32 v13, vcc, 0, v0, vcc
	v_mov_b32_e32 v0, s1
	v_and_b32_e32 v54, 6, v3
	v_alignbit_b32 v8, s13, v0, 2
	v_mad_u64_u32 v[4:5], s[0:1], v8, v54, 0
	v_or_b32_e32 v14, 1, v3
	v_mov_b32_e32 v0, v5
	s_lshr_b32 s2, s13, 2
	v_and_b32_e32 v10, 7, v14
	v_mad_u64_u32 v[6:7], s[0:1], s2, v54, v[0:1]
	v_mad_u64_u32 v[8:9], s[0:1], v8, v10, 0
	v_mov_b32_e32 v5, v6
	v_mov_b32_e32 v0, v9
	v_lshlrev_b64 v[4:5], 2, v[4:5]
	v_mad_u64_u32 v[10:11], s[0:1], s2, v10, v[0:1]
	v_add_co_u32_e32 v4, vcc, v12, v4
	v_mov_b32_e32 v9, v10
	v_addc_co_u32_e32 v5, vcc, v13, v5, vcc
	v_lshlrev_b64 v[8:9], 2, v[8:9]
	v_add_co_u32_e32 v8, vcc, v12, v8
	global_load_dwordx4 v[4:7], v[4:5], off
	v_addc_co_u32_e32 v9, vcc, v13, v9, vcc
	global_load_dwordx4 v[8:11], v[8:9], off
	s_load_dword s0, s[4:5], 0x40
	v_lshlrev_b32_e32 v0, 1, v20
	v_lshlrev_b32_e32 v12, 7, v1
	;; [unrolled: 1-line block ×3, first 2 shown]
	v_add_lshl_u32 v12, v12, v0, 2
	v_add_lshl_u32 v0, v13, v0, 2
	s_cmp_eq_u64 s[46:47], 0
	s_waitcnt vmcnt(1) lgkmcnt(0)
	v_pk_mul_f32 v[4:5], v[4:5], s[0:1] op_sel_hi:[1,0]
	v_pk_mul_f32 v[6:7], v[6:7], s[0:1] op_sel_hi:[1,0]
	v_cvt_f16_f32_e32 v13, v5
	s_waitcnt vmcnt(0)
	v_pk_mul_f32 v[8:9], v[8:9], s[0:1] op_sel_hi:[1,0]
	v_pk_mul_f32 v[10:11], v[10:11], s[0:1] op_sel_hi:[1,0]
	v_cvt_f16_f32_e32 v4, v4
	v_cvt_f16_f32_e32 v5, v7
	v_cvt_f16_f32_e32 v6, v6
	v_cvt_f16_f32_e32 v9, v9
	v_cvt_f16_f32_e32 v7, v11
	v_cvt_f16_f32_e32 v10, v10
	v_cvt_f16_f32_e32 v8, v8
	v_pack_b32_f16 v5, v6, v5
	v_pack_b32_f16 v4, v4, v13
	;; [unrolled: 1-line block ×4, first 2 shown]
	ds_write_b64 v12, v[4:5] offset:17408
	ds_write_b64 v0, v[6:7] offset:17408
	s_waitcnt lgkmcnt(0)
	s_barrier
	s_cbranch_scc1 .LBB9_4
; %bb.3:
	s_load_dword s0, s[4:5], 0xd0
	s_mov_b32 s1, 0
	s_waitcnt lgkmcnt(0)
	s_mul_i32 s0, s0, s33
	s_add_i32 s0, s0, s6
	s_lshl_b64 s[0:1], s[0:1], 2
	s_add_u32 s0, s46, s0
	s_addc_u32 s1, s47, s1
	s_load_dword s28, s[0:1], 0x0
.LBB9_4:
	s_lshl_b32 s36, s7, 6
	s_waitcnt lgkmcnt(0)
	s_cmp_lt_i32 s36, s28
	v_mbcnt_lo_u32_b32 v0, -1, 0
	s_cbranch_scc1 .LBB9_6
; %bb.5:
	v_mbcnt_hi_u32_b32 v25, -1, v0
	v_and_b32_e32 v4, 0x60, v25
	s_mov_b32 s0, 0xfeffffff
	s_mov_b32 s6, 0
	v_add_u32_e32 v56, 32, v4
	v_xor_b32_e32 v62, 16, v25
	v_xor_b32_e32 v61, 8, v25
	v_xor_b32_e32 v60, 4, v25
	v_xor_b32_e32 v59, 2, v25
	v_xor_b32_e32 v58, 1, v25
	s_mov_b32 s1, s0
	s_mov_b64 s[2:3], 0
	s_branch .LBB9_7
.LBB9_6:
	s_mov_b64 s[2:3], -1
                                        ; implicit-def: $sgpr6
                                        ; implicit-def: $sgpr0_sgpr1
                                        ; implicit-def: $vgpr25
                                        ; implicit-def: $vgpr56
                                        ; implicit-def: $vgpr62
                                        ; implicit-def: $vgpr61
                                        ; implicit-def: $vgpr60
                                        ; implicit-def: $vgpr59
                                        ; implicit-def: $vgpr58
.LBB9_7:
	v_lshlrev_b32_e32 v55, 2, v20
	s_andn2_b64 vcc, exec, s[2:3]
	v_mov_b32_e32 v23, s6
	v_mov_b32_e32 v57, s6
	v_pk_mov_b32 v[44:45], s[0:1], s[0:1] op_sel:[0,1]
	v_mov_b32_e32 v65, s6
	v_mov_b32_e32 v22, s6
	;; [unrolled: 1-line block ×4, first 2 shown]
	s_cbranch_vccnz .LBB9_10
; %bb.8:
	s_sub_i32 s0, 0, s10
	s_mul_i32 s0, s0, s12
	s_mul_hi_u32 s0, s12, s0
	s_add_i32 s8, s12, s0
	s_load_dwordx2 s[12:13], s[4:5], 0x8c
	s_load_dwordx4 s[0:3], s[4:5], 0x98
	s_abs_i32 s6, s29
	s_mul_hi_u32 s8, s6, s8
	s_ashr_i32 s16, s29, 31
	s_waitcnt lgkmcnt(0)
	s_ashr_i32 s42, s12, 2
	s_ashr_i32 s37, s2, 2
	;; [unrolled: 1-line block ×4, first 2 shown]
	s_mul_i32 s1, s33, s1
	s_mul_hi_u32 s12, s33, s0
	s_add_i32 s1, s12, s1
	s_mul_i32 s12, s9, s0
	s_ashr_i32 s11, s11, 31
	s_add_i32 s1, s1, s12
	s_mul_i32 s0, s33, s0
	s_add_u32 s0, s38, s0
	s_mul_i32 s12, s8, s10
	s_addc_u32 s1, s39, s1
	s_sub_i32 s6, s6, s12
	s_xor_b32 s11, s16, s11
	s_add_i32 s12, s8, 1
	s_sub_i32 s16, s6, s10
	s_cmp_ge_u32 s6, s10
	s_cselect_b32 s8, s12, s8
	s_cselect_b32 s6, s16, s6
	s_add_i32 s12, s8, 1
	s_cmp_ge_u32 s6, s10
	s_cselect_b32 s6, s12, s8
	s_load_dwordx2 s[14:15], s[4:5], 0xa8
	s_xor_b32 s6, s6, s11
	s_sub_i32 s6, s6, s11
	s_mul_i32 s8, s6, s13
	s_ashr_i32 s10, s8, 31
	s_add_u32 s38, s0, s8
	s_addc_u32 s39, s1, s10
	s_waitcnt lgkmcnt(0)
	s_mul_i32 s0, s33, s15
	s_mul_hi_u32 s1, s33, s14
	s_add_i32 s0, s1, s0
	s_mul_i32 s9, s9, s14
	s_add_i32 s0, s0, s9
	s_mul_i32 s1, s33, s14
	s_add_u32 s1, s40, s1
	s_mul_i32 s6, s6, s3
	s_addc_u32 s0, s41, s0
	s_ashr_i32 s3, s6, 31
	v_lshrrev_b32_e32 v4, 4, v20
	s_add_u32 s40, s1, s6
	v_add_u32_e32 v3, v4, v3
	v_and_b32_e32 v4, 60, v55
	s_addc_u32 s41, s0, s3
	v_lshlrev_b32_e32 v5, 2, v4
	s_movk_i32 s0, 0x110
	v_mad_u32_u24 v63, v3, s0, v5
	v_mul_lo_u32 v6, s42, v3
	s_lshl_b32 s0, s42, 4
	v_add_u32_e32 v8, s0, v6
	v_add_u32_e32 v10, s0, v8
	;; [unrolled: 1-line block ×3, first 2 shown]
	v_mad_u64_u32 v[24:25], s[0:1], v2, s2, v[20:21]
	v_mov_b32_e32 v2, 0x5400
	v_mov_b32_e32 v14, 0x4400
	v_lshl_add_u32 v70, v1, 8, v2
	v_mul_lo_u32 v2, s37, v3
	s_lshl_b32 s0, s37, 4
	v_lshl_add_u32 v69, v1, 9, v14
	v_add_u32_e32 v14, s0, v2
	v_add_u32_e32 v18, s0, v14
	v_add_u32_e32 v22, s0, v18
	v_mbcnt_hi_u32_b32 v25, -1, v0
	v_mov_b32_e32 v17, 0
	v_ashrrev_i32_e32 v7, 31, v6
	v_ashrrev_i32_e32 v9, 31, v8
	v_ashrrev_i32_e32 v11, 31, v10
	v_ashrrev_i32_e32 v13, 31, v12
	v_lshl_or_b32 v71, v3, 8, v5
	v_ashrrev_i32_e32 v3, 31, v2
	v_ashrrev_i32_e32 v15, 31, v14
	;; [unrolled: 1-line block ×4, first 2 shown]
	v_lshlrev_b32_e32 v75, 3, v20
	s_add_u32 s34, s4, 0xd0
	v_mov_b32_e32 v42, 0xfeffffff
	v_and_b32_e32 v0, 0x60, v25
	v_add_u32_e32 v64, 0x1100, v63
	v_add_u32_e32 v66, 0x2200, v63
	;; [unrolled: 1-line block ×3, first 2 shown]
	v_mul_u32_u24_e32 v68, 0x110, v20
	v_add_u32_e32 v72, 0x1000, v71
	v_add_u32_e32 v73, 0x2000, v71
	;; [unrolled: 1-line block ×3, first 2 shown]
	s_addc_u32 s35, s5, 0
	v_lshlrev_b64 v[26:27], 2, v[6:7]
	v_lshlrev_b32_e32 v76, 2, v4
	v_lshlrev_b64 v[28:29], 2, v[8:9]
	v_lshlrev_b64 v[30:31], 2, v[10:11]
	;; [unrolled: 1-line block ×3, first 2 shown]
	v_add_u32_e32 v56, 32, v0
	v_xor_b32_e32 v62, 16, v25
	v_xor_b32_e32 v61, 8, v25
	;; [unrolled: 1-line block ×5, first 2 shown]
	v_mov_b32_e32 v77, s31
	s_mov_b32 s6, 0x40051340
	s_mov_b32 s31, 0x3fb8aa3b
	;; [unrolled: 1-line block ×4, first 2 shown]
	v_mov_b32_e32 v78, 0x7f800000
	v_add_u32_e32 v79, v70, v55
	v_lshlrev_b64 v[34:35], 2, v[2:3]
	v_lshlrev_b64 v[36:37], 2, v[14:15]
	;; [unrolled: 1-line block ×4, first 2 shown]
	v_add_u32_e32 v80, 0x800, v75
	v_add_u32_e32 v81, 0x1000, v75
	;; [unrolled: 1-line block ×7, first 2 shown]
	v_mov_b32_e32 v65, 0
	v_mov_b32_e32 v16, 0
	;; [unrolled: 1-line block ×6, first 2 shown]
.LBB9_9:                                ; =>This Inner Loop Header: Depth=1
	s_mul_hi_i32 s13, s36, s42
	s_mul_i32 s12, s36, s42
	v_add_u32_e32 v0, s36, v24
	v_cmp_lt_i32_e64 s[0:1], v61, v56
	v_cmp_lt_i32_e64 s[10:11], v59, v56
	v_cndmask_b32_e64 v3, v25, v61, s[0:1]
	s_lshl_b64 s[0:1], s[12:13], 2
	v_ashrrev_i32_e32 v1, 31, v0
	v_cmp_lt_i32_e32 vcc, v62, v56
	v_cmp_lt_i32_e64 s[2:3], v60, v56
	v_cmp_lt_i32_e64 s[8:9], v58, v56
	v_cndmask_b32_e64 v5, v25, v59, s[10:11]
	s_add_u32 s10, s38, s0
	v_lshlrev_b64 v[0:1], 1, v[0:1]
	s_mul_hi_i32 s15, s36, s37
	s_mul_i32 s14, s36, s37
	v_cndmask_b32_e32 v2, v25, v62, vcc
	v_cndmask_b32_e64 v4, v25, v60, s[2:3]
	v_cndmask_b32_e64 v6, v25, v58, s[8:9]
	s_addc_u32 s12, s39, s1
	v_add_co_u32_e32 v0, vcc, s30, v0
	v_lshlrev_b32_e32 v87, 2, v2
	v_lshlrev_b32_e32 v98, 2, v3
	;; [unrolled: 1-line block ×5, first 2 shown]
	s_lshl_b64 s[18:19], s[14:15], 2
	v_add_co_u32_e64 v2, s[0:1], s10, v28
	v_add_co_u32_e64 v3, s[2:3], s10, v30
	;; [unrolled: 1-line block ×4, first 2 shown]
	v_addc_co_u32_e32 v1, vcc, v77, v1, vcc
	v_mov_b32_e32 v6, s12
	v_mov_b32_e32 v7, s12
	;; [unrolled: 1-line block ×4, first 2 shown]
	s_add_u32 s18, s40, s18
	v_add_co_u32_e32 v14, vcc, v2, v76
	v_add_co_u32_e64 v92, s[12:13], v3, v76
	v_add_co_u32_e64 v94, s[14:15], v4, v76
	;; [unrolled: 1-line block ×3, first 2 shown]
	v_addc_co_u32_e64 v2, s[10:11], v6, v27, s[10:11]
	v_addc_co_u32_e64 v3, s[0:1], v7, v29, s[0:1]
	v_addc_co_u32_e64 v4, s[0:1], v8, v31, s[2:3]
	v_addc_co_u32_e64 v5, s[0:1], v9, v33, s[8:9]
	v_add_co_u32_e64 v6, s[0:1], s18, v34
	v_add_co_u32_e64 v7, s[2:3], s18, v36
	;; [unrolled: 1-line block ×4, first 2 shown]
	v_addc_co_u32_e64 v97, s[16:17], 0, v2, s[16:17]
	v_addc_co_u32_e32 v15, vcc, 0, v3, vcc
	v_addc_co_u32_e64 v93, vcc, 0, v4, s[12:13]
	v_addc_co_u32_e64 v95, vcc, 0, v5, s[14:15]
	v_add_co_u32_e32 v46, vcc, v7, v76
	v_add_co_u32_e64 v48, s[12:13], v8, v76
	v_add_co_u32_e64 v52, s[14:15], v9, v76
	;; [unrolled: 1-line block ×3, first 2 shown]
	global_load_dwordx4 v[2:5], v[96:97], off
	global_load_dwordx4 v[6:9], v[14:15], off
	global_load_dwordx4 v[10:13], v[92:93], off
	global_load_dwordx4 v[88:91], v[94:95], off
	v_mov_b32_e32 v18, 0
	v_mov_b32_e32 v44, 0
	;; [unrolled: 1-line block ×3, first 2 shown]
	s_waitcnt vmcnt(3)
	ds_write_b128 v63, v[2:5]
	s_waitcnt vmcnt(2)
	ds_write_b128 v64, v[6:9]
	;; [unrolled: 2-line block ×4, first 2 shown]
	s_waitcnt lgkmcnt(0)
	s_barrier
	ds_read_b128 v[2:5], v69
	ds_read_b128 v[6:9], v68
	ds_read_b128 v[10:13], v68 offset:8704
	ds_read_b128 v[88:91], v69 offset:256
	s_waitcnt lgkmcnt(2)
	;;#ASMSTART
	v_dot2_f32_f16 v18, v6, v2, v18
	;;#ASMEND
	;;#ASMSTART
	v_dot2_f32_f16 v18, v7, v3, v18
	;;#ASMEND
	;; [unrolled: 3-line block ×4, first 2 shown]
	s_waitcnt lgkmcnt(0)
	;;#ASMSTART
	v_dot2_f32_f16 v44, v6, v88, v44
	;;#ASMEND
	;;#ASMSTART
	v_dot2_f32_f16 v44, v7, v89, v44
	;;#ASMEND
	;; [unrolled: 3-line block ×6, first 2 shown]
	v_mov_b32_e32 v45, 0
	;;#ASMSTART
	v_dot2_f32_f16 v19, v12, v4, v19
	;;#ASMEND
	;;#ASMSTART
	v_dot2_f32_f16 v19, v13, v5, v19
	;;#ASMEND
	;;#ASMSTART
	v_dot2_f32_f16 v45, v10, v88, v45
	;;#ASMEND
	;;#ASMSTART
	v_dot2_f32_f16 v45, v11, v89, v45
	;;#ASMEND
	;;#ASMSTART
	v_dot2_f32_f16 v45, v12, v90, v45
	;;#ASMEND
	;;#ASMSTART
	v_dot2_f32_f16 v45, v13, v91, v45
	;;#ASMEND
	ds_read_b128 v[2:5], v69 offset:16
	ds_read_b128 v[6:9], v68 offset:16
	ds_read_b128 v[10:13], v68 offset:8720
	ds_read_b128 v[88:91], v69 offset:272
	s_waitcnt lgkmcnt(2)
	;;#ASMSTART
	v_dot2_f32_f16 v18, v6, v2, v18
	;;#ASMEND
	;;#ASMSTART
	v_dot2_f32_f16 v18, v7, v3, v18
	;;#ASMEND
	;;#ASMSTART
	v_dot2_f32_f16 v18, v8, v4, v18
	;;#ASMEND
	;;#ASMSTART
	v_dot2_f32_f16 v18, v9, v5, v18
	;;#ASMEND
	s_waitcnt lgkmcnt(0)
	;;#ASMSTART
	v_dot2_f32_f16 v44, v6, v88, v44
	;;#ASMEND
	;;#ASMSTART
	v_dot2_f32_f16 v44, v7, v89, v44
	;;#ASMEND
	;;#ASMSTART
	v_dot2_f32_f16 v44, v8, v90, v44
	;;#ASMEND
	;;#ASMSTART
	v_dot2_f32_f16 v44, v9, v91, v44
	;;#ASMEND
	;;#ASMSTART
	v_dot2_f32_f16 v19, v10, v2, v19
	;;#ASMEND
	;;#ASMSTART
	v_dot2_f32_f16 v19, v11, v3, v19
	;;#ASMEND
	;;#ASMSTART
	v_dot2_f32_f16 v19, v12, v4, v19
	;;#ASMEND
	;;#ASMSTART
	v_dot2_f32_f16 v19, v13, v5, v19
	;;#ASMEND
	;;#ASMSTART
	v_dot2_f32_f16 v45, v10, v88, v45
	;;#ASMEND
	;;#ASMSTART
	v_dot2_f32_f16 v45, v11, v89, v45
	;;#ASMEND
	;;#ASMSTART
	v_dot2_f32_f16 v45, v12, v90, v45
	;;#ASMEND
	;;#ASMSTART
	v_dot2_f32_f16 v45, v13, v91, v45
	;;#ASMEND
	ds_read_b128 v[2:5], v69 offset:32
	ds_read_b128 v[6:9], v68 offset:32
	ds_read_b128 v[10:13], v68 offset:8736
	ds_read_b128 v[88:91], v69 offset:288
	s_waitcnt lgkmcnt(2)
	;;#ASMSTART
	v_dot2_f32_f16 v18, v6, v2, v18
	;;#ASMEND
	;;#ASMSTART
	v_dot2_f32_f16 v18, v7, v3, v18
	;;#ASMEND
	;;#ASMSTART
	v_dot2_f32_f16 v18, v8, v4, v18
	;;#ASMEND
	;;#ASMSTART
	v_dot2_f32_f16 v18, v9, v5, v18
	;;#ASMEND
	s_waitcnt lgkmcnt(0)
	;;#ASMSTART
	v_dot2_f32_f16 v44, v6, v88, v44
	;;#ASMEND
	;;#ASMSTART
	v_dot2_f32_f16 v44, v7, v89, v44
	;;#ASMEND
	;;#ASMSTART
	v_dot2_f32_f16 v44, v8, v90, v44
	;;#ASMEND
	;;#ASMSTART
	v_dot2_f32_f16 v44, v9, v91, v44
	;;#ASMEND
	;;#ASMSTART
	v_dot2_f32_f16 v19, v10, v2, v19
	;;#ASMEND
	;;#ASMSTART
	v_dot2_f32_f16 v19, v11, v3, v19
	;;#ASMEND
	;; [unrolled: 54-line block ×15, first 2 shown]
	;;#ASMSTART
	v_dot2_f32_f16 v19, v12, v4, v19
	;;#ASMEND
	;;#ASMSTART
	v_dot2_f32_f16 v19, v13, v5, v19
	;;#ASMEND
	;; [unrolled: 3-line block ×6, first 2 shown]
	flat_load_ushort v88, v[0:1] offset:64
	flat_load_ushort v89, v[0:1]
	s_addc_u32 s19, s41, s19
	v_mov_b32_e32 v47, s19
	v_mov_b32_e32 v49, s19
	;; [unrolled: 1-line block ×4, first 2 shown]
	v_addc_co_u32_e64 v14, s[0:1], v47, v35, s[0:1]
	v_addc_co_u32_e64 v15, s[0:1], v49, v37, s[2:3]
	;; [unrolled: 1-line block ×5, first 2 shown]
	v_addc_co_u32_e32 v47, vcc, 0, v15, vcc
	v_addc_co_u32_e64 v49, vcc, 0, v49, s[12:13]
	v_addc_co_u32_e64 v53, vcc, 0, v53, s[14:15]
	s_waitcnt lgkmcnt(0)
	s_barrier
	global_load_dwordx4 v[0:3], v[50:51], off
	global_load_dwordx4 v[4:7], v[46:47], off
	;; [unrolled: 1-line block ×4, first 2 shown]
	s_waitcnt vmcnt(0)
	v_cvt_f32_f16_e32 v47, v88
	v_cvt_f32_f16_e32 v46, v89
	v_pk_add_f32 v[48:49], v[44:45], v[46:47]
	v_pk_add_f32 v[18:19], v[18:19], v[46:47]
	v_mov_b32_e32 v44, v18
	v_mov_b32_e32 v45, v48
	;; [unrolled: 1-line block ×4, first 2 shown]
	v_pk_add_f32 v[44:45], v[44:45], s[6:7] op_sel_hi:[1,0]
	v_pk_add_f32 v[46:47], v[46:47], s[6:7] op_sel_hi:[1,0]
	v_max3_f32 v44, v42, v44, v46
	v_max3_f32 v45, v43, v45, v47
	ds_bpermute_b32 v46, v87, v44
	ds_bpermute_b32 v47, v87, v45
	s_waitcnt lgkmcnt(1)
	v_max_f32_e32 v46, v46, v46
	s_waitcnt lgkmcnt(0)
	v_max_f32_e32 v47, v47, v47
	v_max_f32_e32 v44, v44, v46
	v_max_f32_e32 v45, v45, v47
	ds_bpermute_b32 v46, v98, v44
	ds_bpermute_b32 v47, v98, v45
	s_waitcnt lgkmcnt(1)
	v_max_f32_e32 v46, v46, v46
	s_waitcnt lgkmcnt(0)
	v_max_f32_e32 v47, v47, v47
	v_max_f32_e32 v44, v44, v46
	v_max_f32_e32 v45, v45, v47
	;; [unrolled: 8-line block ×5, first 2 shown]
	v_pk_add_f32 v[46:47], v[18:19], v[44:45] op_sel_hi:[1,0] neg_lo:[0,1] neg_hi:[0,1]
	v_mov_b32_e32 v50, v45
	v_mul_f32_e32 v51, 0x3fb8aa3b, v47
	v_pk_add_f32 v[18:19], v[42:43], v[44:45] neg_lo:[0,1] neg_hi:[0,1]
	v_mul_f32_e32 v52, 0x3fb8aa3b, v46
	v_pk_add_f32 v[48:49], v[48:49], v[50:51] op_sel_hi:[1,0] neg_lo:[0,1] neg_hi:[0,1]
	v_mul_f32_e32 v50, 0x3fb8aa3b, v19
	v_mul_f32_e32 v53, 0x3fb8aa3b, v18
	v_fma_f32 v87, v47, s31, -v51
	v_rndne_f32_e32 v88, v51
	v_fma_f32 v89, v46, s31, -v52
	v_rndne_f32_e32 v90, v52
	v_mul_f32_e32 v91, 0x3fb8aa3b, v49
	v_mul_f32_e32 v92, 0x3fb8aa3b, v48
	v_cmp_ngt_f32_e32 vcc, s43, v46
	v_cmp_ngt_f32_e64 s[8:9], s43, v47
	v_cmp_nlt_f32_e64 s[10:11], s46, v46
	v_cmp_nlt_f32_e64 s[16:17], s46, v47
	v_fma_f32 v93, v19, s31, -v50
	v_rndne_f32_e32 v94, v50
	v_fma_f32 v95, v18, s31, -v53
	v_rndne_f32_e32 v96, v53
	v_fmac_f32_e32 v87, 0x32a5705f, v47
	v_sub_f32_e32 v47, v51, v88
	v_cvt_i32_f32_e32 v51, v88
	v_fmac_f32_e32 v89, 0x32a5705f, v46
	v_sub_f32_e32 v46, v52, v90
	v_cvt_i32_f32_e32 v52, v90
	v_fma_f32 v88, v49, s31, -v91
	v_rndne_f32_e32 v90, v91
	v_fma_f32 v97, v48, s31, -v92
	v_rndne_f32_e32 v98, v92
	v_cmp_ngt_f32_e64 s[0:1], s43, v19
	v_cmp_ngt_f32_e64 s[2:3], s43, v18
	v_cmp_nlt_f32_e64 s[12:13], s46, v19
	v_cmp_nlt_f32_e64 s[14:15], s46, v18
	v_cmp_ngt_f32_e64 s[18:19], s43, v49
	v_cmp_ngt_f32_e64 s[20:21], s43, v48
	v_cmp_nlt_f32_e64 s[22:23], s46, v48
	v_cmp_nlt_f32_e64 s[24:25], s46, v49
	v_fmac_f32_e32 v93, 0x32a5705f, v19
	v_sub_f32_e32 v19, v50, v94
	v_fmac_f32_e32 v95, 0x32a5705f, v18
	v_sub_f32_e32 v18, v53, v96
	v_add_f32_e32 v47, v47, v87
	v_fmac_f32_e32 v88, 0x32a5705f, v49
	v_sub_f32_e32 v49, v91, v90
	v_fmac_f32_e32 v97, 0x32a5705f, v48
	v_sub_f32_e32 v48, v92, v98
	v_add_f32_e32 v46, v46, v89
	v_add_f32_e32 v19, v19, v93
	;; [unrolled: 1-line block ×3, first 2 shown]
	v_exp_f32_e32 v47, v47
	v_add_f32_e32 v49, v49, v88
	v_add_f32_e32 v48, v48, v97
	v_cvt_i32_f32_e32 v50, v94
	v_cvt_i32_f32_e32 v53, v96
	;; [unrolled: 1-line block ×4, first 2 shown]
	v_exp_f32_e32 v46, v46
	v_exp_f32_e32 v19, v19
	;; [unrolled: 1-line block ×5, first 2 shown]
	v_ldexp_f32 v47, v47, v51
	v_ldexp_f32 v46, v46, v52
	;; [unrolled: 1-line block ×4, first 2 shown]
	v_cndmask_b32_e64 v47, 0, v47, s[8:9]
	v_ldexp_f32 v49, v49, v87
	v_ldexp_f32 v48, v48, v89
	v_cndmask_b32_e32 v46, 0, v46, vcc
	v_cndmask_b32_e64 v19, 0, v19, s[0:1]
	v_cndmask_b32_e64 v50, 0, v18, s[2:3]
	;; [unrolled: 1-line block ×10, first 2 shown]
	v_cvt_f16_f32_e32 v52, v46
	v_cvt_f16_f32_e32 v53, v18
	v_pk_add_f32 v[50:51], v[46:47], v[18:19]
	v_cvt_f16_f32_e32 v18, v47
	v_cvt_f16_f32_e32 v19, v19
	;; [unrolled: 1-line block ×4, first 2 shown]
	v_pack_b32_f16 v18, v52, v18
	v_pack_b32_f16 v19, v53, v19
	v_pk_fma_f32 v[22:23], v[22:23], v[48:49], v[50:51]
	v_pk_mul_f16 v17, v248, v17 op_sel_hi:[0,1]
	ds_write2_b32 v79, v18, v19 offset1:32
	ds_write_b128 v71, v[0:3]
	ds_write_b128 v72, v[4:7]
	;; [unrolled: 1-line block ×4, first 2 shown]
	s_waitcnt lgkmcnt(0)
	s_barrier
	ds_read2_b64 v[46:49], v75 offset1:32
	ds_read_b128 v[50:53], v70
	ds_read_b128 v[88:91], v70 offset:16
	ds_read_b128 v[92:95], v70 offset:32
	ds_read_b128 v[96:99], v70 offset:48
	ds_read2_b64 v[100:103], v75 offset0:64 offset1:96
	ds_read2_b64 v[104:107], v75 offset0:128 offset1:160
	;; [unrolled: 1-line block ×3, first 2 shown]
	ds_read2_b64 v[112:115], v80 offset1:32
	ds_read2_b64 v[116:119], v80 offset0:64 offset1:96
	ds_read2_b64 v[120:123], v80 offset0:128 offset1:160
	;; [unrolled: 1-line block ×3, first 2 shown]
	ds_read2_b64 v[128:131], v81 offset1:32
	ds_read2_b64 v[132:135], v81 offset0:64 offset1:96
	ds_read2_b64 v[136:139], v81 offset0:128 offset1:160
	ds_read_b128 v[140:143], v70 offset:64
	ds_read_b128 v[144:147], v70 offset:80
	ds_read2_b64 v[148:151], v81 offset0:192 offset1:224
	ds_read2_b64 v[152:155], v82 offset1:32
	ds_read2_b64 v[156:159], v82 offset0:64 offset1:96
	ds_read2_b64 v[160:163], v82 offset0:128 offset1:160
	ds_read_b128 v[164:167], v70 offset:96
	ds_read_b128 v[168:171], v70 offset:112
	ds_read2_b64 v[172:175], v82 offset0:192 offset1:224
	ds_read2_b64 v[176:179], v83 offset1:32
	ds_read2_b64 v[180:183], v83 offset0:64 offset1:96
	ds_read2_b64 v[184:187], v83 offset0:128 offset1:160
	ds_read_b128 v[188:191], v70 offset:128
	ds_read_b128 v[192:195], v70 offset:144
	ds_read2_b64 v[196:199], v83 offset0:192 offset1:224
	ds_read2_b64 v[200:203], v84 offset1:32
	ds_read2_b64 v[204:207], v84 offset0:64 offset1:96
	ds_read2_b64 v[208:211], v84 offset0:128 offset1:160
	ds_read_b128 v[212:215], v70 offset:160
	ds_read_b128 v[216:219], v70 offset:176
	ds_read2_b64 v[220:223], v84 offset0:192 offset1:224
	ds_read2_b64 v[224:227], v85 offset1:32
	ds_read2_b64 v[228:231], v85 offset0:64 offset1:96
	ds_read2_b64 v[232:235], v85 offset0:128 offset1:160
	ds_read_b128 v[236:239], v70 offset:192
	ds_read_b128 v[240:243], v70 offset:208
	ds_read2_b64 v[244:247], v85 offset0:192 offset1:224
	ds_read2_b64 v[8:11], v86 offset1:32
	ds_read2_b64 v[4:7], v86 offset0:64 offset1:96
	ds_read2_b64 v[0:3], v86 offset0:128 offset1:160
	s_waitcnt lgkmcnt(14)
	v_pk_mul_f16 v12, v47, v50 op_sel_hi:[1,0]
	v_pk_mul_f16 v18, v46, v50 op_sel_hi:[1,0]
	v_pk_mul_f16 v19, v46, v50 op_sel:[0,1]
	v_pk_fma_f16 v16, v87, v16, v12 op_sel_hi:[0,1,1]
	v_pk_fma_f16 v18, v87, v65, v18 op_sel_hi:[0,1,1]
	v_pk_fma_f16 v17, v47, v50, v17 op_sel:[0,1,0]
	v_pk_fma_f16 v19, v248, v57, v19 op_sel_hi:[0,1,1]
	v_pk_fma_f16 v46, v49, v51, v17 op_sel:[0,1,0]
	;; [unrolled: 2-line block ×79, first 2 shown]
	v_pk_fma_f16 v53, v199, v195, v53 op_sel_hi:[1,0,1]
	s_waitcnt lgkmcnt(11)
	v_pk_fma_f16 v50, v201, v212, v50 op_sel:[0,1,0]
	v_pk_fma_f16 v51, v200, v212, v51 op_sel_hi:[1,0,1]
	v_pk_fma_f16 v52, v200, v212, v52 op_sel:[0,1,0]
	v_pk_fma_f16 v53, v201, v212, v53 op_sel_hi:[1,0,1]
	;; [unrolled: 2-line block ×8, first 2 shown]
	s_waitcnt lgkmcnt(10)
	v_pk_fma_f16 v50, v209, v216, v50 op_sel:[0,1,0]
	v_pk_fma_f16 v51, v208, v216, v51 op_sel_hi:[1,0,1]
	v_pk_fma_f16 v52, v208, v216, v52 op_sel:[0,1,0]
	v_pk_fma_f16 v53, v209, v216, v53 op_sel_hi:[1,0,1]
	v_pk_fma_f16 v50, v211, v217, v50 op_sel:[0,1,0]
	v_pk_fma_f16 v51, v210, v217, v51 op_sel_hi:[1,0,1]
	v_pk_fma_f16 v52, v210, v217, v52 op_sel:[0,1,0]
	v_pk_fma_f16 v53, v211, v217, v53 op_sel_hi:[1,0,1]
	s_waitcnt lgkmcnt(9)
	v_pk_fma_f16 v50, v221, v218, v50 op_sel:[0,1,0]
	v_pk_fma_f16 v51, v220, v218, v51 op_sel_hi:[1,0,1]
	v_pk_fma_f16 v52, v220, v218, v52 op_sel:[0,1,0]
	v_pk_fma_f16 v53, v221, v218, v53 op_sel_hi:[1,0,1]
	v_pk_fma_f16 v50, v223, v219, v50 op_sel:[0,1,0]
	v_pk_fma_f16 v51, v222, v219, v51 op_sel_hi:[1,0,1]
	v_pk_fma_f16 v52, v222, v219, v52 op_sel:[0,1,0]
	v_pk_fma_f16 v53, v223, v219, v53 op_sel_hi:[1,0,1]
	;; [unrolled: 9-line block ×3, first 2 shown]
	v_pk_fma_f16 v50, v229, v238, v50 op_sel:[0,1,0]
	v_pk_fma_f16 v51, v228, v238, v51 op_sel_hi:[1,0,1]
	v_pk_fma_f16 v52, v228, v238, v52 op_sel:[0,1,0]
	v_pk_fma_f16 v53, v229, v238, v53 op_sel_hi:[1,0,1]
	ds_read_b128 v[12:15], v70 offset:224
	ds_read_b128 v[16:19], v70 offset:240
	v_pk_fma_f16 v50, v231, v239, v50 op_sel:[0,1,0]
	v_pk_fma_f16 v51, v230, v239, v51 op_sel_hi:[1,0,1]
	v_pk_fma_f16 v52, v230, v239, v52 op_sel:[0,1,0]
	v_pk_fma_f16 v53, v231, v239, v53 op_sel_hi:[1,0,1]
	s_waitcnt lgkmcnt(6)
	v_pk_fma_f16 v50, v233, v240, v50 op_sel:[0,1,0]
	v_pk_fma_f16 v51, v232, v240, v51 op_sel_hi:[1,0,1]
	v_pk_fma_f16 v52, v232, v240, v52 op_sel:[0,1,0]
	v_pk_fma_f16 v53, v233, v240, v53 op_sel_hi:[1,0,1]
	;; [unrolled: 2-line block ×4, first 2 shown]
	s_waitcnt lgkmcnt(5)
	v_pk_fma_f16 v50, v245, v242, v50 op_sel:[0,1,0]
	v_pk_fma_f16 v51, v244, v242, v51 op_sel_hi:[1,0,1]
	v_pk_fma_f16 v52, v244, v242, v52 op_sel:[0,1,0]
	v_pk_fma_f16 v53, v245, v242, v53 op_sel_hi:[1,0,1]
	;; [unrolled: 2-line block ×4, first 2 shown]
	ds_read2_b64 v[46:49], v86 offset0:192 offset1:224
	s_waitcnt lgkmcnt(0)
	s_barrier
	s_load_dword s0, s[34:35], 0x4
	v_pk_fma_f16 v50, v9, v12, v50 op_sel:[0,1,0]
	v_pk_fma_f16 v51, v8, v12, v51 op_sel_hi:[1,0,1]
	v_pk_fma_f16 v8, v8, v12, v52 op_sel:[0,1,0]
	v_pk_fma_f16 v9, v9, v12, v53 op_sel_hi:[1,0,1]
	;; [unrolled: 2-line block ×10, first 2 shown]
	s_waitcnt lgkmcnt(0)
	s_lshl_b32 s0, s0, 6
	v_pk_fma_f16 v4, v3, v17, v6 op_sel:[0,1,0]
	v_pk_fma_f16 v5, v2, v17, v7 op_sel_hi:[1,0,1]
	v_pk_fma_f16 v0, v2, v17, v0 op_sel:[0,1,0]
	v_pk_fma_f16 v1, v3, v17, v1 op_sel_hi:[1,0,1]
	s_add_i32 s36, s0, s36
	v_pk_fma_f16 v2, v47, v18, v4 op_sel:[0,1,0]
	v_pk_fma_f16 v3, v46, v18, v5 op_sel_hi:[1,0,1]
	v_pk_fma_f16 v0, v46, v18, v0 op_sel:[0,1,0]
	v_pk_fma_f16 v1, v47, v18, v1 op_sel_hi:[1,0,1]
	v_mov_b32_e32 v42, v44
	v_mov_b32_e32 v43, v45
	s_cmp_ge_i32 s36, s28
	v_pk_fma_f16 v17, v49, v19, v2 op_sel:[0,1,0]
	v_pk_fma_f16 v65, v48, v19, v3 op_sel_hi:[1,0,1]
	v_pk_fma_f16 v57, v48, v19, v0 op_sel:[0,1,0]
	v_pk_fma_f16 v16, v49, v19, v1 op_sel_hi:[1,0,1]
	s_cbranch_scc0 .LBB9_9
.LBB9_10:
	v_cmp_lt_i32_e32 vcc, v62, v56
	v_cndmask_b32_e32 v0, v25, v62, vcc
	v_lshlrev_b32_e32 v1, 2, v0
	ds_bpermute_b32 v0, v1, v22
	ds_bpermute_b32 v1, v1, v23
	v_cmp_lt_i32_e32 vcc, v61, v56
	v_cndmask_b32_e32 v2, v25, v61, vcc
	v_lshlrev_b32_e32 v3, 2, v2
	v_cmp_lt_i32_e32 vcc, v60, v56
	s_waitcnt lgkmcnt(0)
	v_pk_add_f32 v[0:1], v[22:23], v[0:1]
	ds_bpermute_b32 v2, v3, v0
	ds_bpermute_b32 v3, v3, v1
	v_cndmask_b32_e32 v4, v25, v60, vcc
	v_lshlrev_b32_e32 v4, 2, v4
	v_cmp_lt_i32_e32 vcc, v59, v56
	s_cmp_lg_u64 s[44:45], 0
	s_waitcnt lgkmcnt(0)
	v_pk_add_f32 v[0:1], v[0:1], v[2:3]
	ds_bpermute_b32 v2, v4, v0
	ds_bpermute_b32 v3, v4, v1
	v_cndmask_b32_e32 v4, v25, v59, vcc
	v_lshlrev_b32_e32 v4, 2, v4
	v_cmp_lt_i32_e32 vcc, v58, v56
	s_cselect_b64 s[0:1], -1, 0
	s_waitcnt lgkmcnt(0)
	v_pk_add_f32 v[0:1], v[0:1], v[2:3]
	ds_bpermute_b32 v2, v4, v0
	ds_bpermute_b32 v3, v4, v1
	v_cndmask_b32_e32 v4, v25, v58, vcc
	v_lshlrev_b32_e32 v4, 2, v4
	s_cmp_eq_u32 s7, 0
	s_cselect_b64 s[2:3], -1, 0
	s_waitcnt lgkmcnt(0)
	v_pk_add_f32 v[0:1], v[0:1], v[2:3]
	ds_bpermute_b32 v2, v4, v0
	ds_bpermute_b32 v3, v4, v1
	s_and_b64 s[0:1], s[2:3], s[0:1]
	s_and_b64 vcc, exec, s[0:1]
	s_waitcnt lgkmcnt(0)
	v_pk_add_f32 v[0:1], v[0:1], v[2:3]
	s_cbranch_vccz .LBB9_12
; %bb.11:
	v_add_u32_e32 v2, s29, v54
	v_ashrrev_i32_e32 v3, 31, v2
	v_lshlrev_b64 v[2:3], 2, v[2:3]
	v_mov_b32_e32 v4, s45
	v_add_co_u32_e32 v2, vcc, s44, v2
	v_addc_co_u32_e32 v3, vcc, v4, v3, vcc
	global_load_dwordx2 v[2:3], v[2:3], off
	v_max_f32_e32 v4, v45, v45
	v_max_f32_e32 v6, v44, v44
	s_mov_b32 s0, 0x3fb8aa3b
	s_mov_b32 s1, 0xc2ce8ed0
	;; [unrolled: 1-line block ×3, first 2 shown]
	v_mov_b32_e32 v8, 0x7f800000
	s_waitcnt vmcnt(0)
	v_max_f32_e32 v5, v3, v3
	v_max_f32_e32 v7, v2, v2
	;; [unrolled: 1-line block ×4, first 2 shown]
	v_pk_add_f32 v[6:7], v[44:45], v[4:5] neg_lo:[0,1] neg_hi:[0,1]
	v_mul_f32_e32 v9, 0x3fb8aa3b, v7
	v_pk_add_f32 v[2:3], v[2:3], v[4:5] neg_lo:[0,1] neg_hi:[0,1]
	v_mul_f32_e32 v10, 0x3fb8aa3b, v6
	v_fma_f32 v13, v7, s0, -v9
	v_rndne_f32_e32 v14, v9
	v_mul_f32_e32 v11, 0x3fb8aa3b, v3
	v_fma_f32 v15, v6, s0, -v10
	v_rndne_f32_e32 v18, v10
	v_fmac_f32_e32 v13, 0x32a5705f, v7
	v_sub_f32_e32 v9, v9, v14
	v_mul_f32_e32 v12, 0x3fb8aa3b, v2
	v_fma_f32 v19, v3, s0, -v11
	v_rndne_f32_e32 v22, v11
	v_fmac_f32_e32 v15, 0x32a5705f, v6
	v_sub_f32_e32 v10, v10, v18
	v_add_f32_e32 v9, v9, v13
	v_fma_f32 v23, v2, s0, -v12
	v_rndne_f32_e32 v24, v12
	v_cvt_i32_f32_e32 v14, v14
	v_fmac_f32_e32 v19, 0x32a5705f, v3
	v_sub_f32_e32 v11, v11, v22
	v_add_f32_e32 v10, v10, v15
	v_exp_f32_e32 v9, v9
	v_cvt_i32_f32_e32 v18, v18
	v_fmac_f32_e32 v23, 0x32a5705f, v2
	v_sub_f32_e32 v12, v12, v24
	v_add_f32_e32 v11, v11, v19
	v_exp_f32_e32 v10, v10
	v_cvt_i32_f32_e32 v22, v22
	v_add_f32_e32 v12, v12, v23
	v_exp_f32_e32 v11, v11
	v_cvt_i32_f32_e32 v24, v24
	v_exp_f32_e32 v12, v12
	v_ldexp_f32 v9, v9, v14
	v_cmp_ngt_f32_e32 vcc, s1, v7
	v_ldexp_f32 v10, v10, v18
	v_cndmask_b32_e32 v9, 0, v9, vcc
	v_cmp_ngt_f32_e32 vcc, s1, v6
	v_ldexp_f32 v11, v11, v22
	v_cndmask_b32_e32 v10, 0, v10, vcc
	v_cmp_ngt_f32_e32 vcc, s1, v3
	v_ldexp_f32 v12, v12, v24
	v_cndmask_b32_e32 v11, 0, v11, vcc
	v_cmp_ngt_f32_e32 vcc, s1, v2
	v_cndmask_b32_e32 v12, 0, v12, vcc
	v_cmp_nlt_f32_e32 vcc, s2, v7
	v_cndmask_b32_e32 v7, v8, v9, vcc
	v_cmp_nlt_f32_e32 vcc, s2, v6
	;; [unrolled: 2-line block ×4, first 2 shown]
	v_cvt_f16_f32_e32 v9, v6
	v_cndmask_b32_e32 v2, v8, v12, vcc
	v_cvt_f16_f32_e32 v8, v7
	v_pk_fma_f32 v[0:1], v[0:1], v[6:7], v[2:3]
	v_pk_mul_f16 v65, v9, v65 op_sel_hi:[0,1]
	v_pk_mul_f16 v16, v9, v16 op_sel_hi:[0,1]
	;; [unrolled: 1-line block ×4, first 2 shown]
	v_pk_mov_b32 v[44:45], v[4:5], v[4:5] op_sel:[0,1]
.LBB9_12:
	v_cmp_gt_i32_e32 vcc, s26, v21
	s_and_saveexec_b64 s[0:1], vcc
	s_cbranch_execz .LBB9_21
; %bb.13:
	s_load_dword s6, s[4:5], 0xd4
	v_mov_b32_e32 v4, 1.0
	s_waitcnt lgkmcnt(0)
	s_cmp_lg_u32 s6, 1
	s_cselect_b64 s[0:1], -1, 0
	s_cmp_eq_u32 s6, 1
	s_cselect_b64 s[2:3], -1, 0
	s_and_b64 vcc, exec, s[0:1]
	s_cbranch_vccnz .LBB9_15
; %bb.14:
	v_div_scale_f32 v2, s[4:5], v0, v0, 1.0
	v_rcp_f32_e32 v3, v2
	v_div_scale_f32 v4, vcc, 1.0, v0, 1.0
	v_fma_f32 v5, -v2, v3, 1.0
	v_fmac_f32_e32 v3, v5, v3
	v_mul_f32_e32 v5, v4, v3
	v_fma_f32 v6, -v2, v5, v4
	v_fmac_f32_e32 v5, v6, v3
	v_fma_f32 v2, -v2, v5, v4
	v_div_fmas_f32 v2, v2, v3, v5
	v_div_fixup_f32 v4, v2, v0, 1.0
.LBB9_15:
	s_mul_i32 s33, s33, s26
	v_add_u32_e32 v2, s33, v21
	v_mul_lo_u32 v2, v2, s27
	v_add3_u32 v2, s29, v54, v2
	v_mul_lo_u32 v2, s6, v2
	v_add_u32_e32 v2, s7, v2
	v_cvt_f32_f16_sdwa v9, v65 dst_sel:DWORD dst_unused:UNUSED_PAD src0_sel:WORD_1
	v_cvt_f32_f16_e32 v8, v65
	v_cvt_f32_f16_sdwa v11, v16 dst_sel:DWORD dst_unused:UNUSED_PAD src0_sel:WORD_1
	v_cvt_f32_f16_e32 v10, v16
	v_lshl_add_u32 v6, v2, 7, v55
	v_mov_b32_e32 v7, 0
	v_cmp_eq_u32_e32 vcc, 0, v20
	v_lshlrev_b64 v[6:7], 2, v[6:7]
	s_and_b64 s[0:1], vcc, s[0:1]
	v_mov_b32_e32 v3, s49
	v_add_co_u32_e32 v12, vcc, s48, v6
	v_addc_co_u32_e32 v13, vcc, v3, v7, vcc
	v_pk_mul_f32 v[6:7], v[4:5], v[8:9] op_sel_hi:[0,1]
	v_pk_mul_f32 v[8:9], v[4:5], v[10:11] op_sel_hi:[0,1]
	global_store_dwordx4 v[12:13], v[6:9], off
	s_and_saveexec_b64 s[4:5], s[0:1]
	s_cbranch_execz .LBB9_17
; %bb.16:
	v_ashrrev_i32_e32 v3, 31, v2
	v_lshlrev_b64 v[4:5], 3, v[2:3]
	v_mov_b32_e32 v3, s51
	v_add_co_u32_e32 v4, vcc, s50, v4
	v_addc_co_u32_e32 v5, vcc, v3, v5, vcc
	v_mov_b32_e32 v6, v44
	v_mov_b32_e32 v7, v0
	global_store_dwordx2 v[4:5], v[6:7], off
.LBB9_17:
	s_or_b64 exec, exec, s[4:5]
	s_andn2_b64 vcc, exec, s[2:3]
	v_mov_b32_e32 v0, 1.0
	s_cbranch_vccnz .LBB9_19
; %bb.18:
	v_div_scale_f32 v0, s[2:3], v1, v1, 1.0
	v_rcp_f32_e32 v3, v0
	v_div_scale_f32 v4, vcc, 1.0, v1, 1.0
	v_fma_f32 v5, -v0, v3, 1.0
	v_fmac_f32_e32 v3, v5, v3
	v_mul_f32_e32 v5, v4, v3
	v_fma_f32 v6, -v0, v5, v4
	v_fmac_f32_e32 v5, v6, v3
	v_fma_f32 v0, -v0, v5, v4
	v_div_fmas_f32 v0, v0, v3, v5
	v_div_fixup_f32 v0, v0, v1, 1.0
.LBB9_19:
	v_add_u32_e32 v2, s6, v2
	v_cvt_f32_f16_sdwa v7, v57 dst_sel:DWORD dst_unused:UNUSED_PAD src0_sel:WORD_1
	v_cvt_f32_f16_e32 v6, v57
	v_cvt_f32_f16_sdwa v9, v17 dst_sel:DWORD dst_unused:UNUSED_PAD src0_sel:WORD_1
	v_cvt_f32_f16_e32 v8, v17
	v_lshl_add_u32 v4, v2, 7, v55
	v_mov_b32_e32 v5, 0
	v_lshlrev_b64 v[4:5], 2, v[4:5]
	v_mov_b32_e32 v3, s49
	v_add_co_u32_e32 v10, vcc, s48, v4
	v_addc_co_u32_e32 v11, vcc, v3, v5, vcc
	v_pk_mul_f32 v[4:5], v[0:1], v[6:7] op_sel_hi:[0,1]
	v_pk_mul_f32 v[6:7], v[0:1], v[8:9] op_sel_hi:[0,1]
	global_store_dwordx4 v[10:11], v[4:7], off
	s_and_b64 exec, exec, s[0:1]
	s_cbranch_execz .LBB9_21
; %bb.20:
	v_ashrrev_i32_e32 v3, 31, v2
	v_lshlrev_b64 v[2:3], 3, v[2:3]
	v_mov_b32_e32 v0, s51
	v_add_co_u32_e32 v2, vcc, s50, v2
	v_addc_co_u32_e32 v3, vcc, v0, v3, vcc
	v_mov_b32_e32 v0, v45
	global_store_dwordx2 v[2:3], v[0:1], off
.LBB9_21:
	s_endpgm
	.section	.rodata,"a",@progbits
	.p2align	6, 0x0
	.amdhsa_kernel _ZL15flash_attn_tileILi128ELi128ELi2ELi8ELb0EEvPKcS1_S1_S1_S1_PKiPfP15HIP_vector_typeIfLj2EEffffjfiS5_IjLj3EEiiiiiiiiiiiliiliiiiil
		.amdhsa_group_segment_fixed_size 23552
		.amdhsa_private_segment_fixed_size 0
		.amdhsa_kernarg_size 464
		.amdhsa_user_sgpr_count 6
		.amdhsa_user_sgpr_private_segment_buffer 1
		.amdhsa_user_sgpr_dispatch_ptr 0
		.amdhsa_user_sgpr_queue_ptr 0
		.amdhsa_user_sgpr_kernarg_segment_ptr 1
		.amdhsa_user_sgpr_dispatch_id 0
		.amdhsa_user_sgpr_flat_scratch_init 0
		.amdhsa_user_sgpr_kernarg_preload_length 0
		.amdhsa_user_sgpr_kernarg_preload_offset 0
		.amdhsa_user_sgpr_private_segment_size 0
		.amdhsa_uses_dynamic_stack 0
		.amdhsa_system_sgpr_private_segment_wavefront_offset 0
		.amdhsa_system_sgpr_workgroup_id_x 1
		.amdhsa_system_sgpr_workgroup_id_y 1
		.amdhsa_system_sgpr_workgroup_id_z 1
		.amdhsa_system_sgpr_workgroup_info 0
		.amdhsa_system_vgpr_workitem_id 1
		.amdhsa_next_free_vgpr 249
		.amdhsa_next_free_sgpr 52
		.amdhsa_accum_offset 252
		.amdhsa_reserve_vcc 1
		.amdhsa_reserve_flat_scratch 0
		.amdhsa_float_round_mode_32 0
		.amdhsa_float_round_mode_16_64 0
		.amdhsa_float_denorm_mode_32 3
		.amdhsa_float_denorm_mode_16_64 3
		.amdhsa_dx10_clamp 1
		.amdhsa_ieee_mode 1
		.amdhsa_fp16_overflow 0
		.amdhsa_tg_split 0
		.amdhsa_exception_fp_ieee_invalid_op 0
		.amdhsa_exception_fp_denorm_src 0
		.amdhsa_exception_fp_ieee_div_zero 0
		.amdhsa_exception_fp_ieee_overflow 0
		.amdhsa_exception_fp_ieee_underflow 0
		.amdhsa_exception_fp_ieee_inexact 0
		.amdhsa_exception_int_div_zero 0
	.end_amdhsa_kernel
	.section	.text._ZL15flash_attn_tileILi128ELi128ELi2ELi8ELb0EEvPKcS1_S1_S1_S1_PKiPfP15HIP_vector_typeIfLj2EEffffjfiS5_IjLj3EEiiiiiiiiiiiliiliiiiil,"axG",@progbits,_ZL15flash_attn_tileILi128ELi128ELi2ELi8ELb0EEvPKcS1_S1_S1_S1_PKiPfP15HIP_vector_typeIfLj2EEffffjfiS5_IjLj3EEiiiiiiiiiiiliiliiiiil,comdat
.Lfunc_end9:
	.size	_ZL15flash_attn_tileILi128ELi128ELi2ELi8ELb0EEvPKcS1_S1_S1_S1_PKiPfP15HIP_vector_typeIfLj2EEffffjfiS5_IjLj3EEiiiiiiiiiiiliiliiiiil, .Lfunc_end9-_ZL15flash_attn_tileILi128ELi128ELi2ELi8ELb0EEvPKcS1_S1_S1_S1_PKiPfP15HIP_vector_typeIfLj2EEffffjfiS5_IjLj3EEiiiiiiiiiiiliiliiiiil
                                        ; -- End function
	.section	.AMDGPU.csdata,"",@progbits
; Kernel info:
; codeLenInByte = 9708
; NumSgprs: 56
; NumVgprs: 249
; NumAgprs: 0
; TotalNumVgprs: 249
; ScratchSize: 0
; MemoryBound: 0
; FloatMode: 240
; IeeeMode: 1
; LDSByteSize: 23552 bytes/workgroup (compile time only)
; SGPRBlocks: 6
; VGPRBlocks: 31
; NumSGPRsForWavesPerEU: 56
; NumVGPRsForWavesPerEU: 249
; AccumOffset: 252
; Occupancy: 2
; WaveLimiterHint : 1
; COMPUTE_PGM_RSRC2:SCRATCH_EN: 0
; COMPUTE_PGM_RSRC2:USER_SGPR: 6
; COMPUTE_PGM_RSRC2:TRAP_HANDLER: 0
; COMPUTE_PGM_RSRC2:TGID_X_EN: 1
; COMPUTE_PGM_RSRC2:TGID_Y_EN: 1
; COMPUTE_PGM_RSRC2:TGID_Z_EN: 1
; COMPUTE_PGM_RSRC2:TIDIG_COMP_CNT: 1
; COMPUTE_PGM_RSRC3_GFX90A:ACCUM_OFFSET: 62
; COMPUTE_PGM_RSRC3_GFX90A:TG_SPLIT: 0
	.section	.text._ZL25flash_attn_mask_to_KV_maxILi2EEvPK7__half2Piiii,"axG",@progbits,_ZL25flash_attn_mask_to_KV_maxILi2EEvPK7__half2Piiii,comdat
	.globl	_ZL25flash_attn_mask_to_KV_maxILi2EEvPK7__half2Piiii ; -- Begin function _ZL25flash_attn_mask_to_KV_maxILi2EEvPK7__half2Piiii
	.p2align	8
	.type	_ZL25flash_attn_mask_to_KV_maxILi2EEvPK7__half2Piiii,@function
_ZL25flash_attn_mask_to_KV_maxILi2EEvPK7__half2Piiii: ; @_ZL25flash_attn_mask_to_KV_maxILi2EEvPK7__half2Piiii
; %bb.0:
	s_load_dwordx4 s[8:11], s[4:5], 0x0
	v_cmp_gt_u32_e32 vcc, 32, v0
	s_and_saveexec_b64 s[0:1], vcc
	s_cbranch_execz .LBB10_2
; %bb.1:
	v_lshlrev_b32_e32 v1, 2, v0
	v_mov_b32_e32 v2, 1
	ds_write_b32 v1, v2
.LBB10_2:
	s_or_b64 exec, exec, s[0:1]
	s_load_dwordx4 s[12:15], s[4:5], 0x10
	s_load_dword s16, s[4:5], 0x20
	v_and_b32_e32 v2, 31, v0
	v_lshlrev_b32_e32 v4, 2, v2
	v_lshrrev_b32_e32 v1, 3, v0
	s_waitcnt lgkmcnt(0)
	s_mul_i32 s1, s6, s13
	s_mul_i32 s0, s7, s14
	s_lshl_b32 s1, s1, 1
	s_add_i32 s0, s0, s1
	s_ashr_i32 s1, s0, 31
	s_lshl_b64 s[0:1], s[0:1], 2
	s_add_u32 s17, s8, s0
	s_addc_u32 s18, s9, s1
	v_cmp_eq_u32_e64 s[0:1], 0, v2
	v_mbcnt_lo_u32_b32 v2, -1, 0
	v_mbcnt_hi_u32_b32 v5, -1, v2
	v_and_b32_e32 v2, 0x60, v5
	s_lshl_b32 s12, s12, 8
	s_mov_b64 s[4:5], 0
	v_mov_b32_e32 v3, 0
	s_movk_i32 s19, 0x204
	s_movk_i32 s20, 0x7fff
	;; [unrolled: 1-line block ×3, first 2 shown]
	v_add_u32_e32 v6, 32, v2
	v_xor_b32_e32 v7, 16, v5
	v_xor_b32_e32 v8, 8, v5
	;; [unrolled: 1-line block ×5, first 2 shown]
	s_barrier
	s_waitcnt lgkmcnt(0)
                                        ; implicit-def: $sgpr2_sgpr3
	s_branch .LBB10_5
.LBB10_3:                               ;   in Loop: Header=BB10_5 Depth=1
	s_or_b64 exec, exec, s[8:9]
	s_waitcnt lgkmcnt(0)
	s_barrier
	ds_read_b32 v16, v4
	s_waitcnt lgkmcnt(0)
	s_barrier
	ds_bpermute_b32 v2, v2, v16
	v_cmp_ne_u32_e32 vcc, 0, v16
	s_waitcnt lgkmcnt(0)
	v_cmp_ne_u32_e64 s[2:3], 0, v2
	s_and_b64 s[2:3], vcc, s[2:3]
	v_cndmask_b32_e64 v2, 0, 1, s[2:3]
	ds_bpermute_b32 v2, v12, v2
	s_waitcnt lgkmcnt(0)
	v_cmp_ne_u32_e32 vcc, 0, v2
	s_and_b64 s[2:3], vcc, s[2:3]
	v_cndmask_b32_e64 v2, 0, 1, s[2:3]
	ds_bpermute_b32 v2, v13, v2
	s_waitcnt lgkmcnt(0)
	v_cmp_ne_u32_e32 vcc, 0, v2
	;; [unrolled: 5-line block ×3, first 2 shown]
	s_and_b64 s[2:3], vcc, s[2:3]
	v_cndmask_b32_e64 v2, 0, 1, s[2:3]
	ds_bpermute_b32 v2, v15, v2
	s_xor_b64 s[2:3], s[2:3], -1
	s_waitcnt lgkmcnt(0)
	v_cmp_eq_u32_e32 vcc, 0, v2
	s_or_b64 s[2:3], vcc, s[2:3]
.LBB10_4:                               ;   in Loop: Header=BB10_5 Depth=1
	s_and_b64 s[8:9], exec, s[2:3]
	s_or_b64 s[4:5], s[8:9], s[4:5]
	v_mov_b32_e32 v2, s12
	s_mov_b32 s12, s22
	s_andn2_b64 exec, exec, s[4:5]
	s_cbranch_execz .LBB10_12
.LBB10_5:                               ; =>This Inner Loop Header: Depth=1
	s_add_i32 s22, s12, 0xffffff00
	s_or_b64 s[2:3], s[2:3], exec
	s_cmp_lt_i32 s22, 0
	s_cbranch_scc1 .LBB10_4
; %bb.6:                                ;   in Loop: Header=BB10_5 Depth=1
	s_lshr_b32 s2, s22, 1
	v_add_u32_e32 v2, s2, v0
	v_lshlrev_b64 v[12:13], 2, v[2:3]
	v_mov_b32_e32 v14, s18
	v_add_co_u32_e32 v12, vcc, s17, v12
	v_addc_co_u32_e32 v13, vcc, v14, v13, vcc
	global_load_dword v12, v[12:13], off
	s_mov_b64 s[8:9], 0
	s_waitcnt vmcnt(0)
	v_cmp_class_f16_e64 s[2:3], v12, s19
	v_and_b32_sdwa v12, s20, v12 dst_sel:DWORD dst_unused:UNUSED_PAD src0_sel:DWORD src1_sel:WORD_1
	v_cmp_eq_f16_e32 vcc, s21, v12
	s_and_b64 s[14:15], s[2:3], vcc
	s_and_saveexec_b64 s[2:3], s[14:15]
	s_cbranch_execz .LBB10_10
; %bb.7:                                ;   in Loop: Header=BB10_5 Depth=1
	v_add_u32_e32 v12, s13, v2
	v_ashrrev_i32_e32 v13, 31, v12
	v_lshlrev_b64 v[12:13], 2, v[12:13]
	v_mov_b32_e32 v2, s18
	v_add_co_u32_e32 v12, vcc, s17, v12
	v_addc_co_u32_e32 v13, vcc, v2, v13, vcc
	global_load_dword v2, v[12:13], off
	s_waitcnt vmcnt(0)
	v_cmp_class_f16_e64 s[24:25], v2, s19
	s_and_saveexec_b64 s[14:15], s[24:25]
; %bb.8:                                ;   in Loop: Header=BB10_5 Depth=1
	v_cmp_class_f16_sdwa s[8:9], v2, s19 src0_sel:WORD_1 src1_sel:DWORD
	s_and_b64 s[8:9], s[8:9], exec
; %bb.9:                                ;   in Loop: Header=BB10_5 Depth=1
	s_or_b64 exec, exec, s[14:15]
	s_and_b64 s[8:9], s[8:9], exec
.LBB10_10:                              ;   in Loop: Header=BB10_5 Depth=1
	s_or_b64 exec, exec, s[2:3]
	v_cmp_lt_i32_e32 vcc, v7, v6
	v_cndmask_b32_e32 v2, v5, v7, vcc
	v_cndmask_b32_e64 v12, 0, 1, s[8:9]
	v_lshlrev_b32_e32 v2, 2, v2
	ds_bpermute_b32 v12, v2, v12
	s_waitcnt lgkmcnt(0)
	v_cmp_ne_u32_e32 vcc, 0, v12
	s_and_b64 s[2:3], s[8:9], vcc
	v_cmp_lt_i32_e32 vcc, v8, v6
	v_cndmask_b32_e32 v12, v5, v8, vcc
	v_cndmask_b32_e64 v13, 0, 1, s[2:3]
	v_lshlrev_b32_e32 v12, 2, v12
	ds_bpermute_b32 v13, v12, v13
	s_waitcnt lgkmcnt(0)
	v_cmp_ne_u32_e32 vcc, 0, v13
	s_and_b64 s[2:3], vcc, s[2:3]
	v_cmp_lt_i32_e32 vcc, v9, v6
	v_cndmask_b32_e32 v13, v5, v9, vcc
	v_cndmask_b32_e64 v14, 0, 1, s[2:3]
	v_lshlrev_b32_e32 v13, 2, v13
	ds_bpermute_b32 v14, v13, v14
	s_waitcnt lgkmcnt(0)
	v_cmp_ne_u32_e32 vcc, 0, v14
	s_and_b64 s[2:3], vcc, s[2:3]
	;; [unrolled: 8-line block ×3, first 2 shown]
	v_cmp_lt_i32_e32 vcc, v11, v6
	v_cndmask_b32_e32 v15, v5, v11, vcc
	v_cndmask_b32_e64 v16, 0, 1, s[2:3]
	v_lshlrev_b32_e32 v15, 2, v15
	ds_bpermute_b32 v16, v15, v16
	s_and_saveexec_b64 s[8:9], s[0:1]
	s_cbranch_execz .LBB10_3
; %bb.11:                               ;   in Loop: Header=BB10_5 Depth=1
	s_waitcnt lgkmcnt(0)
	v_cmp_ne_u32_e32 vcc, 0, v16
	s_and_b64 s[2:3], vcc, s[2:3]
	v_cndmask_b32_e64 v16, 0, 1, s[2:3]
	ds_write_b32 v1, v16
	s_branch .LBB10_3
.LBB10_12:
	s_or_b64 exec, exec, s[4:5]
	v_cmp_eq_u32_e32 vcc, 0, v0
	s_and_saveexec_b64 s[0:1], vcc
	s_cbranch_execz .LBB10_14
; %bb.13:
	s_mul_i32 s0, s16, s7
	s_add_i32 s0, s0, s6
	s_ashr_i32 s1, s0, 31
	s_lshl_b64 s[0:1], s[0:1], 2
	s_add_u32 s0, s10, s0
	s_addc_u32 s1, s11, s1
	v_mov_b32_e32 v0, 0
	global_store_dword v0, v2, s[0:1]
.LBB10_14:
	s_endpgm
	.section	.rodata,"a",@progbits
	.p2align	6, 0x0
	.amdhsa_kernel _ZL25flash_attn_mask_to_KV_maxILi2EEvPK7__half2Piiii
		.amdhsa_group_segment_fixed_size 128
		.amdhsa_private_segment_fixed_size 0
		.amdhsa_kernarg_size 288
		.amdhsa_user_sgpr_count 6
		.amdhsa_user_sgpr_private_segment_buffer 1
		.amdhsa_user_sgpr_dispatch_ptr 0
		.amdhsa_user_sgpr_queue_ptr 0
		.amdhsa_user_sgpr_kernarg_segment_ptr 1
		.amdhsa_user_sgpr_dispatch_id 0
		.amdhsa_user_sgpr_flat_scratch_init 0
		.amdhsa_user_sgpr_kernarg_preload_length 0
		.amdhsa_user_sgpr_kernarg_preload_offset 0
		.amdhsa_user_sgpr_private_segment_size 0
		.amdhsa_uses_dynamic_stack 0
		.amdhsa_system_sgpr_private_segment_wavefront_offset 0
		.amdhsa_system_sgpr_workgroup_id_x 1
		.amdhsa_system_sgpr_workgroup_id_y 1
		.amdhsa_system_sgpr_workgroup_id_z 0
		.amdhsa_system_sgpr_workgroup_info 0
		.amdhsa_system_vgpr_workitem_id 0
		.amdhsa_next_free_vgpr 17
		.amdhsa_next_free_sgpr 26
		.amdhsa_accum_offset 20
		.amdhsa_reserve_vcc 1
		.amdhsa_reserve_flat_scratch 0
		.amdhsa_float_round_mode_32 0
		.amdhsa_float_round_mode_16_64 0
		.amdhsa_float_denorm_mode_32 3
		.amdhsa_float_denorm_mode_16_64 3
		.amdhsa_dx10_clamp 1
		.amdhsa_ieee_mode 1
		.amdhsa_fp16_overflow 0
		.amdhsa_tg_split 0
		.amdhsa_exception_fp_ieee_invalid_op 0
		.amdhsa_exception_fp_denorm_src 0
		.amdhsa_exception_fp_ieee_div_zero 0
		.amdhsa_exception_fp_ieee_overflow 0
		.amdhsa_exception_fp_ieee_underflow 0
		.amdhsa_exception_fp_ieee_inexact 0
		.amdhsa_exception_int_div_zero 0
	.end_amdhsa_kernel
	.section	.text._ZL25flash_attn_mask_to_KV_maxILi2EEvPK7__half2Piiii,"axG",@progbits,_ZL25flash_attn_mask_to_KV_maxILi2EEvPK7__half2Piiii,comdat
.Lfunc_end10:
	.size	_ZL25flash_attn_mask_to_KV_maxILi2EEvPK7__half2Piiii, .Lfunc_end10-_ZL25flash_attn_mask_to_KV_maxILi2EEvPK7__half2Piiii
                                        ; -- End function
	.section	.AMDGPU.csdata,"",@progbits
; Kernel info:
; codeLenInByte = 848
; NumSgprs: 30
; NumVgprs: 17
; NumAgprs: 0
; TotalNumVgprs: 17
; ScratchSize: 0
; MemoryBound: 0
; FloatMode: 240
; IeeeMode: 1
; LDSByteSize: 128 bytes/workgroup (compile time only)
; SGPRBlocks: 3
; VGPRBlocks: 2
; NumSGPRsForWavesPerEU: 30
; NumVGPRsForWavesPerEU: 17
; AccumOffset: 20
; Occupancy: 8
; WaveLimiterHint : 0
; COMPUTE_PGM_RSRC2:SCRATCH_EN: 0
; COMPUTE_PGM_RSRC2:USER_SGPR: 6
; COMPUTE_PGM_RSRC2:TRAP_HANDLER: 0
; COMPUTE_PGM_RSRC2:TGID_X_EN: 1
; COMPUTE_PGM_RSRC2:TGID_Y_EN: 1
; COMPUTE_PGM_RSRC2:TGID_Z_EN: 0
; COMPUTE_PGM_RSRC2:TIDIG_COMP_CNT: 0
; COMPUTE_PGM_RSRC3_GFX90A:ACCUM_OFFSET: 4
; COMPUTE_PGM_RSRC3_GFX90A:TG_SPLIT: 0
	.section	.text._ZL33flash_attn_stream_k_fixup_uniformILi128ELi2ELi8EEvPfPK15HIP_vector_typeIfLj2EEiiiiiiS1_IjLj3EES5_S5_,"axG",@progbits,_ZL33flash_attn_stream_k_fixup_uniformILi128ELi2ELi8EEvPfPK15HIP_vector_typeIfLj2EEiiiiiiS1_IjLj3EES5_S5_,comdat
	.globl	_ZL33flash_attn_stream_k_fixup_uniformILi128ELi2ELi8EEvPfPK15HIP_vector_typeIfLj2EEiiiiiiS1_IjLj3EES5_S5_ ; -- Begin function _ZL33flash_attn_stream_k_fixup_uniformILi128ELi2ELi8EEvPfPK15HIP_vector_typeIfLj2EEiiiiiiS1_IjLj3EES5_S5_
	.p2align	8
	.type	_ZL33flash_attn_stream_k_fixup_uniformILi128ELi2ELi8EEvPfPK15HIP_vector_typeIfLj2EEiiiiiiS1_IjLj3EES5_S5_,@function
_ZL33flash_attn_stream_k_fixup_uniformILi128ELi2ELi8EEvPfPK15HIP_vector_typeIfLj2EEiiiiiiS1_IjLj3EES5_S5_: ; @_ZL33flash_attn_stream_k_fixup_uniformILi128ELi2ELi8EEvPfPK15HIP_vector_typeIfLj2EEiiiiiiS1_IjLj3EES5_S5_
; %bb.0:
	s_load_dwordx8 s[12:19], s[4:5], 0x1c
	s_load_dwordx2 s[10:11], s[4:5], 0x10
	s_load_dwordx4 s[0:3], s[4:5], 0x3c
	s_waitcnt lgkmcnt(0)
	s_mul_hi_u32 s9, s15, s6
	s_add_i32 s9, s6, s9
	s_lshr_b32 s9, s9, s16
	s_mul_i32 s15, s9, s17
	s_sub_i32 s15, s6, s15
	s_mul_hi_u32 s16, s15, s18
	s_add_i32 s16, s15, s16
	s_lshr_b32 s16, s16, s19
	s_mul_i32 s0, s16, s0
	s_sub_i32 s0, s15, s0
	;; [unrolled: 5-line block ×3, first 2 shown]
	s_lshl_b32 s0, s17, 1
	s_lshl_b32 s15, s1, 3
	s_add_i32 s0, s0, s7
	s_cmp_lt_i32 s0, s10
	s_cselect_b64 s[0:1], -1, 0
	s_add_i32 s2, s15, s8
	s_cmp_lt_i32 s2, s13
	s_cselect_b64 s[2:3], -1, 0
	s_and_b64 s[0:1], s[0:1], s[2:3]
	s_andn2_b64 vcc, exec, s[0:1]
	s_cbranch_vccnz .LBB11_6
; %bb.1:
	s_load_dwordx4 s[0:3], s[4:5], 0x0
	s_mul_i32 s4, s9, s10
	s_add_i32 s4, s4, s7
	s_mul_i32 s4, s4, s11
	s_mul_i32 s16, s16, s13
	s_add_i32 s4, s4, s8
	s_add_i32 s4, s4, s16
	s_mul_i32 s5, s11, s17
	s_add_i32 s4, s4, s15
	s_lshl_b32 s5, s5, 8
	s_lshl_b32 s4, s4, 7
	s_add_i32 s5, s5, s4
	v_or_b32_e32 v2, s5, v0
	v_ashrrev_i32_e32 v3, 31, v2
	v_lshlrev_b64 v[2:3], 2, v[2:3]
	s_waitcnt lgkmcnt(0)
	v_mov_b32_e32 v1, s1
	v_add_co_u32_e32 v2, vcc, s0, v2
	v_addc_co_u32_e32 v3, vcc, v1, v3, vcc
	global_load_dword v8, v[2:3], off
	s_mul_i32 s9, s6, s14
	s_lshl_b32 s4, s7, 3
	s_add_i32 s11, s9, s14
	s_add_i32 s0, s4, s8
	s_lshl_b32 s1, s11, 4
	s_add_i32 s0, s0, s1
	s_add_i32 s0, s0, -16
	s_ashr_i32 s1, s0, 31
	s_lshl_b64 s[0:1], s[0:1], 3
	s_add_u32 s0, s2, s0
	s_addc_u32 s1, s3, s1
	s_load_dword s5, s[0:1], 0x4
	s_add_i32 s10, s11, -2
	s_cmp_lt_i32 s10, s9
	s_cbranch_scc1 .LBB11_4
; %bb.2:
	s_lshl_b32 s16, s12, 6
	s_ashr_i32 s17, s16, 31
	s_lshl_b64 s[16:17], s[16:17], 2
	s_add_u32 s10, s2, s16
	s_addc_u32 s13, s3, s17
	s_add_i32 s6, s6, 1
	s_load_dword s0, s[0:1], 0x0
	s_mul_i32 s1, s14, s6
	s_lshl_b32 s7, s7, 10
	s_lshl_b32 s14, s8, 7
	;; [unrolled: 1-line block ×3, first 2 shown]
	s_add_i32 s7, s14, s7
	s_lshl_b32 s1, s1, 4
	s_add_i32 s7, s7, s6
	s_add_i32 s1, s8, s1
	s_lshl_b32 s6, s12, 4
	s_add_i32 s1, s1, s6
	v_or_b32_e32 v0, s7, v0
	s_add_i32 s1, s1, s4
	s_add_i32 s11, s11, -1
	v_add_u32_e32 v0, 0xfffff000, v0
	s_sub_i32 s4, s1, 32
	s_waitcnt lgkmcnt(0)
	v_mov_b32_e32 v7, s5
	v_mov_b32_e32 v6, s0
	;; [unrolled: 1-line block ×3, first 2 shown]
	s_mov_b32 s6, 0x3fb8aa3b
	s_mov_b32 s7, 0xc2ce8ed0
	;; [unrolled: 1-line block ×3, first 2 shown]
	v_mov_b32_e32 v5, 0x7f800000
	s_mov_b32 s12, 0xc1a00000
.LBB11_3:                               ; =>This Inner Loop Header: Depth=1
	v_ashrrev_i32_e32 v1, 31, v0
	v_lshlrev_b64 v[10:11], 2, v[0:1]
	v_add_co_u32_e32 v10, vcc, s10, v10
	v_addc_co_u32_e32 v11, vcc, v4, v11, vcc
	global_load_dword v1, v[10:11], off
	s_ashr_i32 s5, s4, 31
	s_lshl_b64 s[0:1], s[4:5], 3
	s_add_u32 s0, s2, s0
	s_addc_u32 s1, s3, s1
	s_load_dwordx2 s[14:15], s[0:1], 0x0
	s_waitcnt vmcnt(1)
	v_mov_b32_e32 v9, v8
	v_max_f32_e32 v8, v6, v6
	v_mov_b32_e32 v10, v7
	s_add_i32 s11, s11, -1
	s_waitcnt lgkmcnt(0)
	v_max_f32_e64 v7, s14, s14
	v_max_f32_e32 v7, v8, v7
	v_sub_f32_e32 v11, s14, v7
	v_sub_f32_e32 v8, v6, v7
	v_mul_f32_e32 v12, 0x3fb8aa3b, v11
	v_mov_b32_e32 v6, v7
	v_mul_f32_e32 v7, 0x3fb8aa3b, v8
	v_fma_f32 v15, v11, s6, -v12
	v_rndne_f32_e32 v16, v12
	v_fma_f32 v13, v8, s6, -v7
	v_rndne_f32_e32 v14, v7
	v_fmac_f32_e32 v15, 0x32a5705f, v11
	v_sub_f32_e32 v12, v12, v16
	v_fmac_f32_e32 v13, 0x32a5705f, v8
	v_sub_f32_e32 v7, v7, v14
	v_add_f32_e32 v12, v12, v15
	v_cvt_i32_f32_e32 v16, v16
	v_add_f32_e32 v7, v7, v13
	v_exp_f32_e32 v12, v12
	v_cvt_i32_f32_e32 v14, v14
	v_exp_f32_e32 v7, v7
	v_cmp_ngt_f32_e32 vcc, s7, v11
	v_ldexp_f32 v12, v12, v16
	v_cmp_ngt_f32_e64 s[0:1], s7, v8
	v_ldexp_f32 v7, v7, v14
	v_cndmask_b32_e32 v12, 0, v12, vcc
	v_cmp_nlt_f32_e32 vcc, s8, v11
	v_cndmask_b32_e64 v7, 0, v7, s[0:1]
	v_cmp_nlt_f32_e64 s[0:1], s8, v8
	v_cndmask_b32_e32 v12, v5, v12, vcc
	v_cmp_le_f32_e32 vcc, s12, v11
	v_cndmask_b32_e64 v7, v5, v7, s[0:1]
	v_cmp_le_f32_e64 s[0:1], s12, v8
	v_cndmask_b32_e32 v8, 0, v12, vcc
	s_add_i32 s4, s4, -16
	v_cndmask_b32_e64 v11, 0, v7, s[0:1]
	v_mul_f32_e32 v7, s15, v8
	v_add_u32_e32 v0, 0xfffff800, v0
	s_cmp_le_i32 s11, s9
	v_fmac_f32_e32 v7, v10, v11
	s_waitcnt vmcnt(0)
	v_mul_f32_e32 v8, v1, v8
	v_fmac_f32_e32 v8, v9, v11
	s_cbranch_scc0 .LBB11_3
	s_branch .LBB11_5
.LBB11_4:
	s_waitcnt lgkmcnt(0)
	v_mov_b32_e32 v7, s5
.LBB11_5:
	s_waitcnt vmcnt(0)
	v_div_scale_f32 v0, s[0:1], v7, v7, v8
	v_rcp_f32_e32 v1, v0
	v_div_scale_f32 v4, vcc, v8, v7, v8
	v_fma_f32 v5, -v0, v1, 1.0
	v_fmac_f32_e32 v1, v5, v1
	v_mul_f32_e32 v5, v4, v1
	v_fma_f32 v6, -v0, v5, v4
	v_fmac_f32_e32 v5, v6, v1
	v_fma_f32 v0, -v0, v5, v4
	v_div_fmas_f32 v0, v0, v1, v5
	v_div_fixup_f32 v0, v0, v7, v8
	global_store_dword v[2:3], v0, off
.LBB11_6:
	s_endpgm
	.section	.rodata,"a",@progbits
	.p2align	6, 0x0
	.amdhsa_kernel _ZL33flash_attn_stream_k_fixup_uniformILi128ELi2ELi8EEvPfPK15HIP_vector_typeIfLj2EEiiiiiiS1_IjLj3EES5_S5_
		.amdhsa_group_segment_fixed_size 0
		.amdhsa_private_segment_fixed_size 0
		.amdhsa_kernarg_size 76
		.amdhsa_user_sgpr_count 6
		.amdhsa_user_sgpr_private_segment_buffer 1
		.amdhsa_user_sgpr_dispatch_ptr 0
		.amdhsa_user_sgpr_queue_ptr 0
		.amdhsa_user_sgpr_kernarg_segment_ptr 1
		.amdhsa_user_sgpr_dispatch_id 0
		.amdhsa_user_sgpr_flat_scratch_init 0
		.amdhsa_user_sgpr_kernarg_preload_length 0
		.amdhsa_user_sgpr_kernarg_preload_offset 0
		.amdhsa_user_sgpr_private_segment_size 0
		.amdhsa_uses_dynamic_stack 0
		.amdhsa_system_sgpr_private_segment_wavefront_offset 0
		.amdhsa_system_sgpr_workgroup_id_x 1
		.amdhsa_system_sgpr_workgroup_id_y 1
		.amdhsa_system_sgpr_workgroup_id_z 1
		.amdhsa_system_sgpr_workgroup_info 0
		.amdhsa_system_vgpr_workitem_id 0
		.amdhsa_next_free_vgpr 17
		.amdhsa_next_free_sgpr 20
		.amdhsa_accum_offset 20
		.amdhsa_reserve_vcc 1
		.amdhsa_reserve_flat_scratch 0
		.amdhsa_float_round_mode_32 0
		.amdhsa_float_round_mode_16_64 0
		.amdhsa_float_denorm_mode_32 3
		.amdhsa_float_denorm_mode_16_64 3
		.amdhsa_dx10_clamp 1
		.amdhsa_ieee_mode 1
		.amdhsa_fp16_overflow 0
		.amdhsa_tg_split 0
		.amdhsa_exception_fp_ieee_invalid_op 0
		.amdhsa_exception_fp_denorm_src 0
		.amdhsa_exception_fp_ieee_div_zero 0
		.amdhsa_exception_fp_ieee_overflow 0
		.amdhsa_exception_fp_ieee_underflow 0
		.amdhsa_exception_fp_ieee_inexact 0
		.amdhsa_exception_int_div_zero 0
	.end_amdhsa_kernel
	.section	.text._ZL33flash_attn_stream_k_fixup_uniformILi128ELi2ELi8EEvPfPK15HIP_vector_typeIfLj2EEiiiiiiS1_IjLj3EES5_S5_,"axG",@progbits,_ZL33flash_attn_stream_k_fixup_uniformILi128ELi2ELi8EEvPfPK15HIP_vector_typeIfLj2EEiiiiiiS1_IjLj3EES5_S5_,comdat
.Lfunc_end11:
	.size	_ZL33flash_attn_stream_k_fixup_uniformILi128ELi2ELi8EEvPfPK15HIP_vector_typeIfLj2EEiiiiiiS1_IjLj3EES5_S5_, .Lfunc_end11-_ZL33flash_attn_stream_k_fixup_uniformILi128ELi2ELi8EEvPfPK15HIP_vector_typeIfLj2EEiiiiiiS1_IjLj3EES5_S5_
                                        ; -- End function
	.section	.AMDGPU.csdata,"",@progbits
; Kernel info:
; codeLenInByte = 856
; NumSgprs: 24
; NumVgprs: 17
; NumAgprs: 0
; TotalNumVgprs: 17
; ScratchSize: 0
; MemoryBound: 0
; FloatMode: 240
; IeeeMode: 1
; LDSByteSize: 0 bytes/workgroup (compile time only)
; SGPRBlocks: 2
; VGPRBlocks: 2
; NumSGPRsForWavesPerEU: 24
; NumVGPRsForWavesPerEU: 17
; AccumOffset: 20
; Occupancy: 8
; WaveLimiterHint : 0
; COMPUTE_PGM_RSRC2:SCRATCH_EN: 0
; COMPUTE_PGM_RSRC2:USER_SGPR: 6
; COMPUTE_PGM_RSRC2:TRAP_HANDLER: 0
; COMPUTE_PGM_RSRC2:TGID_X_EN: 1
; COMPUTE_PGM_RSRC2:TGID_Y_EN: 1
; COMPUTE_PGM_RSRC2:TGID_Z_EN: 1
; COMPUTE_PGM_RSRC2:TIDIG_COMP_CNT: 0
; COMPUTE_PGM_RSRC3_GFX90A:ACCUM_OFFSET: 4
; COMPUTE_PGM_RSRC3_GFX90A:TG_SPLIT: 0
	.section	.text._ZL33flash_attn_stream_k_fixup_generalILi128ELi2ELi8EEvPfPK15HIP_vector_typeIfLj2EEiiiiS1_IjLj3EES5_S5_S5_,"axG",@progbits,_ZL33flash_attn_stream_k_fixup_generalILi128ELi2ELi8EEvPfPK15HIP_vector_typeIfLj2EEiiiiS1_IjLj3EES5_S5_S5_,comdat
	.globl	_ZL33flash_attn_stream_k_fixup_generalILi128ELi2ELi8EEvPfPK15HIP_vector_typeIfLj2EEiiiiS1_IjLj3EES5_S5_S5_ ; -- Begin function _ZL33flash_attn_stream_k_fixup_generalILi128ELi2ELi8EEvPfPK15HIP_vector_typeIfLj2EEiiiiS1_IjLj3EES5_S5_S5_
	.p2align	8
	.type	_ZL33flash_attn_stream_k_fixup_generalILi128ELi2ELi8EEvPfPK15HIP_vector_typeIfLj2EEiiiiS1_IjLj3EES5_S5_S5_,@function
_ZL33flash_attn_stream_k_fixup_generalILi128ELi2ELi8EEvPfPK15HIP_vector_typeIfLj2EEiiiiS1_IjLj3EES5_S5_S5_: ; @_ZL33flash_attn_stream_k_fixup_generalILi128ELi2ELi8EEvPfPK15HIP_vector_typeIfLj2EEiiiiS1_IjLj3EES5_S5_S5_
; %bb.0:
	s_load_dwordx4 s[12:15], s[4:5], 0x10
	s_load_dword s9, s[4:5], 0x50
	s_mov_b32 s2, 0
	s_waitcnt lgkmcnt(0)
	s_mul_hi_i32 s3, s15, s6
	s_cmp_lg_u64 s[2:3], 0
	s_mul_i32 s2, s15, s6
	s_cbranch_scc0 .LBB12_21
; %bb.1:
	v_cvt_f32_u32_e32 v1, s9
	v_cvt_f32_ubyte0_e32 v2, 0
	s_sub_u32 s10, 0, s9
	s_subb_u32 s11, 0, 0
	v_madmk_f32 v1, v2, 0x4f800000, v1
	v_rcp_f32_e32 v1, v1
	v_mul_f32_e32 v1, 0x5f7ffffc, v1
	v_mul_f32_e32 v2, 0x2f800000, v1
	v_trunc_f32_e32 v2, v2
	v_madmk_f32 v1, v2, 0xcf800000, v1
	v_cvt_u32_f32_e32 v2, v2
	v_cvt_u32_f32_e32 v1, v1
	v_readfirstlane_b32 s16, v2
	v_readfirstlane_b32 s17, v1
	s_mul_i32 s18, s10, s16
	s_mul_hi_u32 s20, s10, s17
	s_mul_i32 s19, s11, s17
	s_add_i32 s18, s20, s18
	s_add_i32 s18, s18, s19
	s_mul_i32 s21, s10, s17
	s_mul_hi_u32 s19, s17, s18
	s_mul_i32 s20, s17, s18
	s_mul_hi_u32 s17, s17, s21
	s_add_u32 s17, s17, s20
	s_addc_u32 s19, 0, s19
	s_mul_hi_u32 s22, s16, s21
	s_mul_i32 s21, s16, s21
	s_add_u32 s17, s17, s21
	s_mul_hi_u32 s20, s16, s18
	s_addc_u32 s17, s19, s22
	s_addc_u32 s19, s20, 0
	s_mul_i32 s18, s16, s18
	s_add_u32 s17, s17, s18
	s_addc_u32 s18, 0, s19
	v_add_co_u32_e32 v1, vcc, s17, v1
	s_cmp_lg_u64 vcc, 0
	s_addc_u32 s16, s16, s18
	v_readfirstlane_b32 s18, v1
	s_mul_i32 s17, s10, s16
	s_mul_hi_u32 s19, s10, s18
	s_add_i32 s17, s19, s17
	s_mul_i32 s11, s11, s18
	s_add_i32 s17, s17, s11
	s_mul_i32 s10, s10, s18
	s_mul_hi_u32 s19, s16, s10
	s_mul_i32 s20, s16, s10
	s_mul_i32 s22, s18, s17
	s_mul_hi_u32 s10, s18, s10
	s_mul_hi_u32 s21, s18, s17
	s_add_u32 s10, s10, s22
	s_addc_u32 s18, 0, s21
	s_add_u32 s10, s10, s20
	s_mul_hi_u32 s11, s16, s17
	s_addc_u32 s10, s18, s19
	s_addc_u32 s11, s11, 0
	s_mul_i32 s17, s16, s17
	s_add_u32 s10, s10, s17
	s_addc_u32 s11, 0, s11
	v_add_co_u32_e32 v1, vcc, s10, v1
	s_cmp_lg_u64 vcc, 0
	s_addc_u32 s18, s16, s11
	s_ashr_i32 s10, s3, 31
	s_add_u32 s16, s2, s10
	s_mov_b32 s11, s10
	s_addc_u32 s17, s3, s10
	s_xor_b64 s[16:17], s[16:17], s[10:11]
	v_readfirstlane_b32 s20, v1
	s_mul_i32 s19, s16, s18
	s_mul_hi_u32 s21, s16, s20
	s_mul_hi_u32 s3, s16, s18
	s_add_u32 s19, s21, s19
	s_addc_u32 s3, 0, s3
	s_mul_hi_u32 s22, s17, s20
	s_mul_i32 s20, s17, s20
	s_add_u32 s19, s19, s20
	s_mul_hi_u32 s21, s17, s18
	s_addc_u32 s3, s3, s22
	s_addc_u32 s19, s21, 0
	s_mul_i32 s18, s17, s18
	s_add_u32 s3, s3, s18
	s_addc_u32 s18, 0, s19
	s_add_u32 s19, s3, 1
	s_addc_u32 s20, s18, 0
	s_add_u32 s21, s3, 2
	s_mul_i32 s23, s9, s18
	s_mul_hi_u32 s24, s9, s3
	s_addc_u32 s22, s18, 0
	s_add_i32 s24, s24, s23
	s_mul_i32 s23, s9, s3
	v_mov_b32_e32 v1, s23
	v_sub_co_u32_e32 v1, vcc, s16, v1
	s_cmp_lg_u64 vcc, 0
	s_subb_u32 s16, s17, s24
	v_subrev_co_u32_e32 v2, vcc, s9, v1
	s_cmp_lg_u64 vcc, 0
	s_subb_u32 s17, s16, 0
	v_readfirstlane_b32 s23, v2
	s_cmp_ge_u32 s23, s9
	s_cselect_b32 s23, -1, 0
	s_cmp_eq_u32 s17, 0
	s_cselect_b32 s17, s23, -1
	s_cmp_lg_u32 s17, 0
	s_cselect_b32 s17, s22, s20
	v_readfirstlane_b32 s20, v1
	s_cselect_b32 s19, s21, s19
	s_cmp_ge_u32 s20, s9
	s_cselect_b32 s20, -1, 0
	s_cmp_eq_u32 s16, 0
	s_cselect_b32 s16, s20, -1
	s_cmp_lg_u32 s16, 0
	s_cselect_b32 s17, s17, s18
	s_cselect_b32 s16, s19, s3
	s_xor_b64 s[16:17], s[16:17], s[10:11]
	s_sub_u32 s20, s16, s10
	s_load_dwordx4 s[16:19], s[4:5], 0x44
	s_cbranch_execnz .LBB12_3
.LBB12_2:
	v_cvt_f32_u32_e32 v1, s9
	s_sub_i32 s0, 0, s9
	v_rcp_iflag_f32_e32 v1, v1
	v_mul_f32_e32 v1, 0x4f7ffffe, v1
	v_cvt_u32_f32_e32 v1, v1
	v_readfirstlane_b32 s1, v1
	s_mul_i32 s0, s0, s1
	s_mul_hi_u32 s0, s1, s0
	s_add_i32 s1, s1, s0
	s_mul_hi_u32 s0, s2, s1
	s_mul_i32 s3, s0, s9
	s_sub_i32 s2, s2, s3
	s_add_i32 s1, s0, 1
	s_sub_i32 s3, s2, s9
	s_cmp_ge_u32 s2, s9
	s_cselect_b32 s0, s1, s0
	s_cselect_b32 s2, s3, s2
	s_add_i32 s1, s0, 1
	s_cmp_ge_u32 s2, s9
	s_cselect_b32 s20, s1, s0
.LBB12_3:
	s_add_i32 s0, s6, 1
	s_mul_hi_i32 s3, s15, s0
	s_mov_b32 s2, 0
	s_cmp_lg_u64 s[2:3], 0
	s_mul_i32 s2, s15, s0
	s_cbranch_scc0 .LBB12_22
; %bb.4:
	v_cvt_f32_u32_e32 v1, s9
	v_cvt_f32_ubyte0_e32 v2, 0
	s_sub_u32 s10, 0, s9
	s_subb_u32 s11, 0, 0
	v_madmk_f32 v1, v2, 0x4f800000, v1
	v_rcp_f32_e32 v1, v1
	v_mul_f32_e32 v1, 0x5f7ffffc, v1
	v_mul_f32_e32 v2, 0x2f800000, v1
	v_trunc_f32_e32 v2, v2
	v_madmk_f32 v1, v2, 0xcf800000, v1
	v_cvt_u32_f32_e32 v2, v2
	v_cvt_u32_f32_e32 v1, v1
	s_waitcnt lgkmcnt(0)
	v_readfirstlane_b32 s19, v2
	v_readfirstlane_b32 s21, v1
	s_mul_i32 s22, s10, s19
	s_mul_hi_u32 s24, s10, s21
	s_mul_i32 s23, s11, s21
	s_add_i32 s22, s24, s22
	s_add_i32 s22, s22, s23
	s_mul_i32 s25, s10, s21
	s_mul_hi_u32 s23, s21, s22
	s_mul_i32 s24, s21, s22
	s_mul_hi_u32 s21, s21, s25
	s_add_u32 s21, s21, s24
	s_addc_u32 s23, 0, s23
	s_mul_hi_u32 s26, s19, s25
	s_mul_i32 s25, s19, s25
	s_add_u32 s21, s21, s25
	s_mul_hi_u32 s24, s19, s22
	s_addc_u32 s21, s23, s26
	s_addc_u32 s23, s24, 0
	s_mul_i32 s22, s19, s22
	s_add_u32 s21, s21, s22
	s_addc_u32 s22, 0, s23
	v_add_co_u32_e32 v1, vcc, s21, v1
	s_cmp_lg_u64 vcc, 0
	s_addc_u32 s19, s19, s22
	v_readfirstlane_b32 s22, v1
	s_mul_i32 s21, s10, s19
	s_mul_hi_u32 s23, s10, s22
	s_add_i32 s21, s23, s21
	s_mul_i32 s11, s11, s22
	s_add_i32 s21, s21, s11
	s_mul_i32 s10, s10, s22
	s_mul_hi_u32 s23, s19, s10
	s_mul_i32 s24, s19, s10
	s_mul_i32 s26, s22, s21
	s_mul_hi_u32 s10, s22, s10
	s_mul_hi_u32 s25, s22, s21
	s_add_u32 s10, s10, s26
	s_addc_u32 s22, 0, s25
	s_add_u32 s10, s10, s24
	s_mul_hi_u32 s11, s19, s21
	s_addc_u32 s10, s22, s23
	s_addc_u32 s11, s11, 0
	s_mul_i32 s21, s19, s21
	s_add_u32 s10, s10, s21
	s_addc_u32 s11, 0, s11
	v_add_co_u32_e32 v1, vcc, s10, v1
	s_cmp_lg_u64 vcc, 0
	s_addc_u32 s19, s19, s11
	s_ashr_i32 s10, s3, 31
	s_add_u32 s22, s2, s10
	s_mov_b32 s11, s10
	s_addc_u32 s23, s3, s10
	s_xor_b64 s[22:23], s[22:23], s[10:11]
	v_readfirstlane_b32 s21, v1
	s_mul_i32 s11, s22, s19
	s_mul_hi_u32 s24, s22, s21
	s_mul_hi_u32 s3, s22, s19
	s_add_u32 s11, s24, s11
	s_addc_u32 s3, 0, s3
	s_mul_hi_u32 s25, s23, s21
	s_mul_i32 s21, s23, s21
	s_add_u32 s11, s11, s21
	s_mul_hi_u32 s24, s23, s19
	s_addc_u32 s3, s3, s25
	s_addc_u32 s11, s24, 0
	s_mul_i32 s19, s23, s19
	s_add_u32 s3, s3, s19
	s_addc_u32 s11, 0, s11
	s_mul_i32 s11, s9, s11
	s_mul_hi_u32 s24, s9, s3
	s_add_i32 s24, s24, s11
	s_mul_i32 s11, s9, s3
	v_mov_b32_e32 v1, s11
	s_add_u32 s19, s3, 1
	s_add_u32 s21, s3, 2
	v_sub_co_u32_e32 v1, vcc, s22, v1
	s_cmp_lg_u64 vcc, 0
	s_subb_u32 s11, s23, s24
	v_subrev_co_u32_e32 v2, vcc, s9, v1
	s_cmp_lg_u64 vcc, 0
	s_subb_u32 s22, s11, 0
	v_cmp_le_u32_e32 vcc, s9, v2
	s_cmp_eq_u32 s22, 0
	v_cndmask_b32_e64 v2, 0, -1, vcc
	s_cselect_b64 vcc, -1, 0
	v_cndmask_b32_e32 v2, -1, v2, vcc
	v_mov_b32_e32 v3, s19
	v_mov_b32_e32 v4, s21
	v_cmp_ne_u32_e32 vcc, 0, v2
	v_cndmask_b32_e32 v2, v3, v4, vcc
	v_cmp_le_u32_e32 vcc, s9, v1
	s_cmp_eq_u32 s11, 0
	v_cndmask_b32_e64 v1, 0, -1, vcc
	s_cselect_b64 vcc, -1, 0
	v_cndmask_b32_e32 v1, -1, v1, vcc
	v_mov_b32_e32 v3, s3
	v_cmp_ne_u32_e32 vcc, 0, v1
	v_cndmask_b32_e32 v1, v3, v2, vcc
	v_xor_b32_e32 v1, s10, v1
	v_subrev_co_u32_e32 v2, vcc, s10, v1
	s_cbranch_execnz .LBB12_6
.LBB12_5:
	v_cvt_f32_u32_e32 v1, s9
	s_sub_i32 s0, 0, s9
	s_mov_b32 s1, 0
	v_rcp_iflag_f32_e32 v1, v1
	v_mul_f32_e32 v1, 0x4f7ffffe, v1
	v_cvt_u32_f32_e32 v1, v1
	v_readfirstlane_b32 s3, v1
	s_mul_i32 s0, s0, s3
	s_mul_hi_u32 s0, s3, s0
	s_add_i32 s3, s3, s0
	s_mul_hi_u32 s0, s2, s3
	s_mul_i32 s10, s0, s9
	s_sub_i32 s2, s2, s10
	s_add_i32 s3, s0, 1
	s_sub_i32 s10, s2, s9
	s_cmp_ge_u32 s2, s9
	s_cselect_b32 s0, s3, s0
	s_cselect_b32 s2, s10, s2
	s_add_i32 s3, s0, 1
	s_cmp_ge_u32 s2, s9
	s_cselect_b32 s0, s3, s0
	v_pk_mov_b32 v[2:3], s[0:1], s[0:1] op_sel:[0,1]
.LBB12_6:
	s_waitcnt lgkmcnt(0)
	s_mul_hi_u32 s0, s20, s16
	s_add_i32 s0, s0, s20
	v_mul_hi_u32 v1, v2, s16
	s_lshr_b32 s19, s0, s17
	v_add_u32_e32 v1, v1, v2
	s_mul_i32 s0, s19, s18
	v_lshrrev_b32_e32 v1, s17, v1
	s_cmp_eq_u32 s0, s20
	v_cmp_eq_u32_e64 s[0:1], s19, v1
	v_mul_lo_u32 v1, v1, s18
	v_cmp_eq_u32_e32 vcc, s20, v2
	s_cselect_b64 s[10:11], -1, 0
	v_cmp_ne_u32_e64 s[2:3], v1, v2
	s_and_b64 s[0:1], s[0:1], s[2:3]
	s_or_b64 s[2:3], vcc, s[10:11]
	s_or_b64 s[0:1], s[2:3], s[0:1]
	s_and_b64 vcc, exec, s[0:1]
	s_cbranch_vccnz .LBB12_24
; %bb.7:
	s_load_dwordx8 s[24:31], s[4:5], 0x20
	s_load_dword s0, s[4:5], 0x40
	s_mov_b32 s10, 0
	s_waitcnt lgkmcnt(0)
	s_mul_hi_u32 s1, s20, s24
	s_add_i32 s1, s1, s20
	s_lshr_b32 s11, s1, s25
	s_mul_i32 s1, s11, s26
	s_sub_i32 s1, s20, s1
	s_mul_hi_u32 s2, s1, s27
	s_add_i32 s2, s1, s2
	s_lshr_b32 s24, s2, s28
	s_mul_i32 s2, s24, s29
	s_sub_i32 s1, s1, s2
	;; [unrolled: 5-line block ×3, first 2 shown]
	s_mul_hi_u32 s1, s0, s16
	s_add_i32 s0, s0, s1
	s_lshr_b32 s26, s0, s17
	s_lshl_b32 s0, s26, 1
	s_lshl_b32 s25, s2, 3
	s_add_i32 s0, s0, s7
	s_cmp_lt_i32 s0, s12
	s_cselect_b64 s[0:1], -1, 0
	s_add_i32 s2, s25, s8
	s_cmp_lt_i32 s2, s14
	s_cselect_b64 s[2:3], -1, 0
	s_and_b64 s[0:1], s[0:1], s[2:3]
	s_andn2_b64 vcc, exec, s[0:1]
	s_cbranch_vccnz .LBB12_24
; %bb.8:
	s_load_dwordx4 s[0:3], s[4:5], 0x0
	s_lshl_b32 s21, s7, 3
	s_lshl_b32 s4, s9, 6
	s_mov_b32 s5, s10
	s_add_i32 s21, s21, s8
	s_lshl_b64 s[4:5], s[4:5], 2
	s_waitcnt lgkmcnt(0)
	s_add_u32 s22, s2, s4
	s_mul_i32 s4, s11, s12
	s_addc_u32 s23, s3, s5
	s_add_i32 s4, s4, s7
	s_mul_i32 s4, s4, s13
	s_mul_i32 s24, s24, s14
	s_add_i32 s4, s4, s8
	s_add_i32 s4, s4, s24
	s_mul_i32 s5, s13, s26
	s_add_i32 s4, s4, s25
	s_lshl_b32 s5, s5, 8
	s_lshl_b32 s4, s4, 7
	s_add_i32 s5, s5, s4
	v_or_b32_e32 v2, s5, v0
	v_ashrrev_i32_e32 v3, 31, v2
	v_lshlrev_b64 v[2:3], 2, v[2:3]
	v_mov_b32_e32 v1, s1
	v_add_co_u32_e32 v2, vcc, s0, v2
	v_addc_co_u32_e32 v3, vcc, v1, v3, vcc
	global_load_dword v5, v[2:3], off
	v_lshl_or_b32 v4, s21, 7, v0
	v_cvt_f32_u32_e32 v0, s9
	v_cvt_f32_ubyte0_e32 v1, 0
	s_lshl_b32 s0, s6, 4
	s_add_i32 s0, s21, s0
	v_mac_f32_e32 v0, 0x4f800000, v1
	v_rcp_f32_e32 v0, v0
	v_cvt_f32_u32_e32 v1, s9
	s_ashr_i32 s1, s0, 31
	s_lshl_b64 s[0:1], s[0:1], 3
	v_mul_f32_e32 v0, 0x5f7ffffc, v0
	v_rcp_iflag_f32_e32 v1, v1
	s_add_u32 s0, s2, s0
	v_mul_f32_e32 v9, 0x2f800000, v0
	s_addc_u32 s1, s3, s1
	v_trunc_f32_e32 v10, v9
	s_load_dwordx2 s[0:1], s[0:1], 0x0
	v_mac_f32_e32 v0, 0xcf800000, v10
	v_cvt_u32_f32_e32 v9, v0
	v_mul_f32_e32 v0, 0x4f7ffffe, v1
	v_cvt_u32_f32_e32 v10, v10
	v_cvt_u32_f32_e32 v11, v0
	s_add_i32 s8, s6, -1
	s_waitcnt lgkmcnt(0)
	v_mov_b32_e32 v6, s1
	v_mov_b32_e32 v7, s0
	;; [unrolled: 1-line block ×3, first 2 shown]
	s_mov_b32 s6, 0x3fb8aa3b
	s_mov_b32 s7, 0xc2ce8ed0
	;; [unrolled: 1-line block ×4, first 2 shown]
	v_mov_b32_e32 v12, 0x7f800000
	s_mul_hi_i32 s11, s8, s15
	s_cmp_lg_u64 s[10:11], 0
	s_mul_i32 s4, s8, s15
	s_cbranch_scc0 .LBB12_15
.LBB12_9:
	s_sub_u32 s0, 0, s9
	v_readfirstlane_b32 s5, v9
	v_readfirstlane_b32 s24, v10
	s_subb_u32 s1, 0, 0
	s_mul_hi_u32 s20, s0, s5
	s_mul_i32 s25, s0, s24
	s_mul_i32 s14, s1, s5
	s_add_i32 s20, s20, s25
	s_add_i32 s20, s20, s14
	s_mul_i32 s26, s0, s5
	s_mul_hi_u32 s14, s5, s20
	s_mul_i32 s25, s5, s20
	s_mul_hi_u32 s5, s5, s26
	s_add_u32 s5, s5, s25
	s_addc_u32 s14, 0, s14
	s_mul_hi_u32 s27, s24, s26
	s_mul_i32 s26, s24, s26
	s_add_u32 s5, s5, s26
	s_mul_hi_u32 s25, s24, s20
	s_addc_u32 s5, s14, s27
	s_addc_u32 s14, s25, 0
	s_mul_i32 s20, s24, s20
	s_add_u32 s5, s5, s20
	s_addc_u32 s14, 0, s14
	v_add_co_u32_e32 v0, vcc, s5, v9
	s_cmp_lg_u64 vcc, 0
	s_addc_u32 s5, s24, s14
	v_readfirstlane_b32 s20, v0
	s_mul_i32 s14, s0, s5
	s_mul_hi_u32 s24, s0, s20
	s_add_i32 s14, s24, s14
	s_mul_i32 s1, s1, s20
	s_add_i32 s14, s14, s1
	s_mul_i32 s0, s0, s20
	s_mul_hi_u32 s24, s5, s0
	s_mul_i32 s25, s5, s0
	s_mul_i32 s27, s20, s14
	s_mul_hi_u32 s0, s20, s0
	s_mul_hi_u32 s26, s20, s14
	s_add_u32 s0, s0, s27
	s_addc_u32 s20, 0, s26
	s_add_u32 s0, s0, s25
	s_mul_hi_u32 s1, s5, s14
	s_addc_u32 s0, s20, s24
	s_addc_u32 s1, s1, 0
	s_mul_i32 s14, s5, s14
	s_add_u32 s0, s0, s14
	s_addc_u32 s1, 0, s1
	v_add_co_u32_e32 v0, vcc, s0, v0
	s_cmp_lg_u64 vcc, 0
	s_addc_u32 s5, s5, s1
	s_ashr_i32 s0, s11, 31
	s_add_u32 s24, s4, s0
	s_mov_b32 s1, s0
	s_addc_u32 s25, s11, s0
	s_xor_b64 s[24:25], s[24:25], s[0:1]
	v_readfirstlane_b32 s14, v0
	s_mul_i32 s11, s24, s5
	s_mul_hi_u32 s20, s24, s14
	s_mul_hi_u32 s1, s24, s5
	s_add_u32 s11, s20, s11
	s_addc_u32 s1, 0, s1
	s_mul_hi_u32 s26, s25, s14
	s_mul_i32 s14, s25, s14
	s_add_u32 s11, s11, s14
	s_mul_hi_u32 s20, s25, s5
	s_addc_u32 s1, s1, s26
	s_addc_u32 s11, s20, 0
	s_mul_i32 s5, s25, s5
	s_add_u32 s1, s1, s5
	s_addc_u32 s5, 0, s11
	s_mul_i32 s5, s9, s5
	s_mul_hi_u32 s20, s9, s1
	s_add_i32 s20, s20, s5
	s_mul_i32 s5, s9, s1
	v_mov_b32_e32 v0, s5
	s_add_u32 s11, s1, 1
	s_add_u32 s14, s1, 2
	v_sub_co_u32_e32 v0, vcc, s24, v0
	s_cmp_lg_u64 vcc, 0
	s_subb_u32 s5, s25, s20
	v_subrev_co_u32_e32 v1, vcc, s9, v0
	s_cmp_lg_u64 vcc, 0
	s_subb_u32 s20, s5, 0
	v_cmp_le_u32_e32 vcc, s9, v1
	s_cmp_eq_u32 s20, 0
	v_cndmask_b32_e64 v1, 0, -1, vcc
	s_cselect_b64 vcc, -1, 0
	v_cndmask_b32_e32 v1, -1, v1, vcc
	v_mov_b32_e32 v13, s11
	v_mov_b32_e32 v14, s14
	v_cmp_ne_u32_e32 vcc, 0, v1
	v_cndmask_b32_e32 v1, v13, v14, vcc
	v_cmp_le_u32_e32 vcc, s9, v0
	s_cmp_eq_u32 s5, 0
	v_cndmask_b32_e64 v0, 0, -1, vcc
	s_cselect_b64 vcc, -1, 0
	v_cndmask_b32_e32 v0, -1, v0, vcc
	v_mov_b32_e32 v13, s1
	v_cmp_ne_u32_e32 vcc, 0, v0
	v_cndmask_b32_e32 v0, v13, v1, vcc
	v_xor_b32_e32 v0, s0, v0
	v_subrev_co_u32_e32 v0, vcc, s0, v0
	s_cbranch_execnz .LBB12_11
.LBB12_10:
	s_sub_i32 s0, 0, s9
	v_mul_lo_u32 v0, s0, v11
	v_mul_hi_u32 v0, v11, v0
	v_add_u32_e32 v0, v11, v0
	v_mul_hi_u32 v0, s4, v0
	v_mul_lo_u32 v13, v0, s9
	v_sub_u32_e32 v13, s4, v13
	v_add_u32_e32 v1, 1, v0
	v_subrev_u32_e32 v14, s9, v13
	v_cmp_le_u32_e32 vcc, s9, v13
	v_cndmask_b32_e32 v13, v13, v14, vcc
	v_cndmask_b32_e32 v0, v0, v1, vcc
	v_add_u32_e32 v1, 1, v0
	v_cmp_le_u32_e32 vcc, s9, v13
	v_cndmask_b32_e32 v0, v0, v1, vcc
.LBB12_11:
	v_cmp_ne_u32_e32 vcc, v8, v0
	s_cbranch_vccz .LBB12_14
; %bb.12:
	s_add_i32 s0, s8, s9
	s_lshl_b32 s0, s0, 4
	v_mul_hi_u32 v1, v0, s16
	s_add_i32 s0, s0, s21
	s_mov_b32 s1, s10
	v_add_u32_e32 v1, v1, v0
	s_lshl_b64 s[0:1], s[0:1], 3
	v_lshrrev_b32_e32 v1, s17, v1
	s_add_u32 s4, s2, s0
	v_mul_lo_u32 v13, v1, s18
	s_addc_u32 s5, s3, s1
	v_cmp_eq_u32_e32 vcc, v13, v0
	v_cmp_gt_u32_e64 s[0:1], s19, v1
	s_or_b64 s[0:1], s[0:1], vcc
	s_and_b64 vcc, exec, s[0:1]
	s_cbranch_vccnz .LBB12_16
; %bb.13:
	s_add_i32 s11, s8, -1
	s_mov_b64 s[0:1], 0
	s_branch .LBB12_17
.LBB12_14:
                                        ; implicit-def: $sgpr0_sgpr1
                                        ; implicit-def: $vgpr14
                                        ; implicit-def: $vgpr1
                                        ; implicit-def: $vgpr13
                                        ; implicit-def: $sgpr11
                                        ; implicit-def: $vgpr0
	s_branch .LBB12_18
.LBB12_15:
                                        ; implicit-def: $vgpr0_vgpr1
	s_branch .LBB12_10
.LBB12_16:
	s_mov_b64 s[0:1], -1
	s_mov_b32 s11, s8
	v_mov_b32_e32 v0, v8
.LBB12_17:
	v_lshl_add_u32 v14, s8, 11, v4
	v_ashrrev_i32_e32 v15, 31, v14
	v_lshlrev_b64 v[14:15], 2, v[14:15]
	v_mov_b32_e32 v1, s23
	v_add_co_u32_e32 v14, vcc, s22, v14
	v_addc_co_u32_e32 v15, vcc, v1, v15, vcc
	global_load_dword v14, v[14:15], off
	s_load_dwordx2 s[4:5], s[4:5], 0x0
	v_max_f32_e32 v1, v7, v7
	s_waitcnt lgkmcnt(0)
	v_max_f32_e64 v13, s4, s4
	v_max_f32_e32 v1, v1, v13
	v_sub_f32_e32 v13, v7, v1
	v_sub_f32_e32 v15, s4, v1
	v_mul_f32_e32 v16, 0x3fb8aa3b, v13
	v_mul_f32_e32 v17, 0x3fb8aa3b, v15
	v_fma_f32 v18, v13, s6, -v16
	v_rndne_f32_e32 v19, v16
	v_fma_f32 v20, v15, s6, -v17
	v_rndne_f32_e32 v21, v17
	v_fmac_f32_e32 v18, 0x32a5705f, v13
	v_sub_f32_e32 v16, v16, v19
	v_fmac_f32_e32 v20, 0x32a5705f, v15
	v_sub_f32_e32 v17, v17, v21
	v_add_f32_e32 v16, v16, v18
	v_cvt_i32_f32_e32 v19, v19
	v_add_f32_e32 v17, v17, v20
	v_exp_f32_e32 v16, v16
	v_cvt_i32_f32_e32 v21, v21
	v_exp_f32_e32 v17, v17
	v_cmp_ngt_f32_e32 vcc, s7, v13
	v_ldexp_f32 v16, v16, v19
	v_cndmask_b32_e32 v16, 0, v16, vcc
	v_ldexp_f32 v17, v17, v21
	v_cmp_ngt_f32_e32 vcc, s7, v15
	v_cndmask_b32_e32 v17, 0, v17, vcc
	v_cmp_nlt_f32_e32 vcc, s12, v13
	v_cndmask_b32_e32 v16, v12, v16, vcc
	v_cmp_nlt_f32_e32 vcc, s12, v15
	v_cndmask_b32_e32 v17, v12, v17, vcc
	v_cmp_le_f32_e32 vcc, s13, v13
	v_cndmask_b32_e32 v16, 0, v16, vcc
	v_cmp_le_f32_e32 vcc, s13, v15
	v_cndmask_b32_e32 v15, 0, v17, vcc
	v_mul_f32_e32 v13, s5, v15
	v_fmac_f32_e32 v13, v6, v16
	s_waitcnt vmcnt(0)
	v_mul_f32_e32 v14, v14, v15
	v_fmac_f32_e32 v14, v5, v16
	s_cbranch_execnz .LBB12_19
.LBB12_18:
	s_add_i32 s11, s8, -1
	s_mov_b64 s[0:1], 0
	v_mov_b32_e32 v0, v8
	v_mov_b32_e32 v13, v6
	;; [unrolled: 1-line block ×3, first 2 shown]
	s_waitcnt vmcnt(0)
	v_mov_b32_e32 v14, v5
.LBB12_19:
	s_andn2_b64 vcc, exec, s[0:1]
	s_cbranch_vccz .LBB12_23
; %bb.20:
	v_mov_b32_e32 v8, v0
	s_mov_b32 s8, s11
	v_mov_b32_e32 v6, v13
	v_mov_b32_e32 v7, v1
	s_waitcnt vmcnt(0)
	v_mov_b32_e32 v5, v14
	s_mul_hi_i32 s11, s8, s15
	s_cmp_lg_u64 s[10:11], 0
	s_mul_i32 s4, s8, s15
	s_cbranch_scc1 .LBB12_9
	s_branch .LBB12_15
.LBB12_21:
                                        ; implicit-def: $sgpr20_sgpr21
	s_load_dwordx4 s[16:19], s[4:5], 0x44
	s_branch .LBB12_2
.LBB12_22:
                                        ; implicit-def: $vgpr2_vgpr3
	s_branch .LBB12_5
.LBB12_23:
	v_div_scale_f32 v0, s[0:1], v13, v13, v14
	v_rcp_f32_e32 v1, v0
	v_div_scale_f32 v4, vcc, v14, v13, v14
	s_waitcnt vmcnt(0)
	v_fma_f32 v5, -v0, v1, 1.0
	v_fmac_f32_e32 v1, v5, v1
	v_mul_f32_e32 v5, v4, v1
	v_fma_f32 v6, -v0, v5, v4
	v_fmac_f32_e32 v5, v6, v1
	v_fma_f32 v0, -v0, v5, v4
	v_div_fmas_f32 v0, v0, v1, v5
	v_div_fixup_f32 v0, v0, v13, v14
	global_store_dword v[2:3], v0, off
.LBB12_24:
	s_endpgm
	.section	.rodata,"a",@progbits
	.p2align	6, 0x0
	.amdhsa_kernel _ZL33flash_attn_stream_k_fixup_generalILi128ELi2ELi8EEvPfPK15HIP_vector_typeIfLj2EEiiiiS1_IjLj3EES5_S5_S5_
		.amdhsa_group_segment_fixed_size 0
		.amdhsa_private_segment_fixed_size 0
		.amdhsa_kernarg_size 336
		.amdhsa_user_sgpr_count 6
		.amdhsa_user_sgpr_private_segment_buffer 1
		.amdhsa_user_sgpr_dispatch_ptr 0
		.amdhsa_user_sgpr_queue_ptr 0
		.amdhsa_user_sgpr_kernarg_segment_ptr 1
		.amdhsa_user_sgpr_dispatch_id 0
		.amdhsa_user_sgpr_flat_scratch_init 0
		.amdhsa_user_sgpr_kernarg_preload_length 0
		.amdhsa_user_sgpr_kernarg_preload_offset 0
		.amdhsa_user_sgpr_private_segment_size 0
		.amdhsa_uses_dynamic_stack 0
		.amdhsa_system_sgpr_private_segment_wavefront_offset 0
		.amdhsa_system_sgpr_workgroup_id_x 1
		.amdhsa_system_sgpr_workgroup_id_y 1
		.amdhsa_system_sgpr_workgroup_id_z 1
		.amdhsa_system_sgpr_workgroup_info 0
		.amdhsa_system_vgpr_workitem_id 0
		.amdhsa_next_free_vgpr 22
		.amdhsa_next_free_sgpr 32
		.amdhsa_accum_offset 24
		.amdhsa_reserve_vcc 1
		.amdhsa_reserve_flat_scratch 0
		.amdhsa_float_round_mode_32 0
		.amdhsa_float_round_mode_16_64 0
		.amdhsa_float_denorm_mode_32 3
		.amdhsa_float_denorm_mode_16_64 3
		.amdhsa_dx10_clamp 1
		.amdhsa_ieee_mode 1
		.amdhsa_fp16_overflow 0
		.amdhsa_tg_split 0
		.amdhsa_exception_fp_ieee_invalid_op 0
		.amdhsa_exception_fp_denorm_src 0
		.amdhsa_exception_fp_ieee_div_zero 0
		.amdhsa_exception_fp_ieee_overflow 0
		.amdhsa_exception_fp_ieee_underflow 0
		.amdhsa_exception_fp_ieee_inexact 0
		.amdhsa_exception_int_div_zero 0
	.end_amdhsa_kernel
	.section	.text._ZL33flash_attn_stream_k_fixup_generalILi128ELi2ELi8EEvPfPK15HIP_vector_typeIfLj2EEiiiiS1_IjLj3EES5_S5_S5_,"axG",@progbits,_ZL33flash_attn_stream_k_fixup_generalILi128ELi2ELi8EEvPfPK15HIP_vector_typeIfLj2EEiiiiS1_IjLj3EES5_S5_S5_,comdat
.Lfunc_end12:
	.size	_ZL33flash_attn_stream_k_fixup_generalILi128ELi2ELi8EEvPfPK15HIP_vector_typeIfLj2EEiiiiS1_IjLj3EES5_S5_S5_, .Lfunc_end12-_ZL33flash_attn_stream_k_fixup_generalILi128ELi2ELi8EEvPfPK15HIP_vector_typeIfLj2EEiiiiS1_IjLj3EES5_S5_S5_
                                        ; -- End function
	.section	.AMDGPU.csdata,"",@progbits
; Kernel info:
; codeLenInByte = 2824
; NumSgprs: 36
; NumVgprs: 22
; NumAgprs: 0
; TotalNumVgprs: 22
; ScratchSize: 0
; MemoryBound: 0
; FloatMode: 240
; IeeeMode: 1
; LDSByteSize: 0 bytes/workgroup (compile time only)
; SGPRBlocks: 4
; VGPRBlocks: 2
; NumSGPRsForWavesPerEU: 36
; NumVGPRsForWavesPerEU: 22
; AccumOffset: 24
; Occupancy: 8
; WaveLimiterHint : 0
; COMPUTE_PGM_RSRC2:SCRATCH_EN: 0
; COMPUTE_PGM_RSRC2:USER_SGPR: 6
; COMPUTE_PGM_RSRC2:TRAP_HANDLER: 0
; COMPUTE_PGM_RSRC2:TGID_X_EN: 1
; COMPUTE_PGM_RSRC2:TGID_Y_EN: 1
; COMPUTE_PGM_RSRC2:TGID_Z_EN: 1
; COMPUTE_PGM_RSRC2:TIDIG_COMP_CNT: 0
; COMPUTE_PGM_RSRC3_GFX90A:ACCUM_OFFSET: 5
; COMPUTE_PGM_RSRC3_GFX90A:TG_SPLIT: 0
	.section	.text._ZL15flash_attn_tileILi128ELi128ELi1ELi8ELb0EEvPKcS1_S1_S1_S1_PKiPfP15HIP_vector_typeIfLj2EEffffjfiS5_IjLj3EEiiiiiiiiiiiliiliiiiil,"axG",@progbits,_ZL15flash_attn_tileILi128ELi128ELi1ELi8ELb0EEvPKcS1_S1_S1_S1_PKiPfP15HIP_vector_typeIfLj2EEffffjfiS5_IjLj3EEiiiiiiiiiiiliiliiiiil,comdat
	.globl	_ZL15flash_attn_tileILi128ELi128ELi1ELi8ELb0EEvPKcS1_S1_S1_S1_PKiPfP15HIP_vector_typeIfLj2EEffffjfiS5_IjLj3EEiiiiiiiiiiiliiliiiiil ; -- Begin function _ZL15flash_attn_tileILi128ELi128ELi1ELi8ELb0EEvPKcS1_S1_S1_S1_PKiPfP15HIP_vector_typeIfLj2EEffffjfiS5_IjLj3EEiiiiiiiiiiiliiliiiiil
	.p2align	8
	.type	_ZL15flash_attn_tileILi128ELi128ELi1ELi8ELb0EEvPKcS1_S1_S1_S1_PKiPfP15HIP_vector_typeIfLj2EEffffjfiS5_IjLj3EEiiiiiiiiiiiliiliiiiil,@function
_ZL15flash_attn_tileILi128ELi128ELi1ELi8ELb0EEvPKcS1_S1_S1_S1_PKiPfP15HIP_vector_typeIfLj2EEffffjfiS5_IjLj3EEiiiiiiiiiiiliiliiiiil: ; @_ZL15flash_attn_tileILi128ELi128ELi1ELi8ELb0EEvPKcS1_S1_S1_S1_PKiPfP15HIP_vector_typeIfLj2EEffffjfiS5_IjLj3EEiiiiiiiiiiiliiliiiiil
; %bb.0:
	s_load_dwordx4 s[28:31], s[4:5], 0x5c
	s_load_dwordx2 s[34:35], s[4:5], 0x80
	s_load_dwordx16 s[12:27], s[4:5], 0x0
	s_mov_b64 s[36:37], 0
	s_waitcnt lgkmcnt(0)
	s_ashr_i32 s0, s31, 31
	s_lshr_b32 s0, s0, 29
	s_add_i32 s0, s31, s0
	s_ashr_i32 s0, s0, 3
	v_cvt_f32_u32_e32 v1, s0
	s_sub_i32 s1, 0, s0
	v_rcp_iflag_f32_e32 v1, v1
	v_mul_f32_e32 v1, 0x4f7ffffe, v1
	v_cvt_u32_f32_e32 v1, v1
	v_readfirstlane_b32 s2, v1
	s_mul_i32 s1, s1, s2
	s_mul_hi_u32 s1, s2, s1
	s_add_i32 s2, s2, s1
	s_mul_hi_u32 s1, s8, s2
	s_mul_i32 s2, s1, s0
	s_sub_i32 s2, s8, s2
	s_add_i32 s3, s1, 1
	s_sub_i32 s9, s2, s0
	s_cmp_ge_u32 s2, s0
	s_cselect_b32 s1, s3, s1
	s_cselect_b32 s2, s9, s2
	s_add_i32 s3, s1, 1
	s_cmp_ge_u32 s2, s0
	s_cselect_b32 s33, s3, s1
	s_abs_i32 s0, s35
	v_cvt_f32_u32_e32 v1, s0
	s_lshl_b32 s1, s8, 3
	s_mul_i32 s8, s33, s31
	s_xor_b32 s2, s31, s35
	v_rcp_iflag_f32_e32 v1, v1
	s_sub_i32 s9, 0, s0
	s_sub_i32 s35, s1, s8
	s_abs_i32 s3, s31
	v_mul_f32_e32 v1, 0x4f7ffffe, v1
	v_cvt_u32_f32_e32 v1, v1
	s_ashr_i32 s2, s2, 31
	v_readfirstlane_b32 s1, v1
	s_mul_i32 s9, s9, s1
	s_mul_hi_u32 s8, s1, s9
	s_add_i32 s1, s1, s8
	s_mul_hi_u32 s1, s3, s1
	s_mul_i32 s8, s1, s0
	s_sub_i32 s3, s3, s8
	s_add_i32 s9, s1, 1
	s_sub_i32 s8, s3, s0
	s_cmp_ge_u32 s3, s0
	s_cselect_b32 s1, s9, s1
	s_cselect_b32 s3, s8, s3
	s_add_i32 s8, s1, 1
	s_cmp_ge_u32 s3, s0
	s_cselect_b32 s0, s8, s1
	s_xor_b32 s0, s0, s2
	s_sub_i32 s9, s0, s2
	s_abs_i32 s8, s9
	v_cvt_f32_u32_e32 v1, s8
	s_load_dwordx2 s[0:1], s[4:5], 0xb8
	s_cmp_eq_u64 s[18:19], 0
	v_rcp_iflag_f32_e32 v1, v1
	v_mul_f32_e32 v1, 0x4f7ffffe, v1
	v_cvt_u32_f32_e32 v1, v1
	v_readfirstlane_b32 s10, v1
	s_cbranch_scc1 .LBB13_2
; %bb.1:
	s_waitcnt lgkmcnt(0)
	s_abs_i32 s0, s0
	v_cvt_f32_u32_e32 v1, s0
	s_sub_i32 s37, 0, s0
	s_abs_i32 s36, s33
	s_ashr_i32 s11, s33, 31
	v_rcp_iflag_f32_e32 v1, v1
	s_load_dwordx2 s[2:3], s[4:5], 0xc8
	v_mul_f32_e32 v1, 0x4f7ffffe, v1
	v_cvt_u32_f32_e32 v1, v1
	v_readfirstlane_b32 s38, v1
	s_mul_i32 s37, s37, s38
	s_mul_hi_u32 s37, s38, s37
	s_add_i32 s38, s38, s37
	s_mul_hi_u32 s37, s36, s38
	s_mul_i32 s37, s37, s0
	s_sub_i32 s36, s36, s37
	s_sub_i32 s37, s36, s0
	s_cmp_ge_u32 s36, s0
	s_cselect_b32 s36, s37, s36
	s_sub_i32 s37, s36, s0
	s_cmp_ge_u32 s36, s0
	s_cselect_b32 s0, s37, s36
	s_xor_b32 s0, s0, s11
	s_sub_i32 s0, s0, s11
	s_ashr_i32 s11, s0, 31
	s_waitcnt lgkmcnt(0)
	s_mul_i32 s3, s0, s3
	s_mul_hi_u32 s36, s0, s2
	s_add_i32 s3, s36, s3
	s_mul_i32 s11, s11, s2
	s_add_i32 s3, s3, s11
	s_mul_i32 s0, s0, s2
	s_add_u32 s36, s18, s0
	s_addc_u32 s37, s19, s3
.LBB13_2:
	s_load_dwordx4 s[40:43], s[4:5], 0x70
	v_bfe_u32 v1, v0, 10, 10
	v_and_b32_e32 v29, 7, v1
	v_lshrrev_b32_e32 v6, 3, v1
	v_add_u32_e32 v9, s6, v6
	s_waitcnt lgkmcnt(0)
	s_mul_i32 s0, s33, s42
	s_ashr_i32 s3, s0, 31
	s_mul_i32 s2, s35, s41
	s_add_u32 s0, s12, s0
	s_addc_u32 s3, s13, s3
	s_ashr_i32 s11, s2, 31
	s_add_u32 s0, s0, s2
	s_addc_u32 s11, s3, s11
	s_ashr_i32 s12, s41, 31
	v_mov_b32_e32 v2, s41
	v_alignbit_b32 v2, s12, v2, 2
	v_mad_u64_u32 v[4:5], s[2:3], v2, v29, 0
	v_mov_b32_e32 v2, v5
	s_lshr_b32 s2, s12, 2
	v_mad_u64_u32 v[2:3], s[2:3], s2, v29, v[2:3]
	v_mov_b32_e32 v5, v2
	v_mul_hi_u32 v2, s28, v9
	v_add_u32_e32 v2, v9, v2
	v_lshrrev_b32_e32 v2, s29, v2
	v_mul_lo_u32 v2, v2, s30
	s_ashr_i32 s12, s40, 31
	v_mov_b32_e32 v3, s40
	v_sub_u32_e32 v2, v9, v2
	v_alignbit_b32 v3, s12, v3, 2
	v_mad_u64_u32 v[6:7], s[2:3], v3, v2, 0
	v_mov_b32_e32 v8, v7
	s_lshr_b32 s2, s12, 2
	v_mad_u64_u32 v[10:11], s[2:3], s2, v2, v[8:9]
	v_lshlrev_b64 v[4:5], 2, v[4:5]
	v_mov_b32_e32 v7, v10
	v_and_b32_e32 v8, 0x3ff, v0
	v_mov_b32_e32 v0, s11
	v_add_co_u32_e32 v3, vcc, s0, v4
	v_addc_co_u32_e32 v0, vcc, v0, v5, vcc
	v_lshlrev_b64 v[4:5], 2, v[6:7]
	v_add_co_u32_e32 v3, vcc, v3, v4
	v_addc_co_u32_e32 v0, vcc, v0, v5, vcc
	v_lshlrev_b32_e32 v4, 4, v8
	v_add_co_u32_e32 v4, vcc, v3, v4
	v_addc_co_u32_e32 v5, vcc, 0, v0, vcc
	global_load_dwordx4 v[4:7], v[4:5], off
	s_load_dword s0, s[4:5], 0x40
	v_lshlrev_b32_e32 v0, 6, v1
	v_lshlrev_b32_e32 v3, 1, v8
	v_add_lshl_u32 v0, v0, v3, 2
	s_cmp_eq_u64 s[22:23], 0
	s_waitcnt vmcnt(0) lgkmcnt(0)
	v_pk_mul_f32 v[4:5], v[4:5], s[0:1] op_sel_hi:[1,0]
	v_pk_mul_f32 v[6:7], v[6:7], s[0:1] op_sel_hi:[1,0]
	v_cvt_f16_f32_e32 v10, v5
	v_cvt_f16_f32_e32 v5, v7
	v_cvt_f16_f32_e32 v6, v6
	v_cvt_f16_f32_e32 v4, v4
	v_pack_b32_f16 v5, v6, v5
	v_pack_b32_f16 v4, v4, v10
	ds_write_b64 v0, v[4:5] offset:17408
	s_waitcnt lgkmcnt(0)
	s_barrier
	s_cbranch_scc1 .LBB13_4
; %bb.3:
	s_load_dword s0, s[4:5], 0xd0
	s_mov_b32 s3, 0
	s_waitcnt lgkmcnt(0)
	s_mul_i32 s0, s0, s33
	s_add_i32 s2, s0, s6
	s_lshl_b64 s[2:3], s[2:3], 2
	s_add_u32 s2, s22, s2
	s_addc_u32 s3, s23, s3
	s_load_dword s34, s[2:3], 0x0
.LBB13_4:
	s_lshl_b32 s6, s7, 6
	s_waitcnt lgkmcnt(0)
	s_cmp_lt_i32 s6, s34
	v_mbcnt_lo_u32_b32 v0, -1, 0
	s_cbranch_scc1 .LBB13_6
; %bb.5:
	v_mbcnt_hi_u32_b32 v11, -1, v0
	v_and_b32_e32 v3, 0x60, v11
	s_mov_b32 s0, 0
	v_add_u32_e32 v31, 32, v3
	v_xor_b32_e32 v36, 16, v11
	v_xor_b32_e32 v35, 8, v11
	;; [unrolled: 1-line block ×5, first 2 shown]
	s_mov_b64 s[2:3], 0
	s_mov_b32 s11, 0xfeffffff
	s_branch .LBB13_7
.LBB13_6:
	s_mov_b64 s[2:3], -1
                                        ; implicit-def: $sgpr11
                                        ; implicit-def: $sgpr0
                                        ; implicit-def: $vgpr11
                                        ; implicit-def: $vgpr31
                                        ; implicit-def: $vgpr36
                                        ; implicit-def: $vgpr35
                                        ; implicit-def: $vgpr34
                                        ; implicit-def: $vgpr33
                                        ; implicit-def: $vgpr32
.LBB13_7:
	v_lshlrev_b32_e32 v30, 2, v8
	s_andn2_b64 vcc, exec, s[2:3]
	v_mov_b32_e32 v28, s11
	v_mov_b32_e32 v62, s0
	v_mov_b32_e32 v61, s0
	v_mov_b32_e32 v39, s0
	s_cbranch_vccnz .LBB13_10
; %bb.8:
	s_load_dwordx2 s[2:3], s[4:5], 0x8c
	s_load_dwordx4 s[40:43], s[4:5], 0x98
	s_sub_i32 s0, 0, s8
	s_mul_i32 s0, s0, s10
	s_mul_hi_u32 s0, s10, s0
	s_waitcnt lgkmcnt(0)
	s_ashr_i32 s23, s2, 2
	s_ashr_i32 s2, s33, 31
	s_mul_i32 s18, s33, s41
	s_mul_hi_u32 s19, s33, s40
	s_add_i32 s18, s19, s18
	s_mul_i32 s19, s2, s40
	s_abs_i32 s12, s35
	s_add_i32 s10, s10, s0
	s_ashr_i32 s13, s35, 31
	s_ashr_i32 s9, s9, 31
	;; [unrolled: 1-line block ×4, first 2 shown]
	s_add_i32 s18, s18, s19
	s_mul_i32 s19, s33, s40
	s_mul_hi_u32 s0, s12, s10
	s_add_u32 s14, s14, s19
	s_addc_u32 s15, s15, s18
	s_xor_b32 s9, s13, s9
	s_mul_i32 s13, s0, s8
	s_sub_i32 s12, s12, s13
	s_add_i32 s13, s0, 1
	s_sub_i32 s18, s12, s8
	s_cmp_ge_u32 s12, s8
	s_cselect_b32 s0, s13, s0
	s_cselect_b32 s12, s18, s12
	s_add_i32 s13, s0, 1
	s_cmp_ge_u32 s12, s8
	s_cselect_b32 s0, s13, s0
	s_load_dwordx2 s[10:11], s[4:5], 0xa8
	s_xor_b32 s0, s0, s9
	s_sub_i32 s0, s0, s9
	s_mul_i32 s3, s0, s3
	s_ashr_i32 s8, s3, 31
	s_add_u32 s28, s14, s3
	s_addc_u32 s29, s15, s8
	s_waitcnt lgkmcnt(0)
	s_mul_i32 s3, s33, s11
	s_mul_hi_u32 s8, s33, s10
	s_add_i32 s3, s8, s3
	s_mul_i32 s2, s2, s10
	s_add_i32 s3, s3, s2
	s_mul_i32 s2, s33, s10
	s_add_u32 s2, s16, s2
	s_mul_i32 s0, s0, s43
	s_addc_u32 s3, s17, s3
	s_ashr_i32 s8, s0, 31
	v_lshrrev_b32_e32 v3, 4, v8
	v_and_b32_e32 v4, 60, v30
	s_add_u32 s38, s2, s0
	v_lshl_add_u32 v3, v1, 1, v3
	v_lshlrev_b32_e32 v5, 2, v4
	s_movk_i32 s0, 0x110
	s_addc_u32 s39, s3, s8
	v_mad_u32_u24 v37, v3, s0, v5
	v_mul_lo_u32 v6, s23, v3
	s_lshl_b32 s0, s23, 4
	v_add_u32_e32 v14, s0, v6
	v_add_u32_e32 v16, s0, v14
	v_mov_b32_e32 v10, 0x4400
	v_add_u32_e32 v18, s0, v16
	v_lshl_add_u32 v42, v1, 8, v10
	v_mad_u64_u32 v[10:11], s[0:1], v2, s1, v[8:9]
	v_mov_b32_e32 v2, 0x4c00
	v_lshl_add_u32 v44, v1, 7, v2
	v_mul_lo_u32 v2, s22, v3
	s_lshl_b32 s0, s22, 4
	v_add_u32_e32 v22, s0, v2
	v_add_u32_e32 v24, s0, v22
	;; [unrolled: 1-line block ×3, first 2 shown]
	v_mbcnt_hi_u32_b32 v11, -1, v0
	v_ashrrev_i32_e32 v7, 31, v6
	v_ashrrev_i32_e32 v15, 31, v14
	;; [unrolled: 1-line block ×4, first 2 shown]
	v_lshl_or_b32 v46, v3, 8, v5
	v_ashrrev_i32_e32 v3, 31, v2
	v_ashrrev_i32_e32 v23, 31, v22
	;; [unrolled: 1-line block ×4, first 2 shown]
	v_lshlrev_b32_e32 v50, 3, v8
	s_add_u32 s18, s4, 0xd0
	v_and_b32_e32 v0, 0x60, v11
	v_mov_b32_e32 v39, 0
	v_add_u32_e32 v38, 0x1100, v37
	v_add_u32_e32 v40, 0x2200, v37
	;; [unrolled: 1-line block ×3, first 2 shown]
	v_mul_u32_u24_e32 v43, 0x110, v8
	v_lshl_add_u32 v45, v8, 1, v44
	v_add_u32_e32 v47, 0x1000, v46
	v_add_u32_e32 v48, 0x2000, v46
	;; [unrolled: 1-line block ×3, first 2 shown]
	s_addc_u32 s19, s5, 0
	v_mov_b32_e32 v28, 0xfeffffff
	v_lshlrev_b64 v[12:13], 2, v[6:7]
	v_lshlrev_b32_e32 v51, 2, v4
	v_lshlrev_b64 v[14:15], 2, v[14:15]
	v_lshlrev_b64 v[16:17], 2, v[16:17]
	;; [unrolled: 1-line block ×3, first 2 shown]
	v_mov_b32_e32 v52, s37
	v_add_u32_e32 v31, 32, v0
	v_xor_b32_e32 v36, 16, v11
	v_xor_b32_e32 v35, 8, v11
	;; [unrolled: 1-line block ×5, first 2 shown]
	s_mov_b32 s37, 0x3fb8aa3b
	s_mov_b32 s40, 0xc2ce8ed0
	;; [unrolled: 1-line block ×3, first 2 shown]
	v_mov_b32_e32 v53, 0x7f800000
	v_lshlrev_b64 v[20:21], 2, v[2:3]
	v_lshlrev_b64 v[22:23], 2, v[22:23]
	;; [unrolled: 1-line block ×4, first 2 shown]
	v_add_u32_e32 v54, 0x800, v50
	v_add_u32_e32 v55, 0x1000, v50
	;; [unrolled: 1-line block ×7, first 2 shown]
	v_mov_b32_e32 v61, 0
	v_mov_b32_e32 v62, 0
.LBB13_9:                               ; =>This Inner Loop Header: Depth=1
	s_mul_hi_i32 s13, s6, s23
	s_mul_i32 s12, s6, s23
	v_add_u32_e32 v2, s6, v10
	v_cmp_lt_i32_e64 s[0:1], v35, v31
	v_cmp_lt_i32_e64 s[10:11], v32, v31
	v_cndmask_b32_e64 v7, v11, v35, s[0:1]
	s_lshl_b64 s[0:1], s[12:13], 2
	v_ashrrev_i32_e32 v3, 31, v2
	v_cmp_lt_i32_e32 vcc, v36, v31
	v_cmp_lt_i32_e64 s[8:9], v33, v31
	v_cndmask_b32_e64 v63, v11, v32, s[10:11]
	s_add_u32 s10, s28, s0
	v_lshlrev_b64 v[2:3], 1, v[2:3]
	v_cmp_lt_i32_e64 s[2:3], v34, v31
	v_mov_b32_e32 v5, v62
	s_mul_hi_i32 s15, s6, s22
	s_mul_i32 s14, s6, s22
	v_cndmask_b32_e32 v6, v11, v36, vcc
	v_cndmask_b32_e64 v62, v11, v33, s[8:9]
	s_addc_u32 s12, s29, s1
	v_add_co_u32_e32 v2, vcc, s36, v2
	v_mov_b32_e32 v4, v28
	v_cndmask_b32_e64 v28, v11, v34, s[2:3]
	v_lshlrev_b32_e32 v92, 2, v6
	v_lshlrev_b32_e32 v93, 2, v7
	;; [unrolled: 1-line block ×4, first 2 shown]
	s_lshl_b64 s[42:43], s[14:15], 2
	v_add_co_u32_e64 v6, s[0:1], s10, v14
	v_add_co_u32_e64 v7, s[2:3], s10, v16
	;; [unrolled: 1-line block ×4, first 2 shown]
	v_addc_co_u32_e32 v3, vcc, v52, v3, vcc
	v_mov_b32_e32 v64, s12
	v_mov_b32_e32 v65, s12
	;; [unrolled: 1-line block ×4, first 2 shown]
	s_add_u32 s42, s38, s42
	v_add_co_u32_e32 v6, vcc, v6, v51
	v_add_co_u32_e64 v78, s[12:13], v7, v51
	v_add_co_u32_e64 v80, s[14:15], v62, v51
	;; [unrolled: 1-line block ×3, first 2 shown]
	v_addc_co_u32_e64 v7, s[10:11], v64, v13, s[10:11]
	v_addc_co_u32_e64 v62, s[0:1], v65, v15, s[0:1]
	;; [unrolled: 1-line block ×4, first 2 shown]
	v_add_co_u32_e64 v65, s[0:1], s42, v20
	v_add_co_u32_e64 v66, s[2:3], s42, v22
	;; [unrolled: 1-line block ×4, first 2 shown]
	v_addc_co_u32_e64 v83, s[16:17], 0, v7, s[16:17]
	v_addc_co_u32_e32 v7, vcc, 0, v62, vcc
	v_addc_co_u32_e64 v79, vcc, 0, v63, s[12:13]
	v_addc_co_u32_e64 v81, vcc, 0, v64, s[14:15]
	v_add_co_u32_e32 v84, vcc, v66, v51
	v_add_co_u32_e64 v86, s[12:13], v67, v51
	v_add_co_u32_e64 v88, s[14:15], v68, v51
	;; [unrolled: 1-line block ×3, first 2 shown]
	global_load_dwordx4 v[62:65], v[82:83], off
	global_load_dwordx4 v[66:69], v[6:7], off
	;; [unrolled: 1-line block ×4, first 2 shown]
	v_mov_b32_e32 v0, 0
	v_mov_b32_e32 v1, 0
	s_waitcnt vmcnt(3)
	ds_write_b128 v37, v[62:65]
	s_waitcnt vmcnt(2)
	ds_write_b128 v38, v[66:69]
	;; [unrolled: 2-line block ×4, first 2 shown]
	s_waitcnt lgkmcnt(0)
	s_barrier
	ds_read_b128 v[62:65], v43
	ds_read_b128 v[66:69], v42
	ds_read_b128 v[70:73], v43 offset:8704
	s_waitcnt lgkmcnt(1)
	;;#ASMSTART
	v_dot2_f32_f16 v0, v62, v66, v0
	;;#ASMEND
	;;#ASMSTART
	v_dot2_f32_f16 v0, v63, v67, v0
	;;#ASMEND
	;;#ASMSTART
	v_dot2_f32_f16 v0, v64, v68, v0
	;;#ASMEND
	;;#ASMSTART
	v_dot2_f32_f16 v0, v65, v69, v0
	;;#ASMEND
	s_waitcnt lgkmcnt(0)
	;;#ASMSTART
	v_dot2_f32_f16 v1, v70, v66, v1
	;;#ASMEND
	;;#ASMSTART
	v_dot2_f32_f16 v1, v71, v67, v1
	;;#ASMEND
	;;#ASMSTART
	v_dot2_f32_f16 v1, v72, v68, v1
	;;#ASMEND
	;;#ASMSTART
	v_dot2_f32_f16 v1, v73, v69, v1
	;;#ASMEND
	ds_read_b128 v[62:65], v43 offset:16
	ds_read_b128 v[66:69], v42 offset:16
	ds_read_b128 v[70:73], v43 offset:8720
	s_waitcnt lgkmcnt(1)
	;;#ASMSTART
	v_dot2_f32_f16 v0, v62, v66, v0
	;;#ASMEND
	;;#ASMSTART
	v_dot2_f32_f16 v0, v63, v67, v0
	;;#ASMEND
	;;#ASMSTART
	v_dot2_f32_f16 v0, v64, v68, v0
	;;#ASMEND
	;;#ASMSTART
	v_dot2_f32_f16 v0, v65, v69, v0
	;;#ASMEND
	s_waitcnt lgkmcnt(0)
	;;#ASMSTART
	v_dot2_f32_f16 v1, v70, v66, v1
	;;#ASMEND
	;;#ASMSTART
	v_dot2_f32_f16 v1, v71, v67, v1
	;;#ASMEND
	;;#ASMSTART
	v_dot2_f32_f16 v1, v72, v68, v1
	;;#ASMEND
	;;#ASMSTART
	v_dot2_f32_f16 v1, v73, v69, v1
	;;#ASMEND
	ds_read_b128 v[62:65], v43 offset:32
	ds_read_b128 v[66:69], v42 offset:32
	;; [unrolled: 29-line block ×15, first 2 shown]
	ds_read_b128 v[70:73], v43 offset:8944
	s_waitcnt lgkmcnt(1)
	;;#ASMSTART
	v_dot2_f32_f16 v0, v62, v66, v0
	;;#ASMEND
	;;#ASMSTART
	v_dot2_f32_f16 v0, v63, v67, v0
	;;#ASMEND
	;; [unrolled: 3-line block ×3, first 2 shown]
	s_addc_u32 s43, s39, s43
	;;#ASMSTART
	v_dot2_f32_f16 v0, v65, v69, v0
	;;#ASMEND
	s_waitcnt lgkmcnt(0)
	;;#ASMSTART
	v_dot2_f32_f16 v1, v70, v66, v1
	;;#ASMEND
	v_mov_b32_e32 v85, s43
	v_mov_b32_e32 v87, s43
	;;#ASMSTART
	v_dot2_f32_f16 v1, v71, v67, v1
	;;#ASMEND
	v_mov_b32_e32 v91, s43
	v_addc_co_u32_e64 v6, s[0:1], v85, v21, s[0:1]
	v_addc_co_u32_e64 v7, s[0:1], v87, v23, s[2:3]
	;;#ASMSTART
	v_dot2_f32_f16 v1, v72, v68, v1
	;;#ASMEND
	v_addc_co_u32_e64 v79, s[0:1], v91, v27, s[10:11]
	v_addc_co_u32_e64 v91, s[0:1], 0, v6, s[16:17]
	v_addc_co_u32_e32 v85, vcc, 0, v7, vcc
	;;#ASMSTART
	v_dot2_f32_f16 v1, v73, v69, v1
	;;#ASMEND
	flat_load_ushort v6, v[2:3] offset:64
	flat_load_ushort v7, v[2:3]
	v_mov_b32_e32 v89, s43
	v_addc_co_u32_e64 v78, s[0:1], v89, v25, s[8:9]
	v_addc_co_u32_e64 v87, vcc, 0, v78, s[12:13]
	v_addc_co_u32_e64 v89, vcc, 0, v79, s[14:15]
	s_waitcnt lgkmcnt(0)
	s_barrier
	global_load_dwordx4 v[64:67], v[90:91], off
	global_load_dwordx4 v[68:71], v[84:85], off
	;; [unrolled: 1-line block ×4, first 2 shown]
	v_lshlrev_b32_e32 v28, 2, v28
	s_waitcnt vmcnt(0)
	v_cvt_f32_f16_e32 v3, v6
	v_cvt_f32_f16_e32 v2, v7
	v_pk_add_f32 v[0:1], v[0:1], v[2:3]
	v_add_f32_e32 v2, 0x40051340, v0
	v_add_f32_e32 v3, 0x40051340, v1
	v_max3_f32 v2, v4, v2, v3
	ds_bpermute_b32 v3, v92, v2
	s_waitcnt lgkmcnt(0)
	v_max_f32_e32 v3, v3, v3
	v_max_f32_e32 v2, v2, v3
	ds_bpermute_b32 v3, v93, v2
	s_waitcnt lgkmcnt(0)
	v_max_f32_e32 v3, v3, v3
	v_max_f32_e32 v2, v2, v3
	;; [unrolled: 4-line block ×5, first 2 shown]
	v_pk_add_f32 v[0:1], v[0:1], v[28:29] op_sel_hi:[1,0] neg_lo:[0,1] neg_hi:[0,1]
	v_sub_f32_e32 v2, v4, v28
	v_mul_f32_e32 v4, 0x3fb8aa3b, v0
	v_mul_f32_e32 v3, 0x3fb8aa3b, v1
	v_fma_f32 v63, v0, s37, -v4
	v_rndne_f32_e32 v80, v4
	v_mul_f32_e32 v6, 0x3fb8aa3b, v2
	v_cmp_ngt_f32_e32 vcc, s40, v0
	v_cmp_nlt_f32_e64 s[8:9], s41, v0
	v_fma_f32 v7, v1, s37, -v3
	v_rndne_f32_e32 v62, v3
	v_fmac_f32_e32 v63, 0x32a5705f, v0
	v_sub_f32_e32 v0, v4, v80
	v_cmp_ngt_f32_e64 s[2:3], s40, v1
	v_cmp_nlt_f32_e64 s[12:13], s41, v1
	v_fma_f32 v81, v2, s37, -v6
	v_rndne_f32_e32 v82, v6
	v_fmac_f32_e32 v7, 0x32a5705f, v1
	v_sub_f32_e32 v1, v3, v62
	v_add_f32_e32 v0, v0, v63
	v_cmp_ngt_f32_e64 s[0:1], s40, v2
	v_cmp_nlt_f32_e64 s[10:11], s41, v2
	v_cvt_i32_f32_e32 v4, v80
	v_fmac_f32_e32 v81, 0x32a5705f, v2
	v_sub_f32_e32 v2, v6, v82
	v_add_f32_e32 v1, v1, v7
	v_exp_f32_e32 v0, v0
	v_cvt_i32_f32_e32 v3, v62
	v_add_f32_e32 v2, v2, v81
	v_exp_f32_e32 v1, v1
	v_cvt_i32_f32_e32 v6, v82
	v_exp_f32_e32 v2, v2
	v_ldexp_f32 v0, v0, v4
	v_ldexp_f32 v1, v1, v3
	v_cndmask_b32_e32 v0, 0, v0, vcc
	v_ldexp_f32 v2, v2, v6
	v_cndmask_b32_e64 v1, 0, v1, s[2:3]
	v_cndmask_b32_e64 v0, v53, v0, s[8:9]
	;; [unrolled: 1-line block ×4, first 2 shown]
	v_cvt_f16_f32_e32 v3, v0
	v_cndmask_b32_e64 v2, v53, v2, s[10:11]
	v_add_f32_e32 v62, v0, v1
	v_cvt_f16_f32_e32 v0, v1
	v_cvt_f16_f32_e32 v63, v2
	v_fmac_f32_e32 v62, v5, v2
	ds_write_b16 v45, v3
	ds_write_b16 v45, v0 offset:64
	ds_write_b128 v46, v[64:67]
	ds_write_b128 v47, v[68:71]
	;; [unrolled: 1-line block ×4, first 2 shown]
	s_waitcnt lgkmcnt(0)
	s_barrier
	ds_read2_b64 v[64:67], v50 offset1:32
	ds_read_b128 v[68:71], v44
	ds_read_b128 v[72:75], v44 offset:16
	ds_read_b128 v[4:7], v44 offset:32
	ds_read_b128 v[0:3], v44 offset:48
	ds_read2_b64 v[76:79], v50 offset0:64 offset1:96
	ds_read2_b64 v[80:83], v50 offset0:128 offset1:160
	ds_read2_b64 v[84:87], v50 offset0:192 offset1:224
	ds_read2_b64 v[88:91], v54 offset1:32
	ds_read2_b64 v[92:95], v54 offset0:64 offset1:96
	ds_read2_b64 v[96:99], v54 offset0:128 offset1:160
	ds_read2_b64 v[100:103], v54 offset0:192 offset1:224
	ds_read2_b64 v[104:107], v55 offset1:32
	;; [unrolled: 4-line block ×5, first 2 shown]
	s_waitcnt lgkmcnt(14)
	v_pk_mul_f16 v64, v64, v68 op_sel_hi:[1,0]
	v_pk_mul_f16 v65, v65, v68 op_sel_hi:[1,0]
	v_pk_fma_f16 v39, v39, v63, v64 op_sel_hi:[1,0,1]
	v_pk_fma_f16 v61, v61, v63, v65 op_sel_hi:[1,0,1]
	v_pk_fma_f16 v39, v66, v68, v39 op_sel:[0,1,0]
	v_pk_fma_f16 v61, v67, v68, v61 op_sel:[0,1,0]
	v_pk_fma_f16 v39, v76, v69, v39 op_sel_hi:[1,0,1]
	v_pk_fma_f16 v61, v77, v69, v61 op_sel_hi:[1,0,1]
	v_pk_fma_f16 v39, v78, v69, v39 op_sel:[0,1,0]
	v_pk_fma_f16 v61, v79, v69, v61 op_sel:[0,1,0]
	;; [unrolled: 4-line block ×7, first 2 shown]
	s_waitcnt lgkmcnt(13)
	v_pk_fma_f16 v39, v100, v75, v39 op_sel_hi:[1,0,1]
	v_pk_fma_f16 v61, v101, v75, v61 op_sel_hi:[1,0,1]
	v_pk_fma_f16 v39, v102, v75, v39 op_sel:[0,1,0]
	v_pk_fma_f16 v61, v103, v75, v61 op_sel:[0,1,0]
	s_waitcnt lgkmcnt(12)
	v_pk_fma_f16 v39, v104, v4, v39 op_sel_hi:[1,0,1]
	v_pk_fma_f16 v61, v105, v4, v61 op_sel_hi:[1,0,1]
	v_pk_fma_f16 v39, v106, v4, v39 op_sel:[0,1,0]
	v_pk_fma_f16 v4, v107, v4, v61 op_sel:[0,1,0]
	;; [unrolled: 5-line block ×6, first 2 shown]
	s_waitcnt lgkmcnt(7)
	v_pk_fma_f16 v39, v124, v1, v39 op_sel_hi:[1,0,1]
	v_pk_fma_f16 v0, v125, v1, v0 op_sel_hi:[1,0,1]
	ds_read_b128 v[156:159], v44 offset:64
	ds_read_b128 v[64:67], v44 offset:80
	v_pk_fma_f16 v39, v126, v1, v39 op_sel:[0,1,0]
	v_pk_fma_f16 v0, v127, v1, v0 op_sel:[0,1,0]
	s_waitcnt lgkmcnt(8)
	v_pk_fma_f16 v1, v128, v2, v39 op_sel_hi:[1,0,1]
	v_pk_fma_f16 v0, v129, v2, v0 op_sel_hi:[1,0,1]
	v_pk_fma_f16 v1, v130, v2, v1 op_sel:[0,1,0]
	v_pk_fma_f16 v0, v131, v2, v0 op_sel:[0,1,0]
	s_waitcnt lgkmcnt(7)
	v_pk_fma_f16 v1, v132, v3, v1 op_sel_hi:[1,0,1]
	v_pk_fma_f16 v0, v133, v3, v0 op_sel_hi:[1,0,1]
	;; [unrolled: 5-line block ×3, first 2 shown]
	v_pk_fma_f16 v1, v138, v156, v1 op_sel:[0,1,0]
	v_pk_fma_f16 v0, v139, v156, v0 op_sel:[0,1,0]
	v_pk_fma_f16 v1, v140, v157, v1 op_sel_hi:[1,0,1]
	v_pk_fma_f16 v0, v141, v157, v0 op_sel_hi:[1,0,1]
	v_pk_fma_f16 v1, v142, v157, v1 op_sel:[0,1,0]
	v_pk_fma_f16 v0, v143, v157, v0 op_sel:[0,1,0]
	v_pk_fma_f16 v1, v144, v158, v1 op_sel_hi:[1,0,1]
	v_pk_fma_f16 v0, v145, v158, v0 op_sel_hi:[1,0,1]
	ds_read2_b64 v[76:79], v58 offset0:64 offset1:96
	v_pk_fma_f16 v1, v146, v158, v1 op_sel:[0,1,0]
	v_pk_fma_f16 v0, v147, v158, v0 op_sel:[0,1,0]
	v_pk_fma_f16 v1, v148, v159, v1 op_sel_hi:[1,0,1]
	v_pk_fma_f16 v0, v149, v159, v0 op_sel_hi:[1,0,1]
	ds_read2_b64 v[80:83], v58 offset0:128 offset1:160
	v_pk_fma_f16 v1, v150, v159, v1 op_sel:[0,1,0]
	v_pk_fma_f16 v0, v151, v159, v0 op_sel:[0,1,0]
	s_waitcnt lgkmcnt(2)
	v_pk_fma_f16 v1, v152, v64, v1 op_sel_hi:[1,0,1]
	v_pk_fma_f16 v0, v153, v64, v0 op_sel_hi:[1,0,1]
	v_pk_fma_f16 v1, v154, v64, v1 op_sel:[0,1,0]
	v_pk_fma_f16 v0, v155, v64, v0 op_sel:[0,1,0]
	ds_read2_b64 v[68:71], v58 offset0:192 offset1:224
	ds_read2_b64 v[84:87], v59 offset1:32
	s_waitcnt lgkmcnt(3)
	v_pk_fma_f16 v1, v76, v65, v1 op_sel_hi:[1,0,1]
	v_pk_fma_f16 v0, v77, v65, v0 op_sel_hi:[1,0,1]
	ds_read2_b64 v[88:91], v59 offset0:64 offset1:96
	ds_read2_b64 v[92:95], v59 offset0:128 offset1:160
	;; [unrolled: 1-line block ×3, first 2 shown]
	ds_read2_b64 v[72:75], v60 offset1:32
	ds_read_b128 v[100:103], v44 offset:96
	v_pk_fma_f16 v1, v78, v65, v1 op_sel:[0,1,0]
	v_pk_fma_f16 v0, v79, v65, v0 op_sel:[0,1,0]
	s_waitcnt lgkmcnt(7)
	v_pk_fma_f16 v1, v80, v66, v1 op_sel_hi:[1,0,1]
	v_pk_fma_f16 v0, v81, v66, v0 op_sel_hi:[1,0,1]
	v_pk_fma_f16 v1, v82, v66, v1 op_sel:[0,1,0]
	v_pk_fma_f16 v0, v83, v66, v0 op_sel:[0,1,0]
	s_waitcnt lgkmcnt(6)
	v_pk_fma_f16 v1, v68, v67, v1 op_sel_hi:[1,0,1]
	v_pk_fma_f16 v0, v69, v67, v0 op_sel_hi:[1,0,1]
	;; [unrolled: 5-line block ×3, first 2 shown]
	v_pk_fma_f16 v1, v86, v100, v1 op_sel:[0,1,0]
	v_pk_fma_f16 v0, v87, v100, v0 op_sel:[0,1,0]
	v_pk_fma_f16 v1, v88, v101, v1 op_sel_hi:[1,0,1]
	v_pk_fma_f16 v0, v89, v101, v0 op_sel_hi:[1,0,1]
	ds_read_b128 v[104:107], v44 offset:112
	v_pk_fma_f16 v1, v90, v101, v1 op_sel:[0,1,0]
	v_pk_fma_f16 v0, v91, v101, v0 op_sel:[0,1,0]
	v_pk_fma_f16 v1, v92, v102, v1 op_sel_hi:[1,0,1]
	v_pk_fma_f16 v0, v93, v102, v0 op_sel_hi:[1,0,1]
	ds_read2_b64 v[108:111], v60 offset0:64 offset1:96
	v_pk_fma_f16 v1, v94, v102, v1 op_sel:[0,1,0]
	v_pk_fma_f16 v0, v95, v102, v0 op_sel:[0,1,0]
	v_pk_fma_f16 v1, v96, v103, v1 op_sel_hi:[1,0,1]
	v_pk_fma_f16 v0, v97, v103, v0 op_sel_hi:[1,0,1]
	ds_read2_b64 v[112:115], v60 offset0:128 offset1:160
	v_pk_fma_f16 v1, v98, v103, v1 op_sel:[0,1,0]
	v_pk_fma_f16 v0, v99, v103, v0 op_sel:[0,1,0]
	ds_read2_b64 v[4:7], v60 offset0:192 offset1:224
	s_waitcnt lgkmcnt(0)
	s_barrier
	s_load_dword s0, s[18:19], 0x4
	v_pk_fma_f16 v1, v72, v104, v1 op_sel_hi:[1,0,1]
	v_pk_fma_f16 v0, v73, v104, v0 op_sel_hi:[1,0,1]
	v_pk_fma_f16 v1, v74, v104, v1 op_sel:[0,1,0]
	v_pk_fma_f16 v0, v75, v104, v0 op_sel:[0,1,0]
	v_pk_fma_f16 v1, v108, v105, v1 op_sel_hi:[1,0,1]
	v_pk_fma_f16 v0, v109, v105, v0 op_sel_hi:[1,0,1]
	v_pk_fma_f16 v1, v110, v105, v1 op_sel:[0,1,0]
	v_pk_fma_f16 v0, v111, v105, v0 op_sel:[0,1,0]
	v_pk_fma_f16 v1, v112, v106, v1 op_sel_hi:[1,0,1]
	v_pk_fma_f16 v0, v113, v106, v0 op_sel_hi:[1,0,1]
	s_waitcnt lgkmcnt(0)
	s_lshl_b32 s0, s0, 6
	v_pk_fma_f16 v1, v114, v106, v1 op_sel:[0,1,0]
	v_pk_fma_f16 v0, v115, v106, v0 op_sel:[0,1,0]
	s_add_i32 s6, s0, s6
	v_pk_fma_f16 v1, v4, v107, v1 op_sel_hi:[1,0,1]
	v_pk_fma_f16 v0, v5, v107, v0 op_sel_hi:[1,0,1]
	s_cmp_lt_i32 s6, s34
	v_pk_fma_f16 v39, v6, v107, v1 op_sel:[0,1,0]
	v_pk_fma_f16 v61, v7, v107, v0 op_sel:[0,1,0]
	s_cbranch_scc1 .LBB13_9
.LBB13_10:
	v_cmp_lt_i32_e32 vcc, v36, v31
	v_cndmask_b32_e32 v0, v11, v36, vcc
	v_lshlrev_b32_e32 v0, 2, v0
	ds_bpermute_b32 v0, v0, v62
	v_cmp_lt_i32_e32 vcc, v35, v31
	v_cndmask_b32_e32 v1, v11, v35, vcc
	v_lshlrev_b32_e32 v1, 2, v1
	v_cmp_lt_i32_e32 vcc, v34, v31
	s_waitcnt lgkmcnt(0)
	v_add_f32_e32 v0, v62, v0
	ds_bpermute_b32 v1, v1, v0
	v_cndmask_b32_e32 v2, v11, v34, vcc
	v_lshlrev_b32_e32 v2, 2, v2
	v_cmp_lt_i32_e32 vcc, v33, v31
	s_cmp_eq_u64 s[20:21], 0
	s_waitcnt lgkmcnt(0)
	v_add_f32_e32 v0, v0, v1
	ds_bpermute_b32 v1, v2, v0
	v_cndmask_b32_e32 v2, v11, v33, vcc
	v_lshlrev_b32_e32 v2, 2, v2
	v_cmp_lt_i32_e32 vcc, v32, v31
	v_cndmask_b32_e32 v3, v11, v32, vcc
	s_waitcnt lgkmcnt(0)
	v_add_f32_e32 v1, v0, v1
	ds_bpermute_b32 v2, v2, v1
	v_lshlrev_b32_e32 v3, 2, v3
	s_cselect_b64 s[0:1], -1, 0
	s_cmp_lg_u32 s7, 0
	s_cselect_b64 s[2:3], -1, 0
	s_waitcnt lgkmcnt(0)
	v_add_f32_e32 v1, v1, v2
	ds_bpermute_b32 v2, v3, v1
	s_or_b64 s[0:1], s[2:3], s[0:1]
	v_add_u32_e32 v0, s35, v29
	s_and_b64 vcc, exec, s[0:1]
	s_waitcnt lgkmcnt(0)
	v_add_f32_e32 v29, v1, v2
	s_cbranch_vccnz .LBB13_12
; %bb.11:
	v_ashrrev_i32_e32 v1, 31, v0
	v_lshlrev_b64 v[2:3], 2, v[0:1]
	v_mov_b32_e32 v1, s21
	v_add_co_u32_e32 v2, vcc, s20, v2
	v_addc_co_u32_e32 v3, vcc, v1, v3, vcc
	global_load_dword v1, v[2:3], off
	v_max_f32_e32 v2, v28, v28
	s_mov_b32 s0, 0x3fb8aa3b
	s_mov_b32 s1, 0xc2ce8ed0
	s_waitcnt vmcnt(0)
	v_max_f32_e32 v3, v1, v1
	v_max_f32_e32 v2, v2, v3
	v_sub_f32_e32 v3, v28, v2
	v_sub_f32_e32 v1, v1, v2
	v_mul_f32_e32 v4, 0x3fb8aa3b, v3
	v_mul_f32_e32 v5, 0x3fb8aa3b, v1
	v_fma_f32 v6, v3, s0, -v4
	v_rndne_f32_e32 v7, v4
	v_fma_f32 v10, v1, s0, -v5
	v_rndne_f32_e32 v11, v5
	v_fmac_f32_e32 v6, 0x32a5705f, v3
	v_sub_f32_e32 v4, v4, v7
	v_fmac_f32_e32 v10, 0x32a5705f, v1
	v_sub_f32_e32 v5, v5, v11
	v_add_f32_e32 v4, v4, v6
	v_cvt_i32_f32_e32 v7, v7
	v_add_f32_e32 v5, v5, v10
	v_exp_f32_e32 v4, v4
	v_cvt_i32_f32_e32 v11, v11
	v_exp_f32_e32 v5, v5
	v_cmp_ngt_f32_e32 vcc, s1, v3
	v_ldexp_f32 v4, v4, v7
	s_mov_b32 s0, 0x42b17218
	v_ldexp_f32 v5, v5, v11
	v_cndmask_b32_e32 v4, 0, v4, vcc
	v_cmp_ngt_f32_e32 vcc, s1, v1
	v_mov_b32_e32 v6, 0x7f800000
	v_cndmask_b32_e32 v5, 0, v5, vcc
	v_cmp_nlt_f32_e32 vcc, s0, v3
	v_cndmask_b32_e32 v4, v6, v4, vcc
	v_cvt_f16_f32_e32 v7, v4
	v_cmp_nlt_f32_e32 vcc, s0, v1
	v_cndmask_b32_e32 v3, v6, v5, vcc
	v_fmac_f32_e32 v3, v29, v4
	v_pk_mul_f16 v39, v7, v39 op_sel_hi:[0,1]
	v_pk_mul_f16 v61, v7, v61 op_sel_hi:[0,1]
	v_pk_mov_b32 v[28:29], v[2:3], v[2:3] op_sel:[0,1]
	s_branch .LBB13_13
.LBB13_12:
	v_mov_b32_e32 v3, v29
.LBB13_13:
	v_div_scale_f32 v1, s[0:1], v3, v3, 1.0
	v_rcp_f32_e32 v2, v1
	s_load_dword s4, s[4:5], 0xd4
	s_mul_i32 s33, s33, s30
	v_cvt_f32_f16_sdwa v7, v39 dst_sel:DWORD dst_unused:UNUSED_PAD src0_sel:WORD_1
	v_fma_f32 v4, -v1, v2, 1.0
	v_fmac_f32_e32 v2, v4, v2
	v_div_scale_f32 v4, vcc, 1.0, v3, 1.0
	v_mul_f32_e32 v5, v4, v2
	v_fma_f32 v6, -v1, v5, v4
	v_fmac_f32_e32 v5, v6, v2
	v_fma_f32 v1, -v1, v5, v4
	s_waitcnt lgkmcnt(0)
	s_cmp_lg_u32 s4, 1
	v_div_fmas_f32 v1, v1, v2, v5
	v_div_fixup_f32 v1, v1, v3, 1.0
	s_cselect_b64 s[0:1], -1, 0
	v_cndmask_b32_e64 v4, v1, 1.0, s[0:1]
	v_add_u32_e32 v1, s33, v9
	v_mad_u64_u32 v[0:1], s[2:3], v1, s31, v[0:1]
	v_mul_lo_u32 v0, s4, v0
	v_add_u32_e32 v0, s7, v0
	v_lshl_add_u32 v2, v0, 7, v30
	v_mov_b32_e32 v3, 0
	v_lshlrev_b64 v[2:3], 2, v[2:3]
	v_cvt_f32_f16_e32 v6, v39
	v_cvt_f32_f16_sdwa v11, v61 dst_sel:DWORD dst_unused:UNUSED_PAD src0_sel:WORD_1
	v_cvt_f32_f16_e32 v10, v61
	v_mov_b32_e32 v1, s25
	v_add_co_u32_e32 v12, vcc, s24, v2
	v_addc_co_u32_e32 v13, vcc, v1, v3, vcc
	v_cmp_eq_u32_e32 vcc, 0, v8
	v_pk_mul_f32 v[2:3], v[4:5], v[6:7] op_sel_hi:[0,1]
	v_pk_mul_f32 v[4:5], v[4:5], v[10:11] op_sel_hi:[0,1]
	s_and_b64 s[0:1], vcc, s[0:1]
	global_store_dwordx4 v[12:13], v[2:5], off
	s_and_saveexec_b64 s[2:3], s[0:1]
	s_cbranch_execz .LBB13_15
; %bb.14:
	v_ashrrev_i32_e32 v1, 31, v0
	v_lshlrev_b64 v[0:1], 3, v[0:1]
	v_mov_b32_e32 v2, s27
	v_add_co_u32_e32 v0, vcc, s26, v0
	v_addc_co_u32_e32 v1, vcc, v2, v1, vcc
	global_store_dwordx2 v[0:1], v[28:29], off
.LBB13_15:
	s_endpgm
	.section	.rodata,"a",@progbits
	.p2align	6, 0x0
	.amdhsa_kernel _ZL15flash_attn_tileILi128ELi128ELi1ELi8ELb0EEvPKcS1_S1_S1_S1_PKiPfP15HIP_vector_typeIfLj2EEffffjfiS5_IjLj3EEiiiiiiiiiiiliiliiiiil
		.amdhsa_group_segment_fixed_size 20480
		.amdhsa_private_segment_fixed_size 0
		.amdhsa_kernarg_size 464
		.amdhsa_user_sgpr_count 6
		.amdhsa_user_sgpr_private_segment_buffer 1
		.amdhsa_user_sgpr_dispatch_ptr 0
		.amdhsa_user_sgpr_queue_ptr 0
		.amdhsa_user_sgpr_kernarg_segment_ptr 1
		.amdhsa_user_sgpr_dispatch_id 0
		.amdhsa_user_sgpr_flat_scratch_init 0
		.amdhsa_user_sgpr_kernarg_preload_length 0
		.amdhsa_user_sgpr_kernarg_preload_offset 0
		.amdhsa_user_sgpr_private_segment_size 0
		.amdhsa_uses_dynamic_stack 0
		.amdhsa_system_sgpr_private_segment_wavefront_offset 0
		.amdhsa_system_sgpr_workgroup_id_x 1
		.amdhsa_system_sgpr_workgroup_id_y 1
		.amdhsa_system_sgpr_workgroup_id_z 1
		.amdhsa_system_sgpr_workgroup_info 0
		.amdhsa_system_vgpr_workitem_id 1
		.amdhsa_next_free_vgpr 160
		.amdhsa_next_free_sgpr 44
		.amdhsa_accum_offset 160
		.amdhsa_reserve_vcc 1
		.amdhsa_reserve_flat_scratch 0
		.amdhsa_float_round_mode_32 0
		.amdhsa_float_round_mode_16_64 0
		.amdhsa_float_denorm_mode_32 3
		.amdhsa_float_denorm_mode_16_64 3
		.amdhsa_dx10_clamp 1
		.amdhsa_ieee_mode 1
		.amdhsa_fp16_overflow 0
		.amdhsa_tg_split 0
		.amdhsa_exception_fp_ieee_invalid_op 0
		.amdhsa_exception_fp_denorm_src 0
		.amdhsa_exception_fp_ieee_div_zero 0
		.amdhsa_exception_fp_ieee_overflow 0
		.amdhsa_exception_fp_ieee_underflow 0
		.amdhsa_exception_fp_ieee_inexact 0
		.amdhsa_exception_int_div_zero 0
	.end_amdhsa_kernel
	.section	.text._ZL15flash_attn_tileILi128ELi128ELi1ELi8ELb0EEvPKcS1_S1_S1_S1_PKiPfP15HIP_vector_typeIfLj2EEffffjfiS5_IjLj3EEiiiiiiiiiiiliiliiiiil,"axG",@progbits,_ZL15flash_attn_tileILi128ELi128ELi1ELi8ELb0EEvPKcS1_S1_S1_S1_PKiPfP15HIP_vector_typeIfLj2EEffffjfiS5_IjLj3EEiiiiiiiiiiiliiliiiiil,comdat
.Lfunc_end13:
	.size	_ZL15flash_attn_tileILi128ELi128ELi1ELi8ELb0EEvPKcS1_S1_S1_S1_PKiPfP15HIP_vector_typeIfLj2EEffffjfiS5_IjLj3EEiiiiiiiiiiiliiliiiiil, .Lfunc_end13-_ZL15flash_attn_tileILi128ELi128ELi1ELi8ELb0EEvPKcS1_S1_S1_S1_PKiPfP15HIP_vector_typeIfLj2EEffffjfiS5_IjLj3EEiiiiiiiiiiiliiliiiiil
                                        ; -- End function
	.section	.AMDGPU.csdata,"",@progbits
; Kernel info:
; codeLenInByte = 6392
; NumSgprs: 48
; NumVgprs: 160
; NumAgprs: 0
; TotalNumVgprs: 160
; ScratchSize: 0
; MemoryBound: 0
; FloatMode: 240
; IeeeMode: 1
; LDSByteSize: 20480 bytes/workgroup (compile time only)
; SGPRBlocks: 5
; VGPRBlocks: 19
; NumSGPRsForWavesPerEU: 48
; NumVGPRsForWavesPerEU: 160
; AccumOffset: 160
; Occupancy: 3
; WaveLimiterHint : 1
; COMPUTE_PGM_RSRC2:SCRATCH_EN: 0
; COMPUTE_PGM_RSRC2:USER_SGPR: 6
; COMPUTE_PGM_RSRC2:TRAP_HANDLER: 0
; COMPUTE_PGM_RSRC2:TGID_X_EN: 1
; COMPUTE_PGM_RSRC2:TGID_Y_EN: 1
; COMPUTE_PGM_RSRC2:TGID_Z_EN: 1
; COMPUTE_PGM_RSRC2:TIDIG_COMP_CNT: 1
; COMPUTE_PGM_RSRC3_GFX90A:ACCUM_OFFSET: 39
; COMPUTE_PGM_RSRC3_GFX90A:TG_SPLIT: 0
	.section	.text._ZL25flash_attn_mask_to_KV_maxILi1EEvPK7__half2Piiii,"axG",@progbits,_ZL25flash_attn_mask_to_KV_maxILi1EEvPK7__half2Piiii,comdat
	.globl	_ZL25flash_attn_mask_to_KV_maxILi1EEvPK7__half2Piiii ; -- Begin function _ZL25flash_attn_mask_to_KV_maxILi1EEvPK7__half2Piiii
	.p2align	8
	.type	_ZL25flash_attn_mask_to_KV_maxILi1EEvPK7__half2Piiii,@function
_ZL25flash_attn_mask_to_KV_maxILi1EEvPK7__half2Piiii: ; @_ZL25flash_attn_mask_to_KV_maxILi1EEvPK7__half2Piiii
; %bb.0:
	s_load_dwordx4 s[8:11], s[4:5], 0x0
	v_cmp_gt_u32_e32 vcc, 32, v0
	s_and_saveexec_b64 s[0:1], vcc
	s_cbranch_execz .LBB14_2
; %bb.1:
	v_lshlrev_b32_e32 v1, 2, v0
	v_mov_b32_e32 v2, 1
	ds_write_b32 v1, v2
.LBB14_2:
	s_or_b64 exec, exec, s[0:1]
	s_load_dwordx4 s[0:3], s[4:5], 0x10
	s_load_dword s12, s[4:5], 0x20
	v_and_b32_e32 v2, 31, v0
	v_cmp_eq_u32_e32 vcc, 0, v2
	v_lshlrev_b32_e32 v4, 2, v2
	s_waitcnt lgkmcnt(0)
	s_mul_i32 s2, s7, s2
	s_mul_i32 s1, s6, s1
	s_add_i32 s2, s2, s1
	s_ashr_i32 s3, s2, 31
	v_mbcnt_lo_u32_b32 v2, -1, 0
	s_lshl_b64 s[2:3], s[2:3], 2
	v_mbcnt_hi_u32_b32 v5, -1, v2
	s_add_u32 s13, s8, s2
	v_and_b32_e32 v2, 0x60, v5
	s_addc_u32 s14, s9, s3
	s_lshl_b32 s15, s0, 8
	v_lshrrev_b32_e32 v1, 3, v0
	s_mov_b64 s[4:5], 0
	v_mov_b32_e32 v3, 0
	s_movk_i32 s16, 0x204
	s_movk_i32 s17, 0x7fff
	;; [unrolled: 1-line block ×3, first 2 shown]
	v_add_u32_e32 v6, 32, v2
	v_xor_b32_e32 v7, 16, v5
	v_xor_b32_e32 v8, 8, v5
	;; [unrolled: 1-line block ×5, first 2 shown]
	s_barrier
	s_waitcnt lgkmcnt(0)
                                        ; implicit-def: $sgpr0_sgpr1
	s_branch .LBB14_5
.LBB14_3:                               ;   in Loop: Header=BB14_5 Depth=1
	s_or_b64 exec, exec, s[2:3]
	s_waitcnt lgkmcnt(0)
	s_barrier
	ds_read_b32 v16, v4
	s_waitcnt lgkmcnt(0)
	s_barrier
	ds_bpermute_b32 v2, v2, v16
	v_cmp_ne_u32_e64 s[0:1], 0, v16
	s_waitcnt lgkmcnt(0)
	v_cmp_ne_u32_e64 s[2:3], 0, v2
	s_and_b64 s[2:3], s[0:1], s[2:3]
	v_cndmask_b32_e64 v2, 0, 1, s[2:3]
	ds_bpermute_b32 v2, v12, v2
	s_waitcnt lgkmcnt(0)
	v_cmp_ne_u32_e64 s[0:1], 0, v2
	s_and_b64 s[2:3], s[0:1], s[2:3]
	v_cndmask_b32_e64 v2, 0, 1, s[2:3]
	ds_bpermute_b32 v2, v13, v2
	;; [unrolled: 5-line block ×4, first 2 shown]
	s_xor_b64 s[2:3], s[0:1], -1
	s_waitcnt lgkmcnt(0)
	v_cmp_eq_u32_e64 s[0:1], 0, v2
	s_or_b64 s[0:1], s[0:1], s[2:3]
.LBB14_4:                               ;   in Loop: Header=BB14_5 Depth=1
	s_and_b64 s[2:3], exec, s[0:1]
	s_or_b64 s[4:5], s[2:3], s[4:5]
	v_mov_b32_e32 v2, s15
	s_mov_b32 s15, s19
	s_andn2_b64 exec, exec, s[4:5]
	s_cbranch_execz .LBB14_8
.LBB14_5:                               ; =>This Inner Loop Header: Depth=1
	s_add_i32 s19, s15, 0xffffff00
	s_or_b64 s[0:1], s[0:1], exec
	s_cmp_lt_i32 s19, 0
	s_cbranch_scc1 .LBB14_4
; %bb.6:                                ;   in Loop: Header=BB14_5 Depth=1
	s_lshr_b32 s0, s19, 1
	v_add_u32_e32 v2, s0, v0
	v_lshlrev_b64 v[12:13], 2, v[2:3]
	v_mov_b32_e32 v2, s14
	v_add_co_u32_e64 v12, s[0:1], s13, v12
	v_addc_co_u32_e64 v13, s[0:1], v2, v13, s[0:1]
	global_load_dword v12, v[12:13], off
	v_cmp_lt_i32_e64 s[0:1], v7, v6
	v_cndmask_b32_e64 v2, v5, v7, s[0:1]
	v_lshlrev_b32_e32 v2, 2, v2
	s_waitcnt vmcnt(0)
	v_cmp_class_f16_e64 s[2:3], v12, s16
	v_and_b32_sdwa v12, s17, v12 dst_sel:DWORD dst_unused:UNUSED_PAD src0_sel:DWORD src1_sel:WORD_1
	v_cmp_eq_f16_e64 s[0:1], s18, v12
	s_and_b64 s[2:3], s[2:3], s[0:1]
	v_cndmask_b32_e64 v12, 0, 1, s[2:3]
	ds_bpermute_b32 v13, v2, v12
	v_cmp_lt_i32_e64 s[0:1], v8, v6
	v_cndmask_b32_e64 v12, v5, v8, s[0:1]
	v_lshlrev_b32_e32 v12, 2, v12
	s_waitcnt lgkmcnt(0)
	v_cmp_ne_u32_e64 s[0:1], 0, v13
	s_and_b64 s[2:3], s[2:3], s[0:1]
	v_cndmask_b32_e64 v13, 0, 1, s[2:3]
	ds_bpermute_b32 v14, v12, v13
	v_cmp_lt_i32_e64 s[0:1], v9, v6
	v_cndmask_b32_e64 v13, v5, v9, s[0:1]
	v_lshlrev_b32_e32 v13, 2, v13
	s_waitcnt lgkmcnt(0)
	v_cmp_ne_u32_e64 s[0:1], 0, v14
	;; [unrolled: 8-line block ×3, first 2 shown]
	s_and_b64 s[2:3], s[0:1], s[2:3]
	v_cndmask_b32_e64 v15, 0, 1, s[2:3]
	ds_bpermute_b32 v15, v14, v15
	v_cmp_lt_i32_e64 s[0:1], v11, v6
	v_cndmask_b32_e64 v16, v5, v11, s[0:1]
	s_waitcnt lgkmcnt(0)
	v_cmp_ne_u32_e64 s[0:1], 0, v15
	s_and_b64 s[8:9], s[0:1], s[2:3]
	v_cndmask_b32_e64 v17, 0, 1, s[8:9]
	v_lshlrev_b32_e32 v15, 2, v16
	ds_bpermute_b32 v16, v15, v17
	s_and_saveexec_b64 s[2:3], vcc
	s_cbranch_execz .LBB14_3
; %bb.7:                                ;   in Loop: Header=BB14_5 Depth=1
	s_waitcnt lgkmcnt(0)
	v_cmp_ne_u32_e64 s[0:1], 0, v16
	s_and_b64 s[0:1], s[0:1], s[8:9]
	v_cndmask_b32_e64 v16, 0, 1, s[0:1]
	ds_write_b32 v1, v16
	s_branch .LBB14_3
.LBB14_8:
	s_or_b64 exec, exec, s[4:5]
	v_cmp_eq_u32_e32 vcc, 0, v0
	s_and_saveexec_b64 s[0:1], vcc
	s_cbranch_execz .LBB14_10
; %bb.9:
	s_mul_i32 s0, s12, s7
	s_add_i32 s0, s0, s6
	s_ashr_i32 s1, s0, 31
	s_lshl_b64 s[0:1], s[0:1], 2
	s_add_u32 s0, s10, s0
	s_addc_u32 s1, s11, s1
	v_mov_b32_e32 v0, 0
	global_store_dword v0, v2, s[0:1]
.LBB14_10:
	s_endpgm
	.section	.rodata,"a",@progbits
	.p2align	6, 0x0
	.amdhsa_kernel _ZL25flash_attn_mask_to_KV_maxILi1EEvPK7__half2Piiii
		.amdhsa_group_segment_fixed_size 128
		.amdhsa_private_segment_fixed_size 0
		.amdhsa_kernarg_size 288
		.amdhsa_user_sgpr_count 6
		.amdhsa_user_sgpr_private_segment_buffer 1
		.amdhsa_user_sgpr_dispatch_ptr 0
		.amdhsa_user_sgpr_queue_ptr 0
		.amdhsa_user_sgpr_kernarg_segment_ptr 1
		.amdhsa_user_sgpr_dispatch_id 0
		.amdhsa_user_sgpr_flat_scratch_init 0
		.amdhsa_user_sgpr_kernarg_preload_length 0
		.amdhsa_user_sgpr_kernarg_preload_offset 0
		.amdhsa_user_sgpr_private_segment_size 0
		.amdhsa_uses_dynamic_stack 0
		.amdhsa_system_sgpr_private_segment_wavefront_offset 0
		.amdhsa_system_sgpr_workgroup_id_x 1
		.amdhsa_system_sgpr_workgroup_id_y 1
		.amdhsa_system_sgpr_workgroup_id_z 0
		.amdhsa_system_sgpr_workgroup_info 0
		.amdhsa_system_vgpr_workitem_id 0
		.amdhsa_next_free_vgpr 18
		.amdhsa_next_free_sgpr 20
		.amdhsa_accum_offset 20
		.amdhsa_reserve_vcc 1
		.amdhsa_reserve_flat_scratch 0
		.amdhsa_float_round_mode_32 0
		.amdhsa_float_round_mode_16_64 0
		.amdhsa_float_denorm_mode_32 3
		.amdhsa_float_denorm_mode_16_64 3
		.amdhsa_dx10_clamp 1
		.amdhsa_ieee_mode 1
		.amdhsa_fp16_overflow 0
		.amdhsa_tg_split 0
		.amdhsa_exception_fp_ieee_invalid_op 0
		.amdhsa_exception_fp_denorm_src 0
		.amdhsa_exception_fp_ieee_div_zero 0
		.amdhsa_exception_fp_ieee_overflow 0
		.amdhsa_exception_fp_ieee_underflow 0
		.amdhsa_exception_fp_ieee_inexact 0
		.amdhsa_exception_int_div_zero 0
	.end_amdhsa_kernel
	.section	.text._ZL25flash_attn_mask_to_KV_maxILi1EEvPK7__half2Piiii,"axG",@progbits,_ZL25flash_attn_mask_to_KV_maxILi1EEvPK7__half2Piiii,comdat
.Lfunc_end14:
	.size	_ZL25flash_attn_mask_to_KV_maxILi1EEvPK7__half2Piiii, .Lfunc_end14-_ZL25flash_attn_mask_to_KV_maxILi1EEvPK7__half2Piiii
                                        ; -- End function
	.section	.AMDGPU.csdata,"",@progbits
; Kernel info:
; codeLenInByte = 844
; NumSgprs: 24
; NumVgprs: 18
; NumAgprs: 0
; TotalNumVgprs: 18
; ScratchSize: 0
; MemoryBound: 0
; FloatMode: 240
; IeeeMode: 1
; LDSByteSize: 128 bytes/workgroup (compile time only)
; SGPRBlocks: 2
; VGPRBlocks: 2
; NumSGPRsForWavesPerEU: 24
; NumVGPRsForWavesPerEU: 18
; AccumOffset: 20
; Occupancy: 8
; WaveLimiterHint : 0
; COMPUTE_PGM_RSRC2:SCRATCH_EN: 0
; COMPUTE_PGM_RSRC2:USER_SGPR: 6
; COMPUTE_PGM_RSRC2:TRAP_HANDLER: 0
; COMPUTE_PGM_RSRC2:TGID_X_EN: 1
; COMPUTE_PGM_RSRC2:TGID_Y_EN: 1
; COMPUTE_PGM_RSRC2:TGID_Z_EN: 0
; COMPUTE_PGM_RSRC2:TIDIG_COMP_CNT: 0
; COMPUTE_PGM_RSRC3_GFX90A:ACCUM_OFFSET: 4
; COMPUTE_PGM_RSRC3_GFX90A:TG_SPLIT: 0
	.section	.text._ZL33flash_attn_stream_k_fixup_uniformILi128ELi1ELi8EEvPfPK15HIP_vector_typeIfLj2EEiiiiiiS1_IjLj3EES5_S5_,"axG",@progbits,_ZL33flash_attn_stream_k_fixup_uniformILi128ELi1ELi8EEvPfPK15HIP_vector_typeIfLj2EEiiiiiiS1_IjLj3EES5_S5_,comdat
	.globl	_ZL33flash_attn_stream_k_fixup_uniformILi128ELi1ELi8EEvPfPK15HIP_vector_typeIfLj2EEiiiiiiS1_IjLj3EES5_S5_ ; -- Begin function _ZL33flash_attn_stream_k_fixup_uniformILi128ELi1ELi8EEvPfPK15HIP_vector_typeIfLj2EEiiiiiiS1_IjLj3EES5_S5_
	.p2align	8
	.type	_ZL33flash_attn_stream_k_fixup_uniformILi128ELi1ELi8EEvPfPK15HIP_vector_typeIfLj2EEiiiiiiS1_IjLj3EES5_S5_,@function
_ZL33flash_attn_stream_k_fixup_uniformILi128ELi1ELi8EEvPfPK15HIP_vector_typeIfLj2EEiiiiiiS1_IjLj3EES5_S5_: ; @_ZL33flash_attn_stream_k_fixup_uniformILi128ELi1ELi8EEvPfPK15HIP_vector_typeIfLj2EEiiiiiiS1_IjLj3EES5_S5_
; %bb.0:
	s_load_dwordx8 s[12:19], s[4:5], 0x1c
	s_load_dwordx2 s[10:11], s[4:5], 0x10
	s_load_dwordx4 s[0:3], s[4:5], 0x3c
	s_waitcnt lgkmcnt(0)
	s_mul_hi_u32 s9, s15, s6
	s_add_i32 s9, s6, s9
	s_lshr_b32 s9, s9, s16
	s_mul_i32 s15, s9, s17
	s_sub_i32 s16, s6, s15
	s_mul_hi_u32 s15, s16, s18
	s_add_i32 s15, s16, s15
	s_lshr_b32 s15, s15, s19
	s_mul_i32 s0, s15, s0
	s_sub_i32 s0, s16, s0
	;; [unrolled: 5-line block ×3, first 2 shown]
	s_lshl_b32 s17, s1, 3
	s_add_i32 s16, s16, s7
	s_cmp_lt_i32 s16, s10
	s_cselect_b64 s[0:1], -1, 0
	s_add_i32 s17, s17, s8
	s_cmp_lt_i32 s17, s13
	s_cselect_b64 s[2:3], -1, 0
	s_and_b64 s[0:1], s[0:1], s[2:3]
	s_andn2_b64 vcc, exec, s[0:1]
	s_cbranch_vccnz .LBB15_6
; %bb.1:
	s_mul_i32 s9, s9, s10
	s_load_dwordx4 s[0:3], s[4:5], 0x0
	s_mul_i32 s15, s15, s13
	s_add_i32 s4, s16, s9
	s_mul_i32 s4, s4, s11
	s_add_i32 s5, s17, s15
	s_add_i32 s5, s5, s4
	v_lshl_or_b32 v2, s5, 7, v0
	v_ashrrev_i32_e32 v3, 31, v2
	v_lshlrev_b64 v[2:3], 2, v[2:3]
	s_waitcnt lgkmcnt(0)
	v_mov_b32_e32 v1, s1
	v_add_co_u32_e32 v2, vcc, s0, v2
	v_addc_co_u32_e32 v3, vcc, v1, v3, vcc
	global_load_dword v8, v[2:3], off
	s_mul_i32 s9, s6, s14
	s_add_i32 s4, s9, s14
	s_add_i32 s0, s7, s4
	s_lshl_b32 s0, s0, 3
	s_add_i32 s0, s0, s8
	s_add_i32 s0, s0, -8
	s_ashr_i32 s1, s0, 31
	s_lshl_b64 s[0:1], s[0:1], 3
	s_add_u32 s0, s2, s0
	s_addc_u32 s1, s3, s1
	s_load_dword s5, s[0:1], 0x4
	s_add_i32 s10, s4, -2
	s_cmp_lt_i32 s10, s9
	s_cbranch_scc1 .LBB15_4
; %bb.2:
	s_lshl_b32 s10, s12, 5
	s_ashr_i32 s11, s10, 31
	s_lshl_b64 s[10:11], s[10:11], 2
	s_add_u32 s10, s2, s10
	s_addc_u32 s13, s3, s11
	s_load_dword s0, s[0:1], 0x0
	s_add_i32 s6, s6, 1
	s_lshl_b32 s1, s8, 7
	s_add_i32 s12, s7, s12
	s_mul_i32 s6, s14, s6
	s_lshl_b32 s7, s7, 10
	s_add_i32 s12, s12, s4
	s_lshl_b32 s6, s6, 10
	s_add_i32 s1, s1, s7
	s_add_i32 s11, s4, -1
	s_lshl_b32 s4, s12, 3
	s_add_i32 s1, s1, s6
	s_add_i32 s4, s8, s4
	v_or_b32_e32 v0, s1, v0
	s_add_i32 s4, s4, -16
	v_add_u32_e32 v0, 0xfffff800, v0
	s_waitcnt lgkmcnt(0)
	v_mov_b32_e32 v7, s5
	v_mov_b32_e32 v6, s0
	;; [unrolled: 1-line block ×3, first 2 shown]
	s_mov_b32 s6, 0x3fb8aa3b
	s_mov_b32 s7, 0xc2ce8ed0
	;; [unrolled: 1-line block ×3, first 2 shown]
	v_mov_b32_e32 v5, 0x7f800000
	s_mov_b32 s12, 0xc1a00000
.LBB15_3:                               ; =>This Inner Loop Header: Depth=1
	v_ashrrev_i32_e32 v1, 31, v0
	v_lshlrev_b64 v[10:11], 2, v[0:1]
	v_add_co_u32_e32 v10, vcc, s10, v10
	v_addc_co_u32_e32 v11, vcc, v4, v11, vcc
	global_load_dword v1, v[10:11], off
	s_ashr_i32 s5, s4, 31
	s_lshl_b64 s[0:1], s[4:5], 3
	s_add_u32 s0, s2, s0
	s_addc_u32 s1, s3, s1
	s_load_dwordx2 s[14:15], s[0:1], 0x0
	s_waitcnt vmcnt(1)
	v_mov_b32_e32 v9, v8
	v_max_f32_e32 v8, v6, v6
	v_mov_b32_e32 v10, v7
	s_add_i32 s11, s11, -1
	s_waitcnt lgkmcnt(0)
	v_max_f32_e64 v7, s14, s14
	v_max_f32_e32 v7, v8, v7
	v_sub_f32_e32 v11, s14, v7
	v_sub_f32_e32 v8, v6, v7
	v_mul_f32_e32 v12, 0x3fb8aa3b, v11
	v_mov_b32_e32 v6, v7
	v_mul_f32_e32 v7, 0x3fb8aa3b, v8
	v_fma_f32 v15, v11, s6, -v12
	v_rndne_f32_e32 v16, v12
	v_fma_f32 v13, v8, s6, -v7
	v_rndne_f32_e32 v14, v7
	v_fmac_f32_e32 v15, 0x32a5705f, v11
	v_sub_f32_e32 v12, v12, v16
	v_fmac_f32_e32 v13, 0x32a5705f, v8
	v_sub_f32_e32 v7, v7, v14
	v_add_f32_e32 v12, v12, v15
	v_cvt_i32_f32_e32 v16, v16
	v_add_f32_e32 v7, v7, v13
	v_exp_f32_e32 v12, v12
	v_cvt_i32_f32_e32 v14, v14
	v_exp_f32_e32 v7, v7
	v_cmp_ngt_f32_e32 vcc, s7, v11
	v_ldexp_f32 v12, v12, v16
	v_cmp_ngt_f32_e64 s[0:1], s7, v8
	v_ldexp_f32 v7, v7, v14
	v_cndmask_b32_e32 v12, 0, v12, vcc
	v_cmp_nlt_f32_e32 vcc, s8, v11
	v_cndmask_b32_e64 v7, 0, v7, s[0:1]
	v_cmp_nlt_f32_e64 s[0:1], s8, v8
	v_cndmask_b32_e32 v12, v5, v12, vcc
	v_cmp_le_f32_e32 vcc, s12, v11
	v_cndmask_b32_e64 v7, v5, v7, s[0:1]
	v_cmp_le_f32_e64 s[0:1], s12, v8
	v_cndmask_b32_e32 v8, 0, v12, vcc
	s_add_i32 s4, s4, -8
	v_cndmask_b32_e64 v11, 0, v7, s[0:1]
	v_mul_f32_e32 v7, s15, v8
	v_add_u32_e32 v0, 0xfffffc00, v0
	s_cmp_le_i32 s11, s9
	v_fmac_f32_e32 v7, v10, v11
	s_waitcnt vmcnt(0)
	v_mul_f32_e32 v8, v1, v8
	v_fmac_f32_e32 v8, v9, v11
	s_cbranch_scc0 .LBB15_3
	s_branch .LBB15_5
.LBB15_4:
	s_waitcnt lgkmcnt(0)
	v_mov_b32_e32 v7, s5
.LBB15_5:
	s_waitcnt vmcnt(0)
	v_div_scale_f32 v0, s[0:1], v7, v7, v8
	v_rcp_f32_e32 v1, v0
	v_div_scale_f32 v4, vcc, v8, v7, v8
	v_fma_f32 v5, -v0, v1, 1.0
	v_fmac_f32_e32 v1, v5, v1
	v_mul_f32_e32 v5, v4, v1
	v_fma_f32 v6, -v0, v5, v4
	v_fmac_f32_e32 v5, v6, v1
	v_fma_f32 v0, -v0, v5, v4
	v_div_fmas_f32 v0, v0, v1, v5
	v_div_fixup_f32 v0, v0, v7, v8
	global_store_dword v[2:3], v0, off
.LBB15_6:
	s_endpgm
	.section	.rodata,"a",@progbits
	.p2align	6, 0x0
	.amdhsa_kernel _ZL33flash_attn_stream_k_fixup_uniformILi128ELi1ELi8EEvPfPK15HIP_vector_typeIfLj2EEiiiiiiS1_IjLj3EES5_S5_
		.amdhsa_group_segment_fixed_size 0
		.amdhsa_private_segment_fixed_size 0
		.amdhsa_kernarg_size 76
		.amdhsa_user_sgpr_count 6
		.amdhsa_user_sgpr_private_segment_buffer 1
		.amdhsa_user_sgpr_dispatch_ptr 0
		.amdhsa_user_sgpr_queue_ptr 0
		.amdhsa_user_sgpr_kernarg_segment_ptr 1
		.amdhsa_user_sgpr_dispatch_id 0
		.amdhsa_user_sgpr_flat_scratch_init 0
		.amdhsa_user_sgpr_kernarg_preload_length 0
		.amdhsa_user_sgpr_kernarg_preload_offset 0
		.amdhsa_user_sgpr_private_segment_size 0
		.amdhsa_uses_dynamic_stack 0
		.amdhsa_system_sgpr_private_segment_wavefront_offset 0
		.amdhsa_system_sgpr_workgroup_id_x 1
		.amdhsa_system_sgpr_workgroup_id_y 1
		.amdhsa_system_sgpr_workgroup_id_z 1
		.amdhsa_system_sgpr_workgroup_info 0
		.amdhsa_system_vgpr_workitem_id 0
		.amdhsa_next_free_vgpr 17
		.amdhsa_next_free_sgpr 20
		.amdhsa_accum_offset 20
		.amdhsa_reserve_vcc 1
		.amdhsa_reserve_flat_scratch 0
		.amdhsa_float_round_mode_32 0
		.amdhsa_float_round_mode_16_64 0
		.amdhsa_float_denorm_mode_32 3
		.amdhsa_float_denorm_mode_16_64 3
		.amdhsa_dx10_clamp 1
		.amdhsa_ieee_mode 1
		.amdhsa_fp16_overflow 0
		.amdhsa_tg_split 0
		.amdhsa_exception_fp_ieee_invalid_op 0
		.amdhsa_exception_fp_denorm_src 0
		.amdhsa_exception_fp_ieee_div_zero 0
		.amdhsa_exception_fp_ieee_overflow 0
		.amdhsa_exception_fp_ieee_underflow 0
		.amdhsa_exception_fp_ieee_inexact 0
		.amdhsa_exception_int_div_zero 0
	.end_amdhsa_kernel
	.section	.text._ZL33flash_attn_stream_k_fixup_uniformILi128ELi1ELi8EEvPfPK15HIP_vector_typeIfLj2EEiiiiiiS1_IjLj3EES5_S5_,"axG",@progbits,_ZL33flash_attn_stream_k_fixup_uniformILi128ELi1ELi8EEvPfPK15HIP_vector_typeIfLj2EEiiiiiiS1_IjLj3EES5_S5_,comdat
.Lfunc_end15:
	.size	_ZL33flash_attn_stream_k_fixup_uniformILi128ELi1ELi8EEvPfPK15HIP_vector_typeIfLj2EEiiiiiiS1_IjLj3EES5_S5_, .Lfunc_end15-_ZL33flash_attn_stream_k_fixup_uniformILi128ELi1ELi8EEvPfPK15HIP_vector_typeIfLj2EEiiiiiiS1_IjLj3EES5_S5_
                                        ; -- End function
	.section	.AMDGPU.csdata,"",@progbits
; Kernel info:
; codeLenInByte = 828
; NumSgprs: 24
; NumVgprs: 17
; NumAgprs: 0
; TotalNumVgprs: 17
; ScratchSize: 0
; MemoryBound: 0
; FloatMode: 240
; IeeeMode: 1
; LDSByteSize: 0 bytes/workgroup (compile time only)
; SGPRBlocks: 2
; VGPRBlocks: 2
; NumSGPRsForWavesPerEU: 24
; NumVGPRsForWavesPerEU: 17
; AccumOffset: 20
; Occupancy: 8
; WaveLimiterHint : 0
; COMPUTE_PGM_RSRC2:SCRATCH_EN: 0
; COMPUTE_PGM_RSRC2:USER_SGPR: 6
; COMPUTE_PGM_RSRC2:TRAP_HANDLER: 0
; COMPUTE_PGM_RSRC2:TGID_X_EN: 1
; COMPUTE_PGM_RSRC2:TGID_Y_EN: 1
; COMPUTE_PGM_RSRC2:TGID_Z_EN: 1
; COMPUTE_PGM_RSRC2:TIDIG_COMP_CNT: 0
; COMPUTE_PGM_RSRC3_GFX90A:ACCUM_OFFSET: 4
; COMPUTE_PGM_RSRC3_GFX90A:TG_SPLIT: 0
	.section	.text._ZL33flash_attn_stream_k_fixup_generalILi128ELi1ELi8EEvPfPK15HIP_vector_typeIfLj2EEiiiiS1_IjLj3EES5_S5_S5_,"axG",@progbits,_ZL33flash_attn_stream_k_fixup_generalILi128ELi1ELi8EEvPfPK15HIP_vector_typeIfLj2EEiiiiS1_IjLj3EES5_S5_S5_,comdat
	.globl	_ZL33flash_attn_stream_k_fixup_generalILi128ELi1ELi8EEvPfPK15HIP_vector_typeIfLj2EEiiiiS1_IjLj3EES5_S5_S5_ ; -- Begin function _ZL33flash_attn_stream_k_fixup_generalILi128ELi1ELi8EEvPfPK15HIP_vector_typeIfLj2EEiiiiS1_IjLj3EES5_S5_S5_
	.p2align	8
	.type	_ZL33flash_attn_stream_k_fixup_generalILi128ELi1ELi8EEvPfPK15HIP_vector_typeIfLj2EEiiiiS1_IjLj3EES5_S5_S5_,@function
_ZL33flash_attn_stream_k_fixup_generalILi128ELi1ELi8EEvPfPK15HIP_vector_typeIfLj2EEiiiiS1_IjLj3EES5_S5_S5_: ; @_ZL33flash_attn_stream_k_fixup_generalILi128ELi1ELi8EEvPfPK15HIP_vector_typeIfLj2EEiiiiS1_IjLj3EES5_S5_S5_
; %bb.0:
	s_load_dwordx4 s[12:15], s[4:5], 0x10
	s_load_dword s9, s[4:5], 0x50
	s_mov_b32 s2, 0
	s_waitcnt lgkmcnt(0)
	s_mul_hi_i32 s3, s15, s6
	s_cmp_lg_u64 s[2:3], 0
	s_mul_i32 s2, s15, s6
	s_cbranch_scc0 .LBB16_21
; %bb.1:
	v_cvt_f32_u32_e32 v1, s9
	v_cvt_f32_ubyte0_e32 v2, 0
	s_sub_u32 s10, 0, s9
	s_subb_u32 s11, 0, 0
	v_madmk_f32 v1, v2, 0x4f800000, v1
	v_rcp_f32_e32 v1, v1
	v_mul_f32_e32 v1, 0x5f7ffffc, v1
	v_mul_f32_e32 v2, 0x2f800000, v1
	v_trunc_f32_e32 v2, v2
	v_madmk_f32 v1, v2, 0xcf800000, v1
	v_cvt_u32_f32_e32 v2, v2
	v_cvt_u32_f32_e32 v1, v1
	v_readfirstlane_b32 s16, v2
	v_readfirstlane_b32 s17, v1
	s_mul_i32 s18, s10, s16
	s_mul_hi_u32 s20, s10, s17
	s_mul_i32 s19, s11, s17
	s_add_i32 s18, s20, s18
	s_add_i32 s18, s18, s19
	s_mul_i32 s21, s10, s17
	s_mul_hi_u32 s19, s17, s18
	s_mul_i32 s20, s17, s18
	s_mul_hi_u32 s17, s17, s21
	s_add_u32 s17, s17, s20
	s_addc_u32 s19, 0, s19
	s_mul_hi_u32 s22, s16, s21
	s_mul_i32 s21, s16, s21
	s_add_u32 s17, s17, s21
	s_mul_hi_u32 s20, s16, s18
	s_addc_u32 s17, s19, s22
	s_addc_u32 s19, s20, 0
	s_mul_i32 s18, s16, s18
	s_add_u32 s17, s17, s18
	s_addc_u32 s18, 0, s19
	v_add_co_u32_e32 v1, vcc, s17, v1
	s_cmp_lg_u64 vcc, 0
	s_addc_u32 s16, s16, s18
	v_readfirstlane_b32 s18, v1
	s_mul_i32 s17, s10, s16
	s_mul_hi_u32 s19, s10, s18
	s_add_i32 s17, s19, s17
	s_mul_i32 s11, s11, s18
	s_add_i32 s17, s17, s11
	s_mul_i32 s10, s10, s18
	s_mul_hi_u32 s19, s16, s10
	s_mul_i32 s20, s16, s10
	s_mul_i32 s22, s18, s17
	s_mul_hi_u32 s10, s18, s10
	s_mul_hi_u32 s21, s18, s17
	s_add_u32 s10, s10, s22
	s_addc_u32 s18, 0, s21
	s_add_u32 s10, s10, s20
	s_mul_hi_u32 s11, s16, s17
	s_addc_u32 s10, s18, s19
	s_addc_u32 s11, s11, 0
	s_mul_i32 s17, s16, s17
	s_add_u32 s10, s10, s17
	s_addc_u32 s11, 0, s11
	v_add_co_u32_e32 v1, vcc, s10, v1
	s_cmp_lg_u64 vcc, 0
	s_addc_u32 s18, s16, s11
	s_ashr_i32 s10, s3, 31
	s_add_u32 s16, s2, s10
	s_mov_b32 s11, s10
	s_addc_u32 s17, s3, s10
	s_xor_b64 s[16:17], s[16:17], s[10:11]
	v_readfirstlane_b32 s20, v1
	s_mul_i32 s19, s16, s18
	s_mul_hi_u32 s21, s16, s20
	s_mul_hi_u32 s3, s16, s18
	s_add_u32 s19, s21, s19
	s_addc_u32 s3, 0, s3
	s_mul_hi_u32 s22, s17, s20
	s_mul_i32 s20, s17, s20
	s_add_u32 s19, s19, s20
	s_mul_hi_u32 s21, s17, s18
	s_addc_u32 s3, s3, s22
	s_addc_u32 s19, s21, 0
	s_mul_i32 s18, s17, s18
	s_add_u32 s3, s3, s18
	s_addc_u32 s18, 0, s19
	s_add_u32 s19, s3, 1
	s_addc_u32 s20, s18, 0
	s_add_u32 s21, s3, 2
	s_mul_i32 s23, s9, s18
	s_mul_hi_u32 s24, s9, s3
	s_addc_u32 s22, s18, 0
	s_add_i32 s24, s24, s23
	s_mul_i32 s23, s9, s3
	v_mov_b32_e32 v1, s23
	v_sub_co_u32_e32 v1, vcc, s16, v1
	s_cmp_lg_u64 vcc, 0
	s_subb_u32 s16, s17, s24
	v_subrev_co_u32_e32 v2, vcc, s9, v1
	s_cmp_lg_u64 vcc, 0
	s_subb_u32 s17, s16, 0
	v_readfirstlane_b32 s23, v2
	s_cmp_ge_u32 s23, s9
	s_cselect_b32 s23, -1, 0
	s_cmp_eq_u32 s17, 0
	s_cselect_b32 s17, s23, -1
	s_cmp_lg_u32 s17, 0
	s_cselect_b32 s17, s22, s20
	v_readfirstlane_b32 s20, v1
	s_cselect_b32 s19, s21, s19
	s_cmp_ge_u32 s20, s9
	s_cselect_b32 s20, -1, 0
	s_cmp_eq_u32 s16, 0
	s_cselect_b32 s16, s20, -1
	s_cmp_lg_u32 s16, 0
	s_cselect_b32 s17, s17, s18
	s_cselect_b32 s16, s19, s3
	s_xor_b64 s[16:17], s[16:17], s[10:11]
	s_sub_u32 s20, s16, s10
	s_load_dwordx4 s[16:19], s[4:5], 0x44
	s_cbranch_execnz .LBB16_3
.LBB16_2:
	v_cvt_f32_u32_e32 v1, s9
	s_sub_i32 s0, 0, s9
	v_rcp_iflag_f32_e32 v1, v1
	v_mul_f32_e32 v1, 0x4f7ffffe, v1
	v_cvt_u32_f32_e32 v1, v1
	v_readfirstlane_b32 s1, v1
	s_mul_i32 s0, s0, s1
	s_mul_hi_u32 s0, s1, s0
	s_add_i32 s1, s1, s0
	s_mul_hi_u32 s0, s2, s1
	s_mul_i32 s3, s0, s9
	s_sub_i32 s2, s2, s3
	s_add_i32 s1, s0, 1
	s_sub_i32 s3, s2, s9
	s_cmp_ge_u32 s2, s9
	s_cselect_b32 s0, s1, s0
	s_cselect_b32 s2, s3, s2
	s_add_i32 s1, s0, 1
	s_cmp_ge_u32 s2, s9
	s_cselect_b32 s20, s1, s0
.LBB16_3:
	s_add_i32 s0, s6, 1
	s_mul_hi_i32 s3, s15, s0
	s_mov_b32 s2, 0
	s_cmp_lg_u64 s[2:3], 0
	s_mul_i32 s2, s15, s0
	s_cbranch_scc0 .LBB16_22
; %bb.4:
	v_cvt_f32_u32_e32 v1, s9
	v_cvt_f32_ubyte0_e32 v2, 0
	s_sub_u32 s10, 0, s9
	s_subb_u32 s11, 0, 0
	v_madmk_f32 v1, v2, 0x4f800000, v1
	v_rcp_f32_e32 v1, v1
	v_mul_f32_e32 v1, 0x5f7ffffc, v1
	v_mul_f32_e32 v2, 0x2f800000, v1
	v_trunc_f32_e32 v2, v2
	v_madmk_f32 v1, v2, 0xcf800000, v1
	v_cvt_u32_f32_e32 v2, v2
	v_cvt_u32_f32_e32 v1, v1
	s_waitcnt lgkmcnt(0)
	v_readfirstlane_b32 s19, v2
	v_readfirstlane_b32 s21, v1
	s_mul_i32 s22, s10, s19
	s_mul_hi_u32 s24, s10, s21
	s_mul_i32 s23, s11, s21
	s_add_i32 s22, s24, s22
	s_add_i32 s22, s22, s23
	s_mul_i32 s25, s10, s21
	s_mul_hi_u32 s23, s21, s22
	s_mul_i32 s24, s21, s22
	s_mul_hi_u32 s21, s21, s25
	s_add_u32 s21, s21, s24
	s_addc_u32 s23, 0, s23
	s_mul_hi_u32 s26, s19, s25
	s_mul_i32 s25, s19, s25
	s_add_u32 s21, s21, s25
	s_mul_hi_u32 s24, s19, s22
	s_addc_u32 s21, s23, s26
	s_addc_u32 s23, s24, 0
	s_mul_i32 s22, s19, s22
	s_add_u32 s21, s21, s22
	s_addc_u32 s22, 0, s23
	v_add_co_u32_e32 v1, vcc, s21, v1
	s_cmp_lg_u64 vcc, 0
	s_addc_u32 s19, s19, s22
	v_readfirstlane_b32 s22, v1
	s_mul_i32 s21, s10, s19
	s_mul_hi_u32 s23, s10, s22
	s_add_i32 s21, s23, s21
	s_mul_i32 s11, s11, s22
	s_add_i32 s21, s21, s11
	s_mul_i32 s10, s10, s22
	s_mul_hi_u32 s23, s19, s10
	s_mul_i32 s24, s19, s10
	s_mul_i32 s26, s22, s21
	s_mul_hi_u32 s10, s22, s10
	s_mul_hi_u32 s25, s22, s21
	s_add_u32 s10, s10, s26
	s_addc_u32 s22, 0, s25
	s_add_u32 s10, s10, s24
	s_mul_hi_u32 s11, s19, s21
	s_addc_u32 s10, s22, s23
	s_addc_u32 s11, s11, 0
	s_mul_i32 s21, s19, s21
	s_add_u32 s10, s10, s21
	s_addc_u32 s11, 0, s11
	v_add_co_u32_e32 v1, vcc, s10, v1
	s_cmp_lg_u64 vcc, 0
	s_addc_u32 s19, s19, s11
	s_ashr_i32 s10, s3, 31
	s_add_u32 s22, s2, s10
	s_mov_b32 s11, s10
	s_addc_u32 s23, s3, s10
	s_xor_b64 s[22:23], s[22:23], s[10:11]
	v_readfirstlane_b32 s21, v1
	s_mul_i32 s11, s22, s19
	s_mul_hi_u32 s24, s22, s21
	s_mul_hi_u32 s3, s22, s19
	s_add_u32 s11, s24, s11
	s_addc_u32 s3, 0, s3
	s_mul_hi_u32 s25, s23, s21
	s_mul_i32 s21, s23, s21
	s_add_u32 s11, s11, s21
	s_mul_hi_u32 s24, s23, s19
	s_addc_u32 s3, s3, s25
	s_addc_u32 s11, s24, 0
	s_mul_i32 s19, s23, s19
	s_add_u32 s3, s3, s19
	s_addc_u32 s11, 0, s11
	s_mul_i32 s11, s9, s11
	s_mul_hi_u32 s24, s9, s3
	s_add_i32 s24, s24, s11
	s_mul_i32 s11, s9, s3
	v_mov_b32_e32 v1, s11
	s_add_u32 s19, s3, 1
	s_add_u32 s21, s3, 2
	v_sub_co_u32_e32 v1, vcc, s22, v1
	s_cmp_lg_u64 vcc, 0
	s_subb_u32 s11, s23, s24
	v_subrev_co_u32_e32 v2, vcc, s9, v1
	s_cmp_lg_u64 vcc, 0
	s_subb_u32 s22, s11, 0
	v_cmp_le_u32_e32 vcc, s9, v2
	s_cmp_eq_u32 s22, 0
	v_cndmask_b32_e64 v2, 0, -1, vcc
	s_cselect_b64 vcc, -1, 0
	v_cndmask_b32_e32 v2, -1, v2, vcc
	v_mov_b32_e32 v3, s19
	v_mov_b32_e32 v4, s21
	v_cmp_ne_u32_e32 vcc, 0, v2
	v_cndmask_b32_e32 v2, v3, v4, vcc
	v_cmp_le_u32_e32 vcc, s9, v1
	s_cmp_eq_u32 s11, 0
	v_cndmask_b32_e64 v1, 0, -1, vcc
	s_cselect_b64 vcc, -1, 0
	v_cndmask_b32_e32 v1, -1, v1, vcc
	v_mov_b32_e32 v3, s3
	v_cmp_ne_u32_e32 vcc, 0, v1
	v_cndmask_b32_e32 v1, v3, v2, vcc
	v_xor_b32_e32 v1, s10, v1
	v_subrev_co_u32_e32 v2, vcc, s10, v1
	s_cbranch_execnz .LBB16_6
.LBB16_5:
	v_cvt_f32_u32_e32 v1, s9
	s_sub_i32 s0, 0, s9
	s_mov_b32 s1, 0
	v_rcp_iflag_f32_e32 v1, v1
	v_mul_f32_e32 v1, 0x4f7ffffe, v1
	v_cvt_u32_f32_e32 v1, v1
	v_readfirstlane_b32 s3, v1
	s_mul_i32 s0, s0, s3
	s_mul_hi_u32 s0, s3, s0
	s_add_i32 s3, s3, s0
	s_mul_hi_u32 s0, s2, s3
	s_mul_i32 s10, s0, s9
	s_sub_i32 s2, s2, s10
	s_add_i32 s3, s0, 1
	s_sub_i32 s10, s2, s9
	s_cmp_ge_u32 s2, s9
	s_cselect_b32 s0, s3, s0
	s_cselect_b32 s2, s10, s2
	s_add_i32 s3, s0, 1
	s_cmp_ge_u32 s2, s9
	s_cselect_b32 s0, s3, s0
	v_pk_mov_b32 v[2:3], s[0:1], s[0:1] op_sel:[0,1]
.LBB16_6:
	s_waitcnt lgkmcnt(0)
	s_mul_hi_u32 s0, s20, s16
	s_add_i32 s0, s0, s20
	v_mul_hi_u32 v1, v2, s16
	s_lshr_b32 s19, s0, s17
	v_add_u32_e32 v1, v1, v2
	s_mul_i32 s0, s19, s18
	v_lshrrev_b32_e32 v1, s17, v1
	s_cmp_eq_u32 s0, s20
	v_cmp_eq_u32_e64 s[0:1], s19, v1
	v_mul_lo_u32 v1, v1, s18
	v_cmp_eq_u32_e32 vcc, s20, v2
	s_cselect_b64 s[10:11], -1, 0
	v_cmp_ne_u32_e64 s[2:3], v1, v2
	s_and_b64 s[0:1], s[0:1], s[2:3]
	s_or_b64 s[2:3], vcc, s[10:11]
	s_or_b64 s[0:1], s[2:3], s[0:1]
	s_and_b64 vcc, exec, s[0:1]
	s_cbranch_vccnz .LBB16_24
; %bb.7:
	s_load_dwordx8 s[24:31], s[4:5], 0x20
	s_load_dword s0, s[4:5], 0x40
	s_mov_b32 s10, 0
	s_waitcnt lgkmcnt(0)
	s_mul_hi_u32 s1, s20, s24
	s_add_i32 s1, s1, s20
	s_lshr_b32 s11, s1, s25
	s_mul_i32 s1, s11, s26
	s_sub_i32 s1, s20, s1
	s_mul_hi_u32 s2, s1, s27
	s_add_i32 s2, s1, s2
	s_lshr_b32 s21, s2, s28
	s_mul_i32 s2, s21, s29
	s_sub_i32 s1, s1, s2
	;; [unrolled: 5-line block ×3, first 2 shown]
	s_mul_hi_u32 s1, s0, s16
	s_add_i32 s0, s0, s1
	s_lshr_b32 s22, s0, s17
	s_lshl_b32 s23, s2, 3
	s_add_i32 s22, s22, s7
	s_cmp_lt_i32 s22, s12
	s_cselect_b64 s[0:1], -1, 0
	s_add_i32 s23, s23, s8
	s_cmp_lt_i32 s23, s14
	s_cselect_b64 s[2:3], -1, 0
	s_and_b64 s[0:1], s[0:1], s[2:3]
	s_andn2_b64 vcc, exec, s[0:1]
	s_cbranch_vccnz .LBB16_24
; %bb.8:
	s_load_dwordx4 s[0:3], s[4:5], 0x0
	s_lshl_b32 s4, s9, 5
	s_mov_b32 s5, s10
	s_lshl_b64 s[4:5], s[4:5], 2
	s_mul_i32 s24, s21, s14
	s_waitcnt lgkmcnt(0)
	s_add_u32 s14, s2, s4
	s_mul_i32 s11, s11, s12
	s_addc_u32 s21, s3, s5
	s_add_i32 s4, s22, s11
	s_mul_i32 s4, s4, s13
	s_add_i32 s5, s23, s24
	s_add_i32 s5, s5, s4
	v_lshl_or_b32 v2, s5, 7, v0
	v_ashrrev_i32_e32 v3, 31, v2
	v_lshlrev_b64 v[2:3], 2, v[2:3]
	v_mov_b32_e32 v1, s1
	v_add_co_u32_e32 v2, vcc, s0, v2
	v_addc_co_u32_e32 v3, vcc, v1, v3, vcc
	global_load_dword v5, v[2:3], off
	v_lshl_or_b32 v4, s8, 7, v0
	v_cvt_f32_u32_e32 v0, s9
	v_cvt_f32_ubyte0_e32 v1, 0
	s_add_i32 s0, s7, s6
	s_lshl_b32 s0, s0, 3
	v_mac_f32_e32 v0, 0x4f800000, v1
	v_rcp_f32_e32 v0, v0
	v_cvt_f32_u32_e32 v1, s9
	s_add_i32 s0, s0, s8
	s_ashr_i32 s1, s0, 31
	s_lshl_b64 s[0:1], s[0:1], 3
	v_mul_f32_e32 v0, 0x5f7ffffc, v0
	v_rcp_iflag_f32_e32 v1, v1
	s_add_u32 s0, s2, s0
	v_mul_f32_e32 v9, 0x2f800000, v0
	s_addc_u32 s1, s3, s1
	v_trunc_f32_e32 v10, v9
	s_load_dwordx2 s[0:1], s[0:1], 0x0
	v_mac_f32_e32 v0, 0xcf800000, v10
	v_cvt_u32_f32_e32 v9, v0
	v_mul_f32_e32 v0, 0x4f7ffffe, v1
	v_cvt_u32_f32_e32 v10, v10
	v_cvt_u32_f32_e32 v11, v0
	s_add_i32 s13, s6, -1
	s_waitcnt lgkmcnt(0)
	v_mov_b32_e32 v6, s1
	v_mov_b32_e32 v7, s0
	;; [unrolled: 1-line block ×3, first 2 shown]
	s_mov_b32 s6, 0x3fb8aa3b
	s_mov_b32 s12, 0xc2ce8ed0
	;; [unrolled: 1-line block ×4, first 2 shown]
	v_mov_b32_e32 v12, 0x7f800000
	s_mul_hi_i32 s11, s13, s15
	s_cmp_lg_u64 s[10:11], 0
	s_mul_i32 s4, s13, s15
	s_cbranch_scc0 .LBB16_15
.LBB16_9:
	s_sub_u32 s0, 0, s9
	v_readfirstlane_b32 s5, v9
	v_readfirstlane_b32 s25, v10
	s_subb_u32 s1, 0, 0
	s_mul_hi_u32 s24, s0, s5
	s_mul_i32 s26, s0, s25
	s_mul_i32 s23, s1, s5
	s_add_i32 s24, s24, s26
	s_add_i32 s24, s24, s23
	s_mul_i32 s27, s0, s5
	s_mul_hi_u32 s23, s5, s24
	s_mul_i32 s26, s5, s24
	s_mul_hi_u32 s5, s5, s27
	s_add_u32 s5, s5, s26
	s_addc_u32 s23, 0, s23
	s_mul_hi_u32 s28, s25, s27
	s_mul_i32 s27, s25, s27
	s_add_u32 s5, s5, s27
	s_mul_hi_u32 s26, s25, s24
	s_addc_u32 s5, s23, s28
	s_addc_u32 s23, s26, 0
	s_mul_i32 s24, s25, s24
	s_add_u32 s5, s5, s24
	s_addc_u32 s23, 0, s23
	v_add_co_u32_e32 v0, vcc, s5, v9
	s_cmp_lg_u64 vcc, 0
	s_addc_u32 s5, s25, s23
	v_readfirstlane_b32 s24, v0
	s_mul_i32 s23, s0, s5
	s_mul_hi_u32 s25, s0, s24
	s_add_i32 s23, s25, s23
	s_mul_i32 s1, s1, s24
	s_add_i32 s23, s23, s1
	s_mul_i32 s0, s0, s24
	s_mul_hi_u32 s25, s5, s0
	s_mul_i32 s26, s5, s0
	s_mul_i32 s28, s24, s23
	s_mul_hi_u32 s0, s24, s0
	s_mul_hi_u32 s27, s24, s23
	s_add_u32 s0, s0, s28
	s_addc_u32 s24, 0, s27
	s_add_u32 s0, s0, s26
	s_mul_hi_u32 s1, s5, s23
	s_addc_u32 s0, s24, s25
	s_addc_u32 s1, s1, 0
	s_mul_i32 s23, s5, s23
	s_add_u32 s0, s0, s23
	s_addc_u32 s1, 0, s1
	v_add_co_u32_e32 v0, vcc, s0, v0
	s_cmp_lg_u64 vcc, 0
	s_addc_u32 s5, s5, s1
	s_ashr_i32 s0, s11, 31
	s_add_u32 s24, s4, s0
	s_mov_b32 s1, s0
	s_addc_u32 s25, s11, s0
	s_xor_b64 s[24:25], s[24:25], s[0:1]
	v_readfirstlane_b32 s23, v0
	s_mul_i32 s11, s24, s5
	s_mul_hi_u32 s26, s24, s23
	s_mul_hi_u32 s1, s24, s5
	s_add_u32 s11, s26, s11
	s_addc_u32 s1, 0, s1
	s_mul_hi_u32 s27, s25, s23
	s_mul_i32 s23, s25, s23
	s_add_u32 s11, s11, s23
	s_mul_hi_u32 s26, s25, s5
	s_addc_u32 s1, s1, s27
	s_addc_u32 s11, s26, 0
	s_mul_i32 s5, s25, s5
	s_add_u32 s1, s1, s5
	s_addc_u32 s5, 0, s11
	s_mul_i32 s5, s9, s5
	s_mul_hi_u32 s26, s9, s1
	s_add_i32 s26, s26, s5
	s_mul_i32 s5, s9, s1
	v_mov_b32_e32 v0, s5
	s_add_u32 s11, s1, 1
	s_add_u32 s23, s1, 2
	v_sub_co_u32_e32 v0, vcc, s24, v0
	s_cmp_lg_u64 vcc, 0
	s_subb_u32 s5, s25, s26
	v_subrev_co_u32_e32 v1, vcc, s9, v0
	s_cmp_lg_u64 vcc, 0
	s_subb_u32 s24, s5, 0
	v_cmp_le_u32_e32 vcc, s9, v1
	s_cmp_eq_u32 s24, 0
	v_cndmask_b32_e64 v1, 0, -1, vcc
	s_cselect_b64 vcc, -1, 0
	v_cndmask_b32_e32 v1, -1, v1, vcc
	v_mov_b32_e32 v13, s11
	v_mov_b32_e32 v14, s23
	v_cmp_ne_u32_e32 vcc, 0, v1
	v_cndmask_b32_e32 v1, v13, v14, vcc
	v_cmp_le_u32_e32 vcc, s9, v0
	s_cmp_eq_u32 s5, 0
	v_cndmask_b32_e64 v0, 0, -1, vcc
	s_cselect_b64 vcc, -1, 0
	v_cndmask_b32_e32 v0, -1, v0, vcc
	v_mov_b32_e32 v13, s1
	v_cmp_ne_u32_e32 vcc, 0, v0
	v_cndmask_b32_e32 v0, v13, v1, vcc
	v_xor_b32_e32 v0, s0, v0
	v_subrev_co_u32_e32 v0, vcc, s0, v0
	s_cbranch_execnz .LBB16_11
.LBB16_10:
	s_sub_i32 s0, 0, s9
	v_mul_lo_u32 v0, s0, v11
	v_mul_hi_u32 v0, v11, v0
	v_add_u32_e32 v0, v11, v0
	v_mul_hi_u32 v0, s4, v0
	v_mul_lo_u32 v13, v0, s9
	v_sub_u32_e32 v13, s4, v13
	v_add_u32_e32 v1, 1, v0
	v_subrev_u32_e32 v14, s9, v13
	v_cmp_le_u32_e32 vcc, s9, v13
	v_cndmask_b32_e32 v13, v13, v14, vcc
	v_cndmask_b32_e32 v0, v0, v1, vcc
	v_add_u32_e32 v1, 1, v0
	v_cmp_le_u32_e32 vcc, s9, v13
	v_cndmask_b32_e32 v0, v0, v1, vcc
.LBB16_11:
	v_cmp_ne_u32_e32 vcc, v8, v0
	s_cbranch_vccz .LBB16_14
; %bb.12:
	s_add_i32 s23, s13, s7
	s_add_i32 s0, s23, s9
	s_lshl_b32 s0, s0, 3
	v_mul_hi_u32 v1, v0, s16
	s_add_i32 s0, s0, s8
	s_mov_b32 s1, s10
	v_add_u32_e32 v1, v1, v0
	s_lshl_b64 s[0:1], s[0:1], 3
	v_lshrrev_b32_e32 v1, s17, v1
	s_add_u32 s4, s2, s0
	v_mul_lo_u32 v13, v1, s18
	s_addc_u32 s5, s3, s1
	v_cmp_eq_u32_e32 vcc, v13, v0
	v_cmp_gt_u32_e64 s[0:1], s19, v1
	s_or_b64 s[0:1], s[0:1], vcc
	s_and_b64 vcc, exec, s[0:1]
	s_cbranch_vccnz .LBB16_16
; %bb.13:
	s_add_i32 s11, s13, -1
	s_mov_b64 s[0:1], 0
	s_branch .LBB16_17
.LBB16_14:
                                        ; implicit-def: $sgpr0_sgpr1
                                        ; implicit-def: $vgpr14
                                        ; implicit-def: $vgpr1
                                        ; implicit-def: $vgpr13
                                        ; implicit-def: $sgpr11
                                        ; implicit-def: $vgpr0
	s_branch .LBB16_18
.LBB16_15:
                                        ; implicit-def: $vgpr0_vgpr1
	s_branch .LBB16_10
.LBB16_16:
	s_mov_b64 s[0:1], -1
	s_mov_b32 s11, s13
	v_mov_b32_e32 v0, v8
.LBB16_17:
	v_lshl_add_u32 v14, s23, 10, v4
	v_ashrrev_i32_e32 v15, 31, v14
	v_lshlrev_b64 v[14:15], 2, v[14:15]
	v_mov_b32_e32 v1, s21
	v_add_co_u32_e32 v14, vcc, s14, v14
	v_addc_co_u32_e32 v15, vcc, v1, v15, vcc
	global_load_dword v14, v[14:15], off
	s_load_dwordx2 s[4:5], s[4:5], 0x0
	v_max_f32_e32 v1, v7, v7
	s_waitcnt lgkmcnt(0)
	v_max_f32_e64 v13, s4, s4
	v_max_f32_e32 v1, v1, v13
	v_sub_f32_e32 v13, v7, v1
	v_sub_f32_e32 v15, s4, v1
	v_mul_f32_e32 v16, 0x3fb8aa3b, v13
	v_mul_f32_e32 v17, 0x3fb8aa3b, v15
	v_fma_f32 v18, v13, s6, -v16
	v_rndne_f32_e32 v19, v16
	v_fma_f32 v20, v15, s6, -v17
	v_rndne_f32_e32 v21, v17
	v_fmac_f32_e32 v18, 0x32a5705f, v13
	v_sub_f32_e32 v16, v16, v19
	v_fmac_f32_e32 v20, 0x32a5705f, v15
	v_sub_f32_e32 v17, v17, v21
	v_add_f32_e32 v16, v16, v18
	v_cvt_i32_f32_e32 v19, v19
	v_add_f32_e32 v17, v17, v20
	v_exp_f32_e32 v16, v16
	v_cvt_i32_f32_e32 v21, v21
	v_exp_f32_e32 v17, v17
	v_cmp_ngt_f32_e32 vcc, s12, v13
	v_ldexp_f32 v16, v16, v19
	v_cndmask_b32_e32 v16, 0, v16, vcc
	v_ldexp_f32 v17, v17, v21
	v_cmp_ngt_f32_e32 vcc, s12, v15
	v_cndmask_b32_e32 v17, 0, v17, vcc
	v_cmp_nlt_f32_e32 vcc, s20, v13
	v_cndmask_b32_e32 v16, v12, v16, vcc
	v_cmp_nlt_f32_e32 vcc, s20, v15
	v_cndmask_b32_e32 v17, v12, v17, vcc
	v_cmp_le_f32_e32 vcc, s22, v13
	v_cndmask_b32_e32 v16, 0, v16, vcc
	v_cmp_le_f32_e32 vcc, s22, v15
	v_cndmask_b32_e32 v15, 0, v17, vcc
	v_mul_f32_e32 v13, s5, v15
	v_fmac_f32_e32 v13, v6, v16
	s_waitcnt vmcnt(0)
	v_mul_f32_e32 v14, v14, v15
	v_fmac_f32_e32 v14, v5, v16
	s_cbranch_execnz .LBB16_19
.LBB16_18:
	s_add_i32 s11, s13, -1
	s_mov_b64 s[0:1], 0
	v_mov_b32_e32 v0, v8
	v_mov_b32_e32 v13, v6
	;; [unrolled: 1-line block ×3, first 2 shown]
	s_waitcnt vmcnt(0)
	v_mov_b32_e32 v14, v5
.LBB16_19:
	s_andn2_b64 vcc, exec, s[0:1]
	s_cbranch_vccz .LBB16_23
; %bb.20:
	v_mov_b32_e32 v8, v0
	s_mov_b32 s13, s11
	v_mov_b32_e32 v6, v13
	v_mov_b32_e32 v7, v1
	s_waitcnt vmcnt(0)
	v_mov_b32_e32 v5, v14
	s_mul_hi_i32 s11, s13, s15
	s_cmp_lg_u64 s[10:11], 0
	s_mul_i32 s4, s13, s15
	s_cbranch_scc1 .LBB16_9
	s_branch .LBB16_15
.LBB16_21:
                                        ; implicit-def: $sgpr20_sgpr21
	s_load_dwordx4 s[16:19], s[4:5], 0x44
	s_branch .LBB16_2
.LBB16_22:
                                        ; implicit-def: $vgpr2_vgpr3
	s_branch .LBB16_5
.LBB16_23:
	v_div_scale_f32 v0, s[0:1], v13, v13, v14
	v_rcp_f32_e32 v1, v0
	v_div_scale_f32 v4, vcc, v14, v13, v14
	s_waitcnt vmcnt(0)
	v_fma_f32 v5, -v0, v1, 1.0
	v_fmac_f32_e32 v1, v5, v1
	v_mul_f32_e32 v5, v4, v1
	v_fma_f32 v6, -v0, v5, v4
	v_fmac_f32_e32 v5, v6, v1
	v_fma_f32 v0, -v0, v5, v4
	v_div_fmas_f32 v0, v0, v1, v5
	v_div_fixup_f32 v0, v0, v13, v14
	global_store_dword v[2:3], v0, off
.LBB16_24:
	s_endpgm
	.section	.rodata,"a",@progbits
	.p2align	6, 0x0
	.amdhsa_kernel _ZL33flash_attn_stream_k_fixup_generalILi128ELi1ELi8EEvPfPK15HIP_vector_typeIfLj2EEiiiiS1_IjLj3EES5_S5_S5_
		.amdhsa_group_segment_fixed_size 0
		.amdhsa_private_segment_fixed_size 0
		.amdhsa_kernarg_size 336
		.amdhsa_user_sgpr_count 6
		.amdhsa_user_sgpr_private_segment_buffer 1
		.amdhsa_user_sgpr_dispatch_ptr 0
		.amdhsa_user_sgpr_queue_ptr 0
		.amdhsa_user_sgpr_kernarg_segment_ptr 1
		.amdhsa_user_sgpr_dispatch_id 0
		.amdhsa_user_sgpr_flat_scratch_init 0
		.amdhsa_user_sgpr_kernarg_preload_length 0
		.amdhsa_user_sgpr_kernarg_preload_offset 0
		.amdhsa_user_sgpr_private_segment_size 0
		.amdhsa_uses_dynamic_stack 0
		.amdhsa_system_sgpr_private_segment_wavefront_offset 0
		.amdhsa_system_sgpr_workgroup_id_x 1
		.amdhsa_system_sgpr_workgroup_id_y 1
		.amdhsa_system_sgpr_workgroup_id_z 1
		.amdhsa_system_sgpr_workgroup_info 0
		.amdhsa_system_vgpr_workitem_id 0
		.amdhsa_next_free_vgpr 22
		.amdhsa_next_free_sgpr 32
		.amdhsa_accum_offset 24
		.amdhsa_reserve_vcc 1
		.amdhsa_reserve_flat_scratch 0
		.amdhsa_float_round_mode_32 0
		.amdhsa_float_round_mode_16_64 0
		.amdhsa_float_denorm_mode_32 3
		.amdhsa_float_denorm_mode_16_64 3
		.amdhsa_dx10_clamp 1
		.amdhsa_ieee_mode 1
		.amdhsa_fp16_overflow 0
		.amdhsa_tg_split 0
		.amdhsa_exception_fp_ieee_invalid_op 0
		.amdhsa_exception_fp_denorm_src 0
		.amdhsa_exception_fp_ieee_div_zero 0
		.amdhsa_exception_fp_ieee_overflow 0
		.amdhsa_exception_fp_ieee_underflow 0
		.amdhsa_exception_fp_ieee_inexact 0
		.amdhsa_exception_int_div_zero 0
	.end_amdhsa_kernel
	.section	.text._ZL33flash_attn_stream_k_fixup_generalILi128ELi1ELi8EEvPfPK15HIP_vector_typeIfLj2EEiiiiS1_IjLj3EES5_S5_S5_,"axG",@progbits,_ZL33flash_attn_stream_k_fixup_generalILi128ELi1ELi8EEvPfPK15HIP_vector_typeIfLj2EEiiiiS1_IjLj3EES5_S5_S5_,comdat
.Lfunc_end16:
	.size	_ZL33flash_attn_stream_k_fixup_generalILi128ELi1ELi8EEvPfPK15HIP_vector_typeIfLj2EEiiiiS1_IjLj3EES5_S5_S5_, .Lfunc_end16-_ZL33flash_attn_stream_k_fixup_generalILi128ELi1ELi8EEvPfPK15HIP_vector_typeIfLj2EEiiiiS1_IjLj3EES5_S5_S5_
                                        ; -- End function
	.section	.AMDGPU.csdata,"",@progbits
; Kernel info:
; codeLenInByte = 2804
; NumSgprs: 36
; NumVgprs: 22
; NumAgprs: 0
; TotalNumVgprs: 22
; ScratchSize: 0
; MemoryBound: 0
; FloatMode: 240
; IeeeMode: 1
; LDSByteSize: 0 bytes/workgroup (compile time only)
; SGPRBlocks: 4
; VGPRBlocks: 2
; NumSGPRsForWavesPerEU: 36
; NumVGPRsForWavesPerEU: 22
; AccumOffset: 24
; Occupancy: 8
; WaveLimiterHint : 0
; COMPUTE_PGM_RSRC2:SCRATCH_EN: 0
; COMPUTE_PGM_RSRC2:USER_SGPR: 6
; COMPUTE_PGM_RSRC2:TRAP_HANDLER: 0
; COMPUTE_PGM_RSRC2:TGID_X_EN: 1
; COMPUTE_PGM_RSRC2:TGID_Y_EN: 1
; COMPUTE_PGM_RSRC2:TGID_Z_EN: 1
; COMPUTE_PGM_RSRC2:TIDIG_COMP_CNT: 0
; COMPUTE_PGM_RSRC3_GFX90A:ACCUM_OFFSET: 5
; COMPUTE_PGM_RSRC3_GFX90A:TG_SPLIT: 0
	.section	.text._ZL15flash_attn_tileILi128ELi128ELi16ELi4ELb0EEvPKcS1_S1_S1_S1_PKiPfP15HIP_vector_typeIfLj2EEffffjfiS5_IjLj3EEiiiiiiiiiiiliiliiiiil,"axG",@progbits,_ZL15flash_attn_tileILi128ELi128ELi16ELi4ELb0EEvPKcS1_S1_S1_S1_PKiPfP15HIP_vector_typeIfLj2EEffffjfiS5_IjLj3EEiiiiiiiiiiiliiliiiiil,comdat
	.globl	_ZL15flash_attn_tileILi128ELi128ELi16ELi4ELb0EEvPKcS1_S1_S1_S1_PKiPfP15HIP_vector_typeIfLj2EEffffjfiS5_IjLj3EEiiiiiiiiiiiliiliiiiil ; -- Begin function _ZL15flash_attn_tileILi128ELi128ELi16ELi4ELb0EEvPKcS1_S1_S1_S1_PKiPfP15HIP_vector_typeIfLj2EEffffjfiS5_IjLj3EEiiiiiiiiiiiliiliiiiil
	.p2align	8
	.type	_ZL15flash_attn_tileILi128ELi128ELi16ELi4ELb0EEvPKcS1_S1_S1_S1_PKiPfP15HIP_vector_typeIfLj2EEffffjfiS5_IjLj3EEiiiiiiiiiiiliiliiiiil,@function
_ZL15flash_attn_tileILi128ELi128ELi16ELi4ELb0EEvPKcS1_S1_S1_S1_PKiPfP15HIP_vector_typeIfLj2EEffffjfiS5_IjLj3EEiiiiiiiiiiiliiliiiiil: ; @_ZL15flash_attn_tileILi128ELi128ELi16ELi4ELb0EEvPKcS1_S1_S1_S1_PKiPfP15HIP_vector_typeIfLj2EEffffjfiS5_IjLj3EEiiiiiiiiiiiliiliiiiil
; %bb.0:
	s_load_dwordx4 s[60:63], s[4:5], 0x5c
	s_load_dwordx2 s[66:67], s[4:5], 0x80
	s_load_dwordx16 s[44:59], s[4:5], 0x0
	s_mov_b64 s[68:69], 0
	s_waitcnt lgkmcnt(0)
	s_ashr_i32 s0, s63, 31
	s_lshr_b32 s0, s0, 30
	s_add_i32 s0, s63, s0
	s_ashr_i32 s0, s0, 2
	v_cvt_f32_u32_e32 v1, s0
	s_sub_i32 s1, 0, s0
	v_rcp_iflag_f32_e32 v1, v1
	v_mul_f32_e32 v1, 0x4f7ffffe, v1
	v_cvt_u32_f32_e32 v1, v1
	v_readfirstlane_b32 s2, v1
	s_mul_i32 s1, s1, s2
	s_mul_hi_u32 s1, s2, s1
	s_add_i32 s2, s2, s1
	s_mul_hi_u32 s1, s8, s2
	s_mul_i32 s2, s1, s0
	s_sub_i32 s2, s8, s2
	s_add_i32 s3, s1, 1
	s_sub_i32 s9, s2, s0
	s_cmp_ge_u32 s2, s0
	s_cselect_b32 s1, s3, s1
	s_cselect_b32 s2, s9, s2
	s_add_i32 s3, s1, 1
	s_cmp_ge_u32 s2, s0
	s_cselect_b32 s33, s3, s1
	s_abs_i32 s0, s67
	v_cvt_f32_u32_e32 v1, s0
	s_lshl_b32 s1, s8, 2
	s_mul_i32 s8, s33, s63
	s_sub_i32 s9, 0, s0
	v_rcp_iflag_f32_e32 v1, v1
	s_sub_i32 s64, s1, s8
	s_abs_i32 s3, s63
	s_xor_b32 s2, s63, s67
	v_mul_f32_e32 v1, 0x4f7ffffe, v1
	v_cvt_u32_f32_e32 v1, v1
	s_ashr_i32 s2, s2, 31
	v_readfirstlane_b32 s1, v1
	s_mul_i32 s9, s9, s1
	s_mul_hi_u32 s8, s1, s9
	s_add_i32 s1, s1, s8
	s_mul_hi_u32 s1, s3, s1
	s_mul_i32 s8, s1, s0
	s_sub_i32 s3, s3, s8
	s_add_i32 s9, s1, 1
	s_sub_i32 s8, s3, s0
	s_cmp_ge_u32 s3, s0
	s_cselect_b32 s1, s9, s1
	s_cselect_b32 s3, s8, s3
	s_add_i32 s8, s1, 1
	s_cmp_ge_u32 s3, s0
	s_cselect_b32 s0, s8, s1
	s_xor_b32 s0, s0, s2
	s_sub_i32 s11, s0, s2
	s_abs_i32 s10, s11
	v_cvt_f32_u32_e32 v1, s10
	s_load_dwordx2 s[8:9], s[4:5], 0xb8
	s_cmp_eq_u64 s[50:51], 0
	v_rcp_iflag_f32_e32 v1, v1
	v_mul_f32_e32 v1, 0x4f7ffffe, v1
	v_cvt_u32_f32_e32 v1, v1
	v_readfirstlane_b32 s12, v1
	s_cbranch_scc1 .LBB17_2
; %bb.1:
	s_waitcnt lgkmcnt(0)
	s_abs_i32 s2, s8
	v_cvt_f32_u32_e32 v1, s2
	s_sub_i32 s13, 0, s2
	s_abs_i32 s8, s33
	s_ashr_i32 s3, s33, 31
	v_rcp_iflag_f32_e32 v1, v1
	s_load_dwordx2 s[0:1], s[4:5], 0xc8
	v_mul_f32_e32 v1, 0x4f7ffffe, v1
	v_cvt_u32_f32_e32 v1, v1
	v_readfirstlane_b32 s14, v1
	s_mul_i32 s13, s13, s14
	s_mul_hi_u32 s13, s14, s13
	s_add_i32 s14, s14, s13
	s_mul_hi_u32 s13, s8, s14
	s_mul_i32 s13, s13, s2
	s_sub_i32 s8, s8, s13
	s_sub_i32 s13, s8, s2
	s_cmp_ge_u32 s8, s2
	s_cselect_b32 s8, s13, s8
	s_sub_i32 s13, s8, s2
	s_cmp_ge_u32 s8, s2
	s_cselect_b32 s2, s13, s8
	s_xor_b32 s2, s2, s3
	s_sub_i32 s2, s2, s3
	s_ashr_i32 s3, s2, 31
	s_waitcnt lgkmcnt(0)
	s_mul_i32 s1, s2, s1
	s_mul_hi_u32 s8, s2, s0
	s_add_i32 s1, s8, s1
	s_mul_i32 s3, s3, s0
	s_add_i32 s1, s1, s3
	s_mul_i32 s2, s2, s0
	s_add_u32 s68, s50, s2
	s_addc_u32 s69, s51, s1
.LBB17_2:
	s_load_dwordx4 s[0:3], s[4:5], 0x70
	v_bfe_u32 v9, v0, 10, 10
	s_lshl_b32 s67, s6, 4
	v_lshlrev_b32_e32 v121, 1, v9
	v_add_u32_e32 v123, s67, v121
	s_waitcnt lgkmcnt(0)
	s_mul_i32 s2, s33, s2
	s_ashr_i32 s8, s2, 31
	s_mul_i32 s3, s64, s1
	s_add_u32 s2, s44, s2
	v_and_b32_e32 v122, 0x3ff, v0
	v_mul_hi_u32 v0, v123, s60
	s_addc_u32 s8, s45, s8
	s_ashr_i32 s13, s3, 31
	v_add_u32_e32 v0, v123, v0
	s_add_u32 s18, s2, s3
	v_lshrrev_b32_e32 v0, s61, v0
	s_addc_u32 s8, s8, s13
	s_ashr_i32 s3, s1, 31
	s_mov_b32 s2, s1
	v_mul_lo_u32 v0, v0, s62
	s_lshr_b64 s[14:15], s[2:3], 2
	s_ashr_i32 s2, s0, 31
	v_sub_u32_e32 v10, v123, v0
	v_mov_b32_e32 v0, s0
	v_alignbit_b32 v32, s2, v0, 2
	v_mad_u64_u32 v[0:1], s[16:17], v32, v10, 0
	v_mov_b32_e32 v2, v1
	s_lshr_b32 s0, s2, 2
	v_mad_u64_u32 v[2:3], s[16:17], s0, v10, v[2:3]
	v_mov_b32_e32 v1, v2
	v_lshlrev_b64 v[12:13], 2, v[0:1]
	v_mov_b32_e32 v0, s8
	v_add_co_u32_e32 v1, vcc, s18, v12
	v_addc_co_u32_e32 v0, vcc, v0, v13, vcc
	v_lshlrev_b32_e32 v8, 4, v122
	s_and_b32 s2, s1, -4
	v_add_co_u32_e32 v14, vcc, v1, v8
	s_add_u32 s13, s18, s2
	v_addc_co_u32_e32 v15, vcc, 0, v0, vcc
	s_addc_u32 s16, s8, s3
	v_mov_b32_e32 v0, s16
	v_add_co_u32_e32 v1, vcc, s13, v12
	v_addc_co_u32_e32 v0, vcc, v0, v13, vcc
	s_lshl_b64 s[14:15], s[14:15], 3
	v_add_co_u32_e32 v16, vcc, v1, v8
	s_add_u32 s14, s18, s14
	v_addc_co_u32_e32 v17, vcc, 0, v0, vcc
	s_addc_u32 s15, s8, s15
	global_load_dwordx4 v[0:3], v[14:15], off
	global_load_dwordx4 v[4:7], v[16:17], off
	v_mov_b32_e32 v14, s15
	v_add_co_u32_e32 v15, vcc, s14, v12
	v_addc_co_u32_e32 v14, vcc, v14, v13, vcc
	v_add_co_u32_e32 v20, vcc, v15, v8
	v_addc_co_u32_e32 v21, vcc, 0, v14, vcc
	v_mov_b32_e32 v14, s1
	v_alignbit_b32 v14, s3, v14, 2
	s_lshr_b32 s1, s3, 2
	v_mul_lo_u32 v15, v14, 12
	v_mul_hi_u32 v14, v14, 12
	s_mul_i32 s1, s1, 12
	v_add_u32_e32 v14, s1, v14
	v_mov_b32_e32 v16, s8
	v_add_co_u32_e32 v36, vcc, s18, v15
	v_lshlrev_b32_e32 v11, 3, v9
	v_addc_co_u32_e32 v37, vcc, v16, v14, vcc
	v_add_co_u32_e32 v12, vcc, v36, v12
	v_or_b32_e32 v38, 4, v11
	v_addc_co_u32_e32 v13, vcc, v37, v13, vcc
	v_lshrrev_b32_e32 v118, 2, v38
	v_add_co_u32_e32 v22, vcc, v12, v8
	v_add_u32_e32 v120, s67, v118
	v_addc_co_u32_e32 v23, vcc, 0, v13, vcc
	global_load_dwordx4 v[12:15], v[20:21], off
	global_load_dwordx4 v[16:19], v[22:23], off
	v_mul_hi_u32 v20, v120, s60
	v_add_u32_e32 v20, v120, v20
	v_lshrrev_b32_e32 v20, s61, v20
	v_mul_lo_u32 v20, v20, s62
	v_sub_u32_e32 v23, v120, v20
	v_mad_u64_u32 v[20:21], s[2:3], v32, v23, 0
	v_mov_b32_e32 v22, v21
	v_mad_u64_u32 v[22:23], s[2:3], s0, v23, v[22:23]
	v_mov_b32_e32 v21, v22
	v_lshlrev_b64 v[20:21], 2, v[20:21]
	v_or_b32_e32 v39, 5, v11
	v_mov_b32_e32 v22, s8
	v_add_co_u32_e32 v20, vcc, s18, v20
	v_lshrrev_b32_e32 v116, 2, v39
	v_addc_co_u32_e32 v21, vcc, v22, v21, vcc
	v_add_u32_e32 v117, s67, v116
	v_add_co_u32_e32 v28, vcc, v20, v8
	v_mul_hi_u32 v20, v117, s60
	v_add_u32_e32 v20, v117, v20
	v_lshrrev_b32_e32 v20, s61, v20
	v_mul_lo_u32 v20, v20, s62
	v_sub_u32_e32 v23, v117, v20
	v_addc_co_u32_e32 v29, vcc, 0, v21, vcc
	v_mad_u64_u32 v[20:21], s[2:3], v32, v23, 0
	v_mov_b32_e32 v22, v21
	v_mad_u64_u32 v[22:23], s[2:3], s0, v23, v[22:23]
	v_mov_b32_e32 v21, v22
	v_lshlrev_b64 v[20:21], 2, v[20:21]
	v_mov_b32_e32 v22, s16
	v_add_co_u32_e32 v20, vcc, s13, v20
	v_or_b32_e32 v40, 6, v11
	v_addc_co_u32_e32 v21, vcc, v22, v21, vcc
	v_lshrrev_b32_e32 v114, 2, v40
	v_add_co_u32_e32 v30, vcc, v20, v8
	v_add_u32_e32 v115, s67, v114
	v_addc_co_u32_e32 v31, vcc, 0, v21, vcc
	global_load_dwordx4 v[20:23], v[28:29], off
	global_load_dwordx4 v[24:27], v[30:31], off
	v_mul_hi_u32 v28, v115, s60
	v_add_u32_e32 v28, v115, v28
	v_lshrrev_b32_e32 v28, s61, v28
	v_mul_lo_u32 v28, v28, s62
	v_or_b32_e32 v41, 7, v11
	v_sub_u32_e32 v31, v115, v28
	v_lshrrev_b32_e32 v112, 2, v41
	v_mad_u64_u32 v[28:29], s[2:3], v32, v31, 0
	v_add_u32_e32 v113, s67, v112
	v_mov_b32_e32 v30, v29
	v_mul_hi_u32 v33, v113, s60
	v_mad_u64_u32 v[30:31], s[2:3], s0, v31, v[30:31]
	v_add_u32_e32 v33, v113, v33
	v_mov_b32_e32 v29, v30
	v_lshrrev_b32_e32 v33, s61, v33
	v_lshlrev_b64 v[28:29], 2, v[28:29]
	v_mul_lo_u32 v33, v33, s62
	v_mov_b32_e32 v30, s15
	v_add_co_u32_e32 v28, vcc, s14, v28
	v_sub_u32_e32 v35, v113, v33
	v_addc_co_u32_e32 v29, vcc, v30, v29, vcc
	v_mad_u64_u32 v[32:33], s[2:3], v32, v35, 0
	v_add_co_u32_e32 v28, vcc, v28, v8
	v_mov_b32_e32 v34, v33
	v_addc_co_u32_e32 v29, vcc, 0, v29, vcc
	v_mad_u64_u32 v[34:35], s[0:1], s0, v35, v[34:35]
	global_load_dwordx4 v[28:31], v[28:29], off
	v_mov_b32_e32 v33, v34
	v_lshlrev_b64 v[32:33], 2, v[32:33]
	v_add_co_u32_e32 v32, vcc, v36, v32
	v_addc_co_u32_e32 v33, vcc, v37, v33, vcc
	v_add_co_u32_e32 v32, vcc, v32, v8
	v_addc_co_u32_e32 v33, vcc, 0, v33, vcc
	global_load_dwordx4 v[32:35], v[32:33], off
	s_load_dword s0, s[4:5], 0x40
	v_lshlrev_b32_e32 v36, 1, v122
	s_cmp_eq_u64 s[54:55], 0
	s_waitcnt vmcnt(7) lgkmcnt(0)
	v_pk_mul_f32 v[0:1], v[0:1], s[0:1] op_sel_hi:[1,0]
	v_cvt_f16_f32_e32 v37, v1
	v_cvt_f16_f32_e32 v42, v0
	v_pk_mul_f32 v[0:1], v[2:3], s[0:1] op_sel_hi:[1,0]
	v_cvt_f16_f32_e32 v44, v0
	v_lshlrev_b32_e32 v0, 3, v122
	v_cvt_f16_f32_e32 v43, v1
	v_lshl_or_b32 v45, v9, 11, v0
	s_waitcnt vmcnt(6)
	v_pk_mul_f32 v[0:1], v[4:5], s[0:1] op_sel_hi:[1,0]
	v_pk_mul_f32 v[2:3], v[6:7], s[0:1] op_sel_hi:[1,0]
	v_cvt_f16_f32_e32 v4, v1
	v_cvt_f16_f32_e32 v3, v3
	;; [unrolled: 1-line block ×4, first 2 shown]
	v_pack_b32_f16 v1, v44, v43
	v_pack_b32_f16 v0, v42, v37
	;; [unrolled: 1-line block ×4, first 2 shown]
	ds_write2_b64 v45, v[0:1], v[2:3] offset1:32
	s_waitcnt vmcnt(5)
	v_pk_mul_f32 v[0:1], v[12:13], s[0:1] op_sel_hi:[1,0]
	v_cvt_f16_f32_e32 v4, v1
	v_cvt_f16_f32_e32 v5, v0
	v_pk_mul_f32 v[0:1], v[14:15], s[0:1] op_sel_hi:[1,0]
	v_cvt_f16_f32_e32 v6, v1
	v_cvt_f16_f32_e32 v7, v0
	s_waitcnt vmcnt(4)
	v_pk_mul_f32 v[0:1], v[16:17], s[0:1] op_sel_hi:[1,0]
	v_pk_mul_f32 v[2:3], v[18:19], s[0:1] op_sel_hi:[1,0]
	v_cvt_f16_f32_e32 v12, v1
	v_cvt_f16_f32_e32 v3, v3
	;; [unrolled: 1-line block ×4, first 2 shown]
	v_pack_b32_f16 v1, v7, v6
	v_pack_b32_f16 v0, v5, v4
	;; [unrolled: 1-line block ×4, first 2 shown]
	ds_write2_b64 v45, v[0:1], v[2:3] offset0:64 offset1:96
	s_waitcnt vmcnt(3)
	v_pk_mul_f32 v[0:1], v[20:21], s[0:1] op_sel_hi:[1,0]
	v_pk_mul_f32 v[2:3], v[22:23], s[0:1] op_sel_hi:[1,0]
	v_cvt_f16_f32_e32 v4, v1
	v_cvt_f16_f32_e32 v1, v3
	v_cvt_f16_f32_e32 v2, v2
	v_cvt_f16_f32_e32 v0, v0
	v_lshlrev_b32_e32 v3, 6, v38
	v_add_lshl_u32 v3, v3, v36, 2
	v_pack_b32_f16 v1, v2, v1
	v_pack_b32_f16 v0, v0, v4
	ds_write_b64 v3, v[0:1]
	s_waitcnt vmcnt(2)
	v_pk_mul_f32 v[0:1], v[24:25], s[0:1] op_sel_hi:[1,0]
	v_pk_mul_f32 v[2:3], v[26:27], s[0:1] op_sel_hi:[1,0]
	v_cvt_f16_f32_e32 v4, v1
	v_cvt_f16_f32_e32 v1, v3
	v_cvt_f16_f32_e32 v2, v2
	v_cvt_f16_f32_e32 v0, v0
	v_lshlrev_b32_e32 v3, 6, v39
	v_add_lshl_u32 v3, v3, v36, 2
	v_pack_b32_f16 v1, v2, v1
	v_pack_b32_f16 v0, v0, v4
	ds_write_b64 v3, v[0:1]
	;; [unrolled: 12-line block ×4, first 2 shown]
	s_waitcnt lgkmcnt(0)
	s_barrier
	s_cbranch_scc1 .LBB17_4
; %bb.3:
	s_load_dword s0, s[4:5], 0xd0
	s_mov_b32 s1, 0
	s_waitcnt lgkmcnt(0)
	s_mul_i32 s0, s0, s33
	s_add_i32 s0, s0, s6
	s_lshl_b64 s[0:1], s[0:1], 2
	s_add_u32 s0, s54, s0
	s_addc_u32 s1, s55, s1
	s_load_dword s66, s[0:1], 0x0
.LBB17_4:
	s_lshl_b32 s54, s7, 6
	s_waitcnt lgkmcnt(0)
	s_cmp_lt_i32 s54, s66
	v_mbcnt_lo_u32_b32 v12, -1, 0
	s_cbranch_scc1 .LBB17_6
; %bb.5:
	v_mbcnt_hi_u32_b32 v124, -1, v12
	v_and_b32_e32 v0, 0x60, v124
	s_mov_b32 s2, 0
	v_add_u32_e32 v125, 32, v0
	v_xor_b32_e32 v129, 16, v124
	v_xor_b32_e32 v130, 8, v124
	;; [unrolled: 1-line block ×5, first 2 shown]
	s_mov_b64 s[0:1], 0
	s_mov_b32 s3, 0xfeffffff
	s_branch .LBB17_7
.LBB17_6:
	s_mov_b64 s[0:1], -1
                                        ; implicit-def: $sgpr3
                                        ; implicit-def: $sgpr2
                                        ; implicit-def: $vgpr124
                                        ; implicit-def: $vgpr125
                                        ; implicit-def: $vgpr129
                                        ; implicit-def: $vgpr130
                                        ; implicit-def: $vgpr128
                                        ; implicit-def: $vgpr127
                                        ; implicit-def: $vgpr126
.LBB17_7:
	v_lshlrev_b32_e32 v119, 2, v122
	s_andn2_b64 vcc, exec, s[0:1]
	v_mov_b32_e32 v7, s3
	v_mov_b32_e32 v105, s2
	v_mov_b32_e32 v54, s2
	v_mov_b32_e32 v6, s3
	v_mov_b32_e32 v5, s3
	v_mov_b32_e32 v4, s3
	v_mov_b32_e32 v3, s3
	v_mov_b32_e32 v2, s3
	v_mov_b32_e32 v1, s3
	v_mov_b32_e32 v0, s3
	v_mov_b32_e32 v104, s2
	v_mov_b32_e32 v107, s2
	v_mov_b32_e32 v106, s2
	v_mov_b32_e32 v111, s2
	v_mov_b32_e32 v110, s2
	v_mov_b32_e32 v109, s2
	v_mov_b32_e32 v108, s2
	v_mov_b32_e32 v55, s2
	v_mov_b32_e32 v53, s2
	v_mov_b32_e32 v52, s2
	v_mov_b32_e32 v51, s2
	v_mov_b32_e32 v50, s2
	v_mov_b32_e32 v49, s2
	v_mov_b32_e32 v48, s2
	v_mov_b32_e32 v47, s2
	v_mov_b32_e32 v46, s2
	v_mov_b32_e32 v45, s2
	v_mov_b32_e32 v44, s2
	v_mov_b32_e32 v43, s2
	v_mov_b32_e32 v42, s2
	v_mov_b32_e32 v41, s2
	v_mov_b32_e32 v40, s2
	s_cbranch_vccnz .LBB17_10
; %bb.8:
	s_sub_i32 s0, 0, s10
	s_mul_i32 s0, s0, s12
	s_mul_hi_u32 s0, s12, s0
	s_add_i32 s8, s12, s0
	s_load_dwordx2 s[12:13], s[4:5], 0x8c
	s_load_dwordx4 s[0:3], s[4:5], 0x98
	s_abs_i32 s6, s64
	s_mul_hi_u32 s8, s6, s8
	s_ashr_i32 s16, s64, 31
	s_waitcnt lgkmcnt(0)
	s_ashr_i32 s65, s12, 2
	s_ashr_i32 s55, s2, 2
	s_ashr_i32 s2, s9, 1
	s_ashr_i32 s9, s33, 31
	s_mul_i32 s1, s33, s1
	s_mul_hi_u32 s12, s33, s0
	s_add_i32 s1, s12, s1
	s_mul_i32 s12, s9, s0
	s_ashr_i32 s11, s11, 31
	s_add_i32 s1, s1, s12
	s_mul_i32 s0, s33, s0
	s_add_u32 s0, s46, s0
	s_mul_i32 s12, s8, s10
	s_addc_u32 s1, s47, s1
	s_sub_i32 s6, s6, s12
	s_xor_b32 s11, s16, s11
	s_add_i32 s12, s8, 1
	s_sub_i32 s16, s6, s10
	s_cmp_ge_u32 s6, s10
	s_cselect_b32 s8, s12, s8
	s_cselect_b32 s6, s16, s6
	s_add_i32 s12, s8, 1
	s_cmp_ge_u32 s6, s10
	s_cselect_b32 s6, s12, s8
	s_load_dwordx2 s[14:15], s[4:5], 0xa8
	s_xor_b32 s6, s6, s11
	s_sub_i32 s6, s6, s11
	s_mul_i32 s8, s6, s13
	s_ashr_i32 s10, s8, 31
	s_add_u32 s0, s0, s8
	s_addc_u32 s1, s1, s10
	s_waitcnt lgkmcnt(0)
	s_mul_i32 s8, s33, s15
	s_mul_hi_u32 s10, s33, s14
	s_add_i32 s8, s10, s8
	s_mul_i32 s9, s9, s14
	s_add_i32 s8, s8, s9
	s_mul_i32 s9, s33, s14
	v_lshrrev_b32_e32 v0, 2, v122
	s_add_u32 s9, s48, s9
	s_mul_i32 s6, s6, s3
	v_add_u32_e32 v0, v11, v0
	s_addc_u32 s8, s49, s8
	s_ashr_i32 s3, s6, 31
	v_and_b32_e32 v1, 12, v119
	v_mul_u32_u24_e32 v2, 0x50, v0
	v_mul_lo_u32 v0, s65, v0
	s_add_u32 s6, s9, s6
	v_lshlrev_b32_e32 v3, 2, v1
	v_ashrrev_i32_e32 v1, 31, v0
	s_addc_u32 s3, s8, s3
	s_movk_i32 s8, 0x6000
	v_lshlrev_b64 v[0:1], 2, v[0:1]
	v_add3_u32 v131, v2, v3, s8
	v_mov_b32_e32 v2, s1
	v_add_co_u32_e32 v0, vcc, s0, v0
	v_addc_co_u32_e32 v1, vcc, v2, v1, vcc
	v_add_co_u32_e32 v132, vcc, v0, v3
	v_add3_u32 v0, s67, v121, 1
	v_addc_co_u32_e32 v133, vcc, 0, v1, vcc
	v_mul_hi_u32 v1, s60, v0
	v_add_u32_e32 v1, v0, v1
	v_lshrrev_b32_e32 v1, s61, v1
	v_mul_lo_u32 v1, v1, s62
	v_sub_u32_e32 v0, v0, v1
	v_mul_lo_u32 v137, v0, s2
	v_mov_b32_e32 v0, 0x4000
	v_lshl_add_u32 v138, v9, 10, v0
	v_lshrrev_b32_e32 v0, 4, v122
	v_and_b32_e32 v1, 60, v119
	v_add_u32_e32 v0, v121, v0
	v_lshlrev_b32_e32 v2, 2, v1
	v_lshl_or_b32 v1, v0, 8, v2
	v_mul_lo_u32 v0, s55, v0
	v_add_u32_e32 v139, 0x6000, v1
	v_ashrrev_i32_e32 v1, 31, v0
	v_lshlrev_b64 v[0:1], 2, v[0:1]
	v_mov_b32_e32 v3, s3
	v_add_co_u32_e32 v0, vcc, s6, v0
	v_addc_co_u32_e32 v1, vcc, v3, v1, vcc
	v_add_co_u32_e32 v140, vcc, v0, v2
	v_mov_b32_e32 v0, 0x6000
	v_mbcnt_hi_u32_b32 v124, -1, v12
	v_addc_co_u32_e32 v141, vcc, 0, v1, vcc
	v_lshl_or_b32 v142, v122, 3, v0
	s_add_u32 s50, s4, 0xd0
	v_mov_b32_e32 v0, 0xfeffffff
	v_mov_b32_e32 v108, 0
	v_and_b32_e32 v1, 0x60, v124
	v_mul_u32_u24_e32 v134, 0x50, v122
	v_lshlrev_b32_e32 v135, 11, v9
	v_mul_lo_u32 v136, v10, s2
	s_addc_u32 s51, s5, 0
	v_mov_b32_e32 v40, 0
	v_add_u32_e32 v125, 32, v1
	v_xor_b32_e32 v129, 16, v124
	v_xor_b32_e32 v130, 8, v124
	;; [unrolled: 1-line block ×5, first 2 shown]
	v_mov_b32_e32 v143, s69
	s_mov_b32 s6, 0x40051340
	s_mov_b32 s60, 0x3fb8aa3b
	;; [unrolled: 1-line block ×4, first 2 shown]
	v_mov_b32_e32 v144, 0x7f800000
	v_add_u32_e32 v145, v138, v8
	v_add_u32_e32 v146, 0x800, v142
	v_mov_b32_e32 v41, 0
	v_mov_b32_e32 v42, 0
	v_mov_b32_e32 v43, 0
	v_mov_b32_e32 v44, 0
	v_mov_b32_e32 v45, 0
	v_mov_b32_e32 v46, 0
	v_mov_b32_e32 v47, 0
	v_mov_b32_e32 v48, 0
	v_mov_b32_e32 v49, 0
	v_mov_b32_e32 v50, 0
	v_mov_b32_e32 v51, 0
	v_mov_b32_e32 v52, 0
	v_mov_b32_e32 v53, 0
	v_mov_b32_e32 v55, 0
	v_mov_b32_e32 v54, 0
	v_mov_b32_e32 v1, v0
	v_mov_b32_e32 v2, v0
	v_mov_b32_e32 v3, v0
	v_mov_b32_e32 v4, v0
	v_mov_b32_e32 v5, v0
	v_mov_b32_e32 v6, v0
	v_mov_b32_e32 v7, v0
	v_mov_b32_e32 v109, v108
	v_mov_b32_e32 v110, v108
	v_mov_b32_e32 v111, v108
	v_mov_b32_e32 v106, v108
	v_mov_b32_e32 v107, v108
	v_mov_b32_e32 v104, v108
	v_mov_b32_e32 v105, v108
.LBB17_9:                               ; =>This Inner Loop Header: Depth=1
	s_mul_hi_i32 s1, s54, s65
	s_mul_i32 s0, s54, s65
	v_cmp_lt_i32_e32 vcc, v129, v125
	v_cndmask_b32_e32 v9, v124, v129, vcc
	s_lshl_b64 s[0:1], s[0:1], 2
	v_lshlrev_b32_e32 v62, 2, v9
	v_mov_b32_e32 v9, s1
	v_add_co_u32_e64 v38, s[0:1], s0, v132
	v_addc_co_u32_e64 v39, s[0:1], v133, v9, s[0:1]
	global_load_dwordx4 v[64:67], v[38:39], off
	v_mov_b32_e32 v14, v0
	v_mov_b32_e32 v0, 0
	;; [unrolled: 1-line block ×20, first 2 shown]
	v_cmp_lt_i32_e32 vcc, v130, v125
	v_cndmask_b32_e32 v10, v124, v130, vcc
	v_cmp_lt_i32_e32 vcc, v128, v125
	v_add_u32_e32 v8, s54, v122
	v_cndmask_b32_e32 v11, v124, v128, vcc
	v_cmp_lt_i32_e32 vcc, v127, v125
	s_mul_hi_i32 s3, s54, s55
	s_mul_i32 s2, s54, s55
	v_cndmask_b32_e32 v30, v124, v127, vcc
	v_cmp_lt_i32_e32 vcc, v126, v125
	s_or_b32 s8, s54, 16
	s_or_b32 s9, s54, 32
	s_or_b32 s14, s54, 48
	v_lshlrev_b32_e32 v61, 2, v10
	v_add_u32_e32 v10, v8, v136
	s_lshl_b64 s[2:3], s[2:3], 2
	v_cndmask_b32_e32 v31, v124, v126, vcc
	v_lshlrev_b32_e32 v60, 2, v11
	v_lshlrev_b32_e32 v59, 2, v30
	v_add_u32_e32 v30, v8, v137
	s_mul_hi_i32 s11, s8, s55
	s_mul_i32 s10, s8, s55
	s_mul_hi_i32 s13, s9, s55
	s_mul_i32 s12, s9, s55
	;; [unrolled: 2-line block ×3, first 2 shown]
	v_ashrrev_i32_e32 v11, 31, v10
	v_mov_b32_e32 v32, s3
	v_add_co_u32_e32 v8, vcc, s2, v140
	v_lshlrev_b32_e32 v58, 2, v31
	v_ashrrev_i32_e32 v31, 31, v30
	s_lshl_b64 s[2:3], s[10:11], 2
	s_lshl_b64 s[8:9], s[8:9], 2
	v_lshlrev_b64 v[10:11], 1, v[10:11]
	v_addc_co_u32_e32 v9, vcc, v141, v32, vcc
	v_lshlrev_b64 v[36:37], 1, v[30:31]
	v_mov_b32_e32 v31, s3
	v_add_co_u32_e32 v34, vcc, s2, v140
	v_mov_b32_e32 v63, s9
	v_add_co_u32_e64 v30, s[2:3], s8, v140
	v_add_co_u32_e64 v10, s[8:9], s68, v10
	v_addc_co_u32_e64 v11, s[8:9], v143, v11, s[8:9]
	v_add_co_u32_e64 v36, s[8:9], s68, v36
	v_addc_co_u32_e64 v37, s[8:9], v143, v37, s[8:9]
	v_addc_co_u32_e32 v35, vcc, v141, v31, vcc
	v_addc_co_u32_e64 v31, vcc, v141, v63, s[2:3]
	v_mov_b32_e32 v26, v6
	v_mov_b32_e32 v27, v7
	;; [unrolled: 1-line block ×3, first 2 shown]
	s_waitcnt vmcnt(0)
	ds_write_b128 v131, v[64:67]
	s_waitcnt lgkmcnt(0)
	s_barrier
	ds_read_b128 v[64:67], v134 offset:24576
	ds_read_b128 v[68:71], v134 offset:27136
	ds_read_b128 v[72:75], v135
	ds_read_b128 v[76:79], v135 offset:256
	ds_read_b128 v[80:83], v135 offset:512
	;; [unrolled: 1-line block ×7, first 2 shown]
	s_waitcnt lgkmcnt(7)
	;;#ASMSTART
	v_dot2_f32_f16 v0, v64, v72, v0
	;;#ASMEND
	;;#ASMSTART
	v_dot2_f32_f16 v0, v65, v73, v0
	;;#ASMEND
	;;#ASMSTART
	v_dot2_f32_f16 v0, v66, v74, v0
	;;#ASMEND
	;;#ASMSTART
	v_dot2_f32_f16 v0, v67, v75, v0
	;;#ASMEND
	s_waitcnt lgkmcnt(6)
	;;#ASMSTART
	v_dot2_f32_f16 v1, v64, v76, v1
	;;#ASMEND
	;;#ASMSTART
	v_dot2_f32_f16 v1, v65, v77, v1
	;;#ASMEND
	;;#ASMSTART
	v_dot2_f32_f16 v1, v66, v78, v1
	;;#ASMEND
	;;#ASMSTART
	v_dot2_f32_f16 v1, v67, v79, v1
	;;#ASMEND
	;; [unrolled: 13-line block ×8, first 2 shown]
	;;#ASMSTART
	v_dot2_f32_f16 v20, v68, v72, v20
	;;#ASMEND
	;;#ASMSTART
	v_dot2_f32_f16 v20, v69, v73, v20
	;;#ASMEND
	;; [unrolled: 3-line block ×32, first 2 shown]
	ds_read_b128 v[64:67], v134 offset:24592
	ds_read_b128 v[68:71], v134 offset:27152
	;; [unrolled: 1-line block ×10, first 2 shown]
	s_waitcnt lgkmcnt(7)
	;;#ASMSTART
	v_dot2_f32_f16 v0, v64, v72, v0
	;;#ASMEND
	;;#ASMSTART
	v_dot2_f32_f16 v0, v65, v73, v0
	;;#ASMEND
	;;#ASMSTART
	v_dot2_f32_f16 v0, v66, v74, v0
	;;#ASMEND
	;;#ASMSTART
	v_dot2_f32_f16 v0, v67, v75, v0
	;;#ASMEND
	s_waitcnt lgkmcnt(6)
	;;#ASMSTART
	v_dot2_f32_f16 v1, v64, v76, v1
	;;#ASMEND
	;;#ASMSTART
	v_dot2_f32_f16 v1, v65, v77, v1
	;;#ASMEND
	;;#ASMSTART
	v_dot2_f32_f16 v1, v66, v78, v1
	;;#ASMEND
	;;#ASMSTART
	v_dot2_f32_f16 v1, v67, v79, v1
	;;#ASMEND
	;; [unrolled: 13-line block ×8, first 2 shown]
	;;#ASMSTART
	v_dot2_f32_f16 v20, v68, v72, v20
	;;#ASMEND
	;;#ASMSTART
	v_dot2_f32_f16 v20, v69, v73, v20
	;;#ASMEND
	;; [unrolled: 3-line block ×32, first 2 shown]
	ds_read_b128 v[64:67], v134 offset:24608
	ds_read_b128 v[68:71], v134 offset:27168
	;; [unrolled: 1-line block ×10, first 2 shown]
	s_waitcnt lgkmcnt(7)
	;;#ASMSTART
	v_dot2_f32_f16 v0, v64, v72, v0
	;;#ASMEND
	;;#ASMSTART
	v_dot2_f32_f16 v0, v65, v73, v0
	;;#ASMEND
	;;#ASMSTART
	v_dot2_f32_f16 v0, v66, v74, v0
	;;#ASMEND
	;;#ASMSTART
	v_dot2_f32_f16 v0, v67, v75, v0
	;;#ASMEND
	s_waitcnt lgkmcnt(6)
	;;#ASMSTART
	v_dot2_f32_f16 v1, v64, v76, v1
	;;#ASMEND
	;;#ASMSTART
	v_dot2_f32_f16 v1, v65, v77, v1
	;;#ASMEND
	;;#ASMSTART
	v_dot2_f32_f16 v1, v66, v78, v1
	;;#ASMEND
	;;#ASMSTART
	v_dot2_f32_f16 v1, v67, v79, v1
	;;#ASMEND
	;; [unrolled: 13-line block ×8, first 2 shown]
	;;#ASMSTART
	v_dot2_f32_f16 v20, v68, v72, v20
	;;#ASMEND
	;;#ASMSTART
	v_dot2_f32_f16 v20, v69, v73, v20
	;;#ASMEND
	;; [unrolled: 3-line block ×32, first 2 shown]
	ds_read_b128 v[64:67], v134 offset:24624
	ds_read_b128 v[68:71], v134 offset:27184
	;; [unrolled: 1-line block ×10, first 2 shown]
	s_waitcnt lgkmcnt(7)
	;;#ASMSTART
	v_dot2_f32_f16 v0, v64, v72, v0
	;;#ASMEND
	;;#ASMSTART
	v_dot2_f32_f16 v0, v65, v73, v0
	;;#ASMEND
	;;#ASMSTART
	v_dot2_f32_f16 v0, v66, v74, v0
	;;#ASMEND
	;;#ASMSTART
	v_dot2_f32_f16 v0, v67, v75, v0
	;;#ASMEND
	s_waitcnt lgkmcnt(6)
	;;#ASMSTART
	v_dot2_f32_f16 v1, v64, v76, v1
	;;#ASMEND
	;;#ASMSTART
	v_dot2_f32_f16 v1, v65, v77, v1
	;;#ASMEND
	;;#ASMSTART
	v_dot2_f32_f16 v1, v66, v78, v1
	;;#ASMEND
	;;#ASMSTART
	v_dot2_f32_f16 v1, v67, v79, v1
	;;#ASMEND
	;; [unrolled: 13-line block ×8, first 2 shown]
	;;#ASMSTART
	v_dot2_f32_f16 v20, v68, v72, v20
	;;#ASMEND
	;;#ASMSTART
	v_dot2_f32_f16 v20, v69, v73, v20
	;;#ASMEND
	;; [unrolled: 3-line block ×32, first 2 shown]
	s_barrier
	global_load_dwordx4 v[64:67], v[38:39], off offset:64
	v_mov_b32_e32 v29, v5
	s_lshl_b64 s[10:11], s[12:13], 2
	v_mov_b32_e32 v33, s11
	v_add_co_u32_e64 v32, s[0:1], s10, v140
	v_addc_co_u32_e64 v33, vcc, v141, v33, s[0:1]
	s_waitcnt vmcnt(0)
	ds_write_b128 v131, v[64:67]
	s_waitcnt lgkmcnt(0)
	s_barrier
	ds_read_b128 v[64:67], v134 offset:24576
	ds_read_b128 v[68:71], v134 offset:27136
	;; [unrolled: 1-line block ×10, first 2 shown]
	s_waitcnt lgkmcnt(7)
	;;#ASMSTART
	v_dot2_f32_f16 v0, v64, v72, v0
	;;#ASMEND
	;;#ASMSTART
	v_dot2_f32_f16 v0, v65, v73, v0
	;;#ASMEND
	;;#ASMSTART
	v_dot2_f32_f16 v0, v66, v74, v0
	;;#ASMEND
	;;#ASMSTART
	v_dot2_f32_f16 v0, v67, v75, v0
	;;#ASMEND
	s_waitcnt lgkmcnt(6)
	;;#ASMSTART
	v_dot2_f32_f16 v1, v64, v76, v1
	;;#ASMEND
	;;#ASMSTART
	v_dot2_f32_f16 v1, v65, v77, v1
	;;#ASMEND
	;;#ASMSTART
	v_dot2_f32_f16 v1, v66, v78, v1
	;;#ASMEND
	;;#ASMSTART
	v_dot2_f32_f16 v1, v67, v79, v1
	;;#ASMEND
	s_waitcnt lgkmcnt(5)
	;;#ASMSTART
	v_dot2_f32_f16 v2, v64, v80, v2
	;;#ASMEND
	;;#ASMSTART
	v_dot2_f32_f16 v2, v65, v81, v2
	;;#ASMEND
	;;#ASMSTART
	v_dot2_f32_f16 v2, v66, v82, v2
	;;#ASMEND
	;;#ASMSTART
	v_dot2_f32_f16 v2, v67, v83, v2
	;;#ASMEND
	s_waitcnt lgkmcnt(4)
	;;#ASMSTART
	v_dot2_f32_f16 v3, v64, v84, v3
	;;#ASMEND
	;;#ASMSTART
	v_dot2_f32_f16 v3, v65, v85, v3
	;;#ASMEND
	;;#ASMSTART
	v_dot2_f32_f16 v3, v66, v86, v3
	;;#ASMEND
	;;#ASMSTART
	v_dot2_f32_f16 v3, v67, v87, v3
	;;#ASMEND
	s_waitcnt lgkmcnt(3)
	;;#ASMSTART
	v_dot2_f32_f16 v16, v64, v88, v16
	;;#ASMEND
	;;#ASMSTART
	v_dot2_f32_f16 v16, v65, v89, v16
	;;#ASMEND
	;;#ASMSTART
	v_dot2_f32_f16 v16, v66, v90, v16
	;;#ASMEND
	;;#ASMSTART
	v_dot2_f32_f16 v16, v67, v91, v16
	;;#ASMEND
	s_waitcnt lgkmcnt(2)
	;;#ASMSTART
	v_dot2_f32_f16 v17, v64, v92, v17
	;;#ASMEND
	;;#ASMSTART
	v_dot2_f32_f16 v17, v65, v93, v17
	;;#ASMEND
	;;#ASMSTART
	v_dot2_f32_f16 v17, v66, v94, v17
	;;#ASMEND
	;;#ASMSTART
	v_dot2_f32_f16 v17, v67, v95, v17
	;;#ASMEND
	s_waitcnt lgkmcnt(1)
	;;#ASMSTART
	v_dot2_f32_f16 v56, v64, v96, v56
	;;#ASMEND
	;;#ASMSTART
	v_dot2_f32_f16 v56, v65, v97, v56
	;;#ASMEND
	;;#ASMSTART
	v_dot2_f32_f16 v56, v66, v98, v56
	;;#ASMEND
	;;#ASMSTART
	v_dot2_f32_f16 v56, v67, v99, v56
	;;#ASMEND
	s_waitcnt lgkmcnt(0)
	;;#ASMSTART
	v_dot2_f32_f16 v18, v64, v100, v18
	;;#ASMEND
	;;#ASMSTART
	v_dot2_f32_f16 v18, v65, v101, v18
	;;#ASMEND
	;;#ASMSTART
	v_dot2_f32_f16 v18, v66, v102, v18
	;;#ASMEND
	;;#ASMSTART
	v_dot2_f32_f16 v18, v67, v103, v18
	;;#ASMEND
	;;#ASMSTART
	v_dot2_f32_f16 v20, v68, v72, v20
	;;#ASMEND
	;;#ASMSTART
	v_dot2_f32_f16 v20, v69, v73, v20
	;;#ASMEND
	;; [unrolled: 3-line block ×32, first 2 shown]
	ds_read_b128 v[64:67], v134 offset:24592
	ds_read_b128 v[68:71], v134 offset:27152
	;; [unrolled: 1-line block ×10, first 2 shown]
	s_waitcnt lgkmcnt(7)
	;;#ASMSTART
	v_dot2_f32_f16 v0, v64, v72, v0
	;;#ASMEND
	;;#ASMSTART
	v_dot2_f32_f16 v0, v65, v73, v0
	;;#ASMEND
	;;#ASMSTART
	v_dot2_f32_f16 v0, v66, v74, v0
	;;#ASMEND
	;;#ASMSTART
	v_dot2_f32_f16 v0, v67, v75, v0
	;;#ASMEND
	s_waitcnt lgkmcnt(6)
	;;#ASMSTART
	v_dot2_f32_f16 v1, v64, v76, v1
	;;#ASMEND
	;;#ASMSTART
	v_dot2_f32_f16 v1, v65, v77, v1
	;;#ASMEND
	;;#ASMSTART
	v_dot2_f32_f16 v1, v66, v78, v1
	;;#ASMEND
	;;#ASMSTART
	v_dot2_f32_f16 v1, v67, v79, v1
	;;#ASMEND
	s_waitcnt lgkmcnt(5)
	;;#ASMSTART
	v_dot2_f32_f16 v2, v64, v80, v2
	;;#ASMEND
	;;#ASMSTART
	v_dot2_f32_f16 v2, v65, v81, v2
	;;#ASMEND
	;;#ASMSTART
	v_dot2_f32_f16 v2, v66, v82, v2
	;;#ASMEND
	;;#ASMSTART
	v_dot2_f32_f16 v2, v67, v83, v2
	;;#ASMEND
	s_waitcnt lgkmcnt(4)
	;;#ASMSTART
	v_dot2_f32_f16 v3, v64, v84, v3
	;;#ASMEND
	;;#ASMSTART
	v_dot2_f32_f16 v3, v65, v85, v3
	;;#ASMEND
	;;#ASMSTART
	v_dot2_f32_f16 v3, v66, v86, v3
	;;#ASMEND
	;;#ASMSTART
	v_dot2_f32_f16 v3, v67, v87, v3
	;;#ASMEND
	s_waitcnt lgkmcnt(3)
	;;#ASMSTART
	v_dot2_f32_f16 v16, v64, v88, v16
	;;#ASMEND
	;;#ASMSTART
	v_dot2_f32_f16 v16, v65, v89, v16
	;;#ASMEND
	;;#ASMSTART
	v_dot2_f32_f16 v16, v66, v90, v16
	;;#ASMEND
	;;#ASMSTART
	v_dot2_f32_f16 v16, v67, v91, v16
	;;#ASMEND
	s_waitcnt lgkmcnt(2)
	;;#ASMSTART
	v_dot2_f32_f16 v17, v64, v92, v17
	;;#ASMEND
	;;#ASMSTART
	v_dot2_f32_f16 v17, v65, v93, v17
	;;#ASMEND
	;;#ASMSTART
	v_dot2_f32_f16 v17, v66, v94, v17
	;;#ASMEND
	;;#ASMSTART
	v_dot2_f32_f16 v17, v67, v95, v17
	;;#ASMEND
	s_waitcnt lgkmcnt(1)
	;;#ASMSTART
	v_dot2_f32_f16 v56, v64, v96, v56
	;;#ASMEND
	;;#ASMSTART
	v_dot2_f32_f16 v56, v65, v97, v56
	;;#ASMEND
	;;#ASMSTART
	v_dot2_f32_f16 v56, v66, v98, v56
	;;#ASMEND
	;;#ASMSTART
	v_dot2_f32_f16 v56, v67, v99, v56
	;;#ASMEND
	s_waitcnt lgkmcnt(0)
	;;#ASMSTART
	v_dot2_f32_f16 v18, v64, v100, v18
	;;#ASMEND
	;;#ASMSTART
	v_dot2_f32_f16 v18, v65, v101, v18
	;;#ASMEND
	;;#ASMSTART
	v_dot2_f32_f16 v18, v66, v102, v18
	;;#ASMEND
	;;#ASMSTART
	v_dot2_f32_f16 v18, v67, v103, v18
	;;#ASMEND
	;;#ASMSTART
	v_dot2_f32_f16 v20, v68, v72, v20
	;;#ASMEND
	;;#ASMSTART
	v_dot2_f32_f16 v20, v69, v73, v20
	;;#ASMEND
	;; [unrolled: 3-line block ×32, first 2 shown]
	ds_read_b128 v[64:67], v134 offset:24608
	ds_read_b128 v[68:71], v134 offset:27168
	;; [unrolled: 1-line block ×10, first 2 shown]
	s_waitcnt lgkmcnt(7)
	;;#ASMSTART
	v_dot2_f32_f16 v0, v64, v72, v0
	;;#ASMEND
	;;#ASMSTART
	v_dot2_f32_f16 v0, v65, v73, v0
	;;#ASMEND
	;;#ASMSTART
	v_dot2_f32_f16 v0, v66, v74, v0
	;;#ASMEND
	;;#ASMSTART
	v_dot2_f32_f16 v0, v67, v75, v0
	;;#ASMEND
	s_waitcnt lgkmcnt(6)
	;;#ASMSTART
	v_dot2_f32_f16 v1, v64, v76, v1
	;;#ASMEND
	;;#ASMSTART
	v_dot2_f32_f16 v1, v65, v77, v1
	;;#ASMEND
	;;#ASMSTART
	v_dot2_f32_f16 v1, v66, v78, v1
	;;#ASMEND
	;;#ASMSTART
	v_dot2_f32_f16 v1, v67, v79, v1
	;;#ASMEND
	;; [unrolled: 13-line block ×8, first 2 shown]
	;;#ASMSTART
	v_dot2_f32_f16 v20, v68, v72, v20
	;;#ASMEND
	;;#ASMSTART
	v_dot2_f32_f16 v20, v69, v73, v20
	;;#ASMEND
	;; [unrolled: 3-line block ×32, first 2 shown]
	ds_read_b128 v[64:67], v134 offset:24624
	ds_read_b128 v[68:71], v134 offset:27184
	;; [unrolled: 1-line block ×10, first 2 shown]
	s_waitcnt lgkmcnt(7)
	;;#ASMSTART
	v_dot2_f32_f16 v0, v64, v72, v0
	;;#ASMEND
	;;#ASMSTART
	v_dot2_f32_f16 v0, v65, v73, v0
	;;#ASMEND
	;;#ASMSTART
	v_dot2_f32_f16 v0, v66, v74, v0
	;;#ASMEND
	;;#ASMSTART
	v_dot2_f32_f16 v0, v67, v75, v0
	;;#ASMEND
	s_waitcnt lgkmcnt(6)
	;;#ASMSTART
	v_dot2_f32_f16 v1, v64, v76, v1
	;;#ASMEND
	;;#ASMSTART
	v_dot2_f32_f16 v1, v65, v77, v1
	;;#ASMEND
	;;#ASMSTART
	v_dot2_f32_f16 v1, v66, v78, v1
	;;#ASMEND
	;;#ASMSTART
	v_dot2_f32_f16 v1, v67, v79, v1
	;;#ASMEND
	;; [unrolled: 13-line block ×8, first 2 shown]
	;;#ASMSTART
	v_dot2_f32_f16 v20, v68, v72, v20
	;;#ASMEND
	;;#ASMSTART
	v_dot2_f32_f16 v20, v69, v73, v20
	;;#ASMEND
	;; [unrolled: 3-line block ×32, first 2 shown]
	s_barrier
	global_load_dwordx4 v[64:67], v[38:39], off offset:128
	s_waitcnt vmcnt(0)
	ds_write_b128 v131, v[64:67]
	s_waitcnt lgkmcnt(0)
	s_barrier
	ds_read_b128 v[64:67], v134 offset:24576
	ds_read_b128 v[68:71], v134 offset:27136
	;; [unrolled: 1-line block ×10, first 2 shown]
	s_waitcnt lgkmcnt(7)
	;;#ASMSTART
	v_dot2_f32_f16 v0, v64, v72, v0
	;;#ASMEND
	;;#ASMSTART
	v_dot2_f32_f16 v0, v65, v73, v0
	;;#ASMEND
	;;#ASMSTART
	v_dot2_f32_f16 v0, v66, v74, v0
	;;#ASMEND
	;;#ASMSTART
	v_dot2_f32_f16 v0, v67, v75, v0
	;;#ASMEND
	s_waitcnt lgkmcnt(6)
	;;#ASMSTART
	v_dot2_f32_f16 v1, v64, v76, v1
	;;#ASMEND
	;;#ASMSTART
	v_dot2_f32_f16 v1, v65, v77, v1
	;;#ASMEND
	;;#ASMSTART
	v_dot2_f32_f16 v1, v66, v78, v1
	;;#ASMEND
	;;#ASMSTART
	v_dot2_f32_f16 v1, v67, v79, v1
	;;#ASMEND
	;; [unrolled: 13-line block ×8, first 2 shown]
	;;#ASMSTART
	v_dot2_f32_f16 v20, v68, v72, v20
	;;#ASMEND
	;;#ASMSTART
	v_dot2_f32_f16 v20, v69, v73, v20
	;;#ASMEND
	;;#ASMSTART
	v_dot2_f32_f16 v20, v70, v74, v20
	;;#ASMEND
	;;#ASMSTART
	v_dot2_f32_f16 v20, v71, v75, v20
	;;#ASMEND
	;;#ASMSTART
	v_dot2_f32_f16 v21, v68, v76, v21
	;;#ASMEND
	;;#ASMSTART
	v_dot2_f32_f16 v21, v69, v77, v21
	;;#ASMEND
	;;#ASMSTART
	v_dot2_f32_f16 v21, v70, v78, v21
	;;#ASMEND
	;;#ASMSTART
	v_dot2_f32_f16 v21, v71, v79, v21
	;;#ASMEND
	;;#ASMSTART
	v_dot2_f32_f16 v22, v68, v80, v22
	;;#ASMEND
	;;#ASMSTART
	v_dot2_f32_f16 v22, v69, v81, v22
	;;#ASMEND
	;;#ASMSTART
	v_dot2_f32_f16 v22, v70, v82, v22
	;;#ASMEND
	;;#ASMSTART
	v_dot2_f32_f16 v22, v71, v83, v22
	;;#ASMEND
	;;#ASMSTART
	v_dot2_f32_f16 v23, v68, v84, v23
	;;#ASMEND
	;;#ASMSTART
	v_dot2_f32_f16 v23, v69, v85, v23
	;;#ASMEND
	;;#ASMSTART
	v_dot2_f32_f16 v23, v70, v86, v23
	;;#ASMEND
	;;#ASMSTART
	v_dot2_f32_f16 v23, v71, v87, v23
	;;#ASMEND
	;;#ASMSTART
	v_dot2_f32_f16 v24, v68, v88, v24
	;;#ASMEND
	;;#ASMSTART
	v_dot2_f32_f16 v24, v69, v89, v24
	;;#ASMEND
	;;#ASMSTART
	v_dot2_f32_f16 v24, v70, v90, v24
	;;#ASMEND
	;;#ASMSTART
	v_dot2_f32_f16 v24, v71, v91, v24
	;;#ASMEND
	;;#ASMSTART
	v_dot2_f32_f16 v25, v68, v92, v25
	;;#ASMEND
	;;#ASMSTART
	v_dot2_f32_f16 v25, v69, v93, v25
	;;#ASMEND
	;;#ASMSTART
	v_dot2_f32_f16 v25, v70, v94, v25
	;;#ASMEND
	;;#ASMSTART
	v_dot2_f32_f16 v25, v71, v95, v25
	;;#ASMEND
	;;#ASMSTART
	v_dot2_f32_f16 v57, v68, v96, v57
	;;#ASMEND
	;;#ASMSTART
	v_dot2_f32_f16 v57, v69, v97, v57
	;;#ASMEND
	;;#ASMSTART
	v_dot2_f32_f16 v57, v70, v98, v57
	;;#ASMEND
	;;#ASMSTART
	v_dot2_f32_f16 v57, v71, v99, v57
	;;#ASMEND
	;;#ASMSTART
	v_dot2_f32_f16 v19, v68, v100, v19
	;;#ASMEND
	;;#ASMSTART
	v_dot2_f32_f16 v19, v69, v101, v19
	;;#ASMEND
	;;#ASMSTART
	v_dot2_f32_f16 v19, v70, v102, v19
	;;#ASMEND
	;;#ASMSTART
	v_dot2_f32_f16 v19, v71, v103, v19
	;;#ASMEND
	ds_read_b128 v[64:67], v134 offset:24592
	ds_read_b128 v[68:71], v134 offset:27152
	;; [unrolled: 1-line block ×10, first 2 shown]
	s_waitcnt lgkmcnt(7)
	;;#ASMSTART
	v_dot2_f32_f16 v0, v64, v72, v0
	;;#ASMEND
	;;#ASMSTART
	v_dot2_f32_f16 v0, v65, v73, v0
	;;#ASMEND
	;;#ASMSTART
	v_dot2_f32_f16 v0, v66, v74, v0
	;;#ASMEND
	;;#ASMSTART
	v_dot2_f32_f16 v0, v67, v75, v0
	;;#ASMEND
	s_waitcnt lgkmcnt(6)
	;;#ASMSTART
	v_dot2_f32_f16 v1, v64, v76, v1
	;;#ASMEND
	;;#ASMSTART
	v_dot2_f32_f16 v1, v65, v77, v1
	;;#ASMEND
	;;#ASMSTART
	v_dot2_f32_f16 v1, v66, v78, v1
	;;#ASMEND
	;;#ASMSTART
	v_dot2_f32_f16 v1, v67, v79, v1
	;;#ASMEND
	;; [unrolled: 13-line block ×8, first 2 shown]
	;;#ASMSTART
	v_dot2_f32_f16 v20, v68, v72, v20
	;;#ASMEND
	;;#ASMSTART
	v_dot2_f32_f16 v20, v69, v73, v20
	;;#ASMEND
	;; [unrolled: 3-line block ×32, first 2 shown]
	ds_read_b128 v[64:67], v134 offset:24608
	ds_read_b128 v[68:71], v134 offset:27168
	;; [unrolled: 1-line block ×10, first 2 shown]
	s_waitcnt lgkmcnt(7)
	;;#ASMSTART
	v_dot2_f32_f16 v0, v64, v72, v0
	;;#ASMEND
	;;#ASMSTART
	v_dot2_f32_f16 v0, v65, v73, v0
	;;#ASMEND
	;;#ASMSTART
	v_dot2_f32_f16 v0, v66, v74, v0
	;;#ASMEND
	;;#ASMSTART
	v_dot2_f32_f16 v0, v67, v75, v0
	;;#ASMEND
	s_waitcnt lgkmcnt(6)
	;;#ASMSTART
	v_dot2_f32_f16 v1, v64, v76, v1
	;;#ASMEND
	;;#ASMSTART
	v_dot2_f32_f16 v1, v65, v77, v1
	;;#ASMEND
	;;#ASMSTART
	v_dot2_f32_f16 v1, v66, v78, v1
	;;#ASMEND
	;;#ASMSTART
	v_dot2_f32_f16 v1, v67, v79, v1
	;;#ASMEND
	;; [unrolled: 13-line block ×8, first 2 shown]
	;;#ASMSTART
	v_dot2_f32_f16 v20, v68, v72, v20
	;;#ASMEND
	;;#ASMSTART
	v_dot2_f32_f16 v20, v69, v73, v20
	;;#ASMEND
	;; [unrolled: 3-line block ×32, first 2 shown]
	ds_read_b128 v[64:67], v134 offset:24624
	ds_read_b128 v[68:71], v134 offset:27184
	;; [unrolled: 1-line block ×10, first 2 shown]
	s_waitcnt lgkmcnt(7)
	;;#ASMSTART
	v_dot2_f32_f16 v0, v64, v72, v0
	;;#ASMEND
	;;#ASMSTART
	v_dot2_f32_f16 v0, v65, v73, v0
	;;#ASMEND
	;;#ASMSTART
	v_dot2_f32_f16 v0, v66, v74, v0
	;;#ASMEND
	;;#ASMSTART
	v_dot2_f32_f16 v0, v67, v75, v0
	;;#ASMEND
	s_waitcnt lgkmcnt(6)
	;;#ASMSTART
	v_dot2_f32_f16 v1, v64, v76, v1
	;;#ASMEND
	;;#ASMSTART
	v_dot2_f32_f16 v1, v65, v77, v1
	;;#ASMEND
	;;#ASMSTART
	v_dot2_f32_f16 v1, v66, v78, v1
	;;#ASMEND
	;;#ASMSTART
	v_dot2_f32_f16 v1, v67, v79, v1
	;;#ASMEND
	;; [unrolled: 13-line block ×8, first 2 shown]
	;;#ASMSTART
	v_dot2_f32_f16 v20, v68, v72, v20
	;;#ASMEND
	;;#ASMSTART
	v_dot2_f32_f16 v20, v69, v73, v20
	;;#ASMEND
	;; [unrolled: 3-line block ×32, first 2 shown]
	s_barrier
	global_load_dwordx4 v[64:67], v[38:39], off offset:192
	s_waitcnt vmcnt(0)
	ds_write_b128 v131, v[64:67]
	s_waitcnt lgkmcnt(0)
	s_barrier
	ds_read_b128 v[64:67], v134 offset:24576
	ds_read_b128 v[68:71], v134 offset:27136
	;; [unrolled: 1-line block ×10, first 2 shown]
	s_waitcnt lgkmcnt(7)
	;;#ASMSTART
	v_dot2_f32_f16 v0, v64, v72, v0
	;;#ASMEND
	;;#ASMSTART
	v_dot2_f32_f16 v0, v65, v73, v0
	;;#ASMEND
	;;#ASMSTART
	v_dot2_f32_f16 v0, v66, v74, v0
	;;#ASMEND
	;;#ASMSTART
	v_dot2_f32_f16 v0, v67, v75, v0
	;;#ASMEND
	s_waitcnt lgkmcnt(6)
	;;#ASMSTART
	v_dot2_f32_f16 v1, v64, v76, v1
	;;#ASMEND
	;;#ASMSTART
	v_dot2_f32_f16 v1, v65, v77, v1
	;;#ASMEND
	;;#ASMSTART
	v_dot2_f32_f16 v1, v66, v78, v1
	;;#ASMEND
	;;#ASMSTART
	v_dot2_f32_f16 v1, v67, v79, v1
	;;#ASMEND
	;; [unrolled: 13-line block ×8, first 2 shown]
	;;#ASMSTART
	v_dot2_f32_f16 v20, v68, v72, v20
	;;#ASMEND
	;;#ASMSTART
	v_dot2_f32_f16 v20, v69, v73, v20
	;;#ASMEND
	;; [unrolled: 3-line block ×32, first 2 shown]
	ds_read_b128 v[64:67], v134 offset:24592
	ds_read_b128 v[68:71], v134 offset:27152
	;; [unrolled: 1-line block ×10, first 2 shown]
	s_waitcnt lgkmcnt(7)
	;;#ASMSTART
	v_dot2_f32_f16 v0, v64, v72, v0
	;;#ASMEND
	;;#ASMSTART
	v_dot2_f32_f16 v0, v65, v73, v0
	;;#ASMEND
	;;#ASMSTART
	v_dot2_f32_f16 v0, v66, v74, v0
	;;#ASMEND
	;;#ASMSTART
	v_dot2_f32_f16 v0, v67, v75, v0
	;;#ASMEND
	s_waitcnt lgkmcnt(6)
	;;#ASMSTART
	v_dot2_f32_f16 v1, v64, v76, v1
	;;#ASMEND
	;;#ASMSTART
	v_dot2_f32_f16 v1, v65, v77, v1
	;;#ASMEND
	;;#ASMSTART
	v_dot2_f32_f16 v1, v66, v78, v1
	;;#ASMEND
	;;#ASMSTART
	v_dot2_f32_f16 v1, v67, v79, v1
	;;#ASMEND
	;; [unrolled: 13-line block ×8, first 2 shown]
	;;#ASMSTART
	v_dot2_f32_f16 v20, v68, v72, v20
	;;#ASMEND
	;;#ASMSTART
	v_dot2_f32_f16 v20, v69, v73, v20
	;;#ASMEND
	;; [unrolled: 3-line block ×32, first 2 shown]
	ds_read_b128 v[64:67], v134 offset:24608
	ds_read_b128 v[68:71], v134 offset:27168
	;; [unrolled: 1-line block ×10, first 2 shown]
	s_waitcnt lgkmcnt(7)
	;;#ASMSTART
	v_dot2_f32_f16 v0, v64, v72, v0
	;;#ASMEND
	;;#ASMSTART
	v_dot2_f32_f16 v0, v65, v73, v0
	;;#ASMEND
	;;#ASMSTART
	v_dot2_f32_f16 v0, v66, v74, v0
	;;#ASMEND
	;;#ASMSTART
	v_dot2_f32_f16 v0, v67, v75, v0
	;;#ASMEND
	s_waitcnt lgkmcnt(6)
	;;#ASMSTART
	v_dot2_f32_f16 v1, v64, v76, v1
	;;#ASMEND
	;;#ASMSTART
	v_dot2_f32_f16 v1, v65, v77, v1
	;;#ASMEND
	;;#ASMSTART
	v_dot2_f32_f16 v1, v66, v78, v1
	;;#ASMEND
	;;#ASMSTART
	v_dot2_f32_f16 v1, v67, v79, v1
	;;#ASMEND
	;; [unrolled: 13-line block ×8, first 2 shown]
	;;#ASMSTART
	v_dot2_f32_f16 v20, v68, v72, v20
	;;#ASMEND
	;;#ASMSTART
	v_dot2_f32_f16 v20, v69, v73, v20
	;;#ASMEND
	;; [unrolled: 3-line block ×32, first 2 shown]
	ds_read_b128 v[64:67], v134 offset:24624
	ds_read_b128 v[68:71], v134 offset:27184
	;; [unrolled: 1-line block ×10, first 2 shown]
	s_waitcnt lgkmcnt(7)
	;;#ASMSTART
	v_dot2_f32_f16 v0, v64, v72, v0
	;;#ASMEND
	;;#ASMSTART
	v_dot2_f32_f16 v0, v65, v73, v0
	;;#ASMEND
	;;#ASMSTART
	v_dot2_f32_f16 v0, v66, v74, v0
	;;#ASMEND
	;;#ASMSTART
	v_dot2_f32_f16 v0, v67, v75, v0
	;;#ASMEND
	s_waitcnt lgkmcnt(6)
	;;#ASMSTART
	v_dot2_f32_f16 v1, v64, v76, v1
	;;#ASMEND
	;;#ASMSTART
	v_dot2_f32_f16 v1, v65, v77, v1
	;;#ASMEND
	;;#ASMSTART
	v_dot2_f32_f16 v1, v66, v78, v1
	;;#ASMEND
	;;#ASMSTART
	v_dot2_f32_f16 v1, v67, v79, v1
	;;#ASMEND
	;; [unrolled: 13-line block ×8, first 2 shown]
	;;#ASMSTART
	v_dot2_f32_f16 v20, v68, v72, v20
	;;#ASMEND
	;;#ASMSTART
	v_dot2_f32_f16 v20, v69, v73, v20
	;;#ASMEND
	;; [unrolled: 3-line block ×32, first 2 shown]
	flat_load_ushort v38, v[36:37]
	flat_load_ushort v39, v[36:37] offset:64
	flat_load_ushort v63, v[10:11]
	flat_load_ushort v64, v[10:11] offset:64
	s_waitcnt lgkmcnt(0)
	s_barrier
	global_load_dwordx4 v[8:11], v[8:9], off
	s_waitcnt vmcnt(0)
	v_cvt_f32_f16_e32 v36, v38
	v_cvt_f32_f16_e32 v37, v39
	;; [unrolled: 1-line block ×4, first 2 shown]
	v_add_f32_e32 v56, v56, v36
	v_pk_add_f32 v[68:69], v[18:19], v[36:37]
	v_pk_add_f32 v[18:19], v[0:1], v[38:39] op_sel_hi:[1,0]
	v_pk_add_f32 v[38:39], v[2:3], v[38:39] op_sel_hi:[1,0]
	;; [unrolled: 1-line block ×4, first 2 shown]
	v_mov_b32_e32 v0, v37
	v_add_f32_e32 v66, v57, v37
	v_pk_add_f32 v[16:17], v[16:17], v[36:37] op_sel_hi:[1,0]
	v_mov_b32_e32 v57, v68
	v_mov_b32_e32 v67, v69
	v_pk_add_f32 v[2:3], v[38:39], s[6:7] op_sel_hi:[1,0]
	v_pk_add_f32 v[36:37], v[18:19], s[6:7] op_sel_hi:[1,0]
	;; [unrolled: 1-line block ×8, first 2 shown]
	v_max3_f32 v57, v13, v3, v71
	v_max3_f32 v63, v12, v2, v70
	v_max3_f32 v37, v15, v37, v65
	v_max3_f32 v36, v14, v36, v64
	v_pk_add_f32 v[2:3], v[24:25], s[6:7] op_sel_hi:[1,0]
	v_max3_f32 v1, v7, v1, v75
	v_max3_f32 v0, v6, v0, v74
	ds_bpermute_b32 v6, v62, v36
	ds_bpermute_b32 v7, v62, v37
	;; [unrolled: 1-line block ×4, first 2 shown]
	v_max3_f32 v3, v5, v73, v3
	v_max3_f32 v2, v4, v72, v2
	ds_bpermute_b32 v4, v62, v0
	ds_bpermute_b32 v5, v62, v1
	ds_bpermute_b32 v67, v62, v2
	ds_bpermute_b32 v62, v62, v3
	s_waitcnt lgkmcnt(4)
	v_max_f32_e32 v65, v65, v65
	v_max_f32_e32 v64, v64, v64
	v_max_f32_e32 v7, v7, v7
	v_max_f32_e32 v6, v6, v6
	s_waitcnt lgkmcnt(2)
	v_max_f32_e32 v5, v5, v5
	v_max_f32_e32 v4, v4, v4
	v_max_f32_e32 v57, v57, v65
	v_max_f32_e32 v63, v63, v64
	v_max_f32_e32 v7, v37, v7
	v_max_f32_e32 v6, v36, v6
	s_waitcnt lgkmcnt(0)
	v_max_f32_e32 v36, v62, v62
	v_max_f32_e32 v37, v67, v67
	v_max_f32_e32 v1, v1, v5
	v_max_f32_e32 v0, v0, v4
	ds_bpermute_b32 v4, v61, v6
	ds_bpermute_b32 v5, v61, v7
	ds_bpermute_b32 v62, v61, v63
	ds_bpermute_b32 v64, v61, v57
	v_max_f32_e32 v3, v3, v36
	v_max_f32_e32 v2, v2, v37
	ds_bpermute_b32 v36, v61, v0
	ds_bpermute_b32 v37, v61, v1
	ds_bpermute_b32 v65, v61, v2
	ds_bpermute_b32 v61, v61, v3
	s_waitcnt lgkmcnt(4)
	v_max_f32_e32 v64, v64, v64
	v_max_f32_e32 v62, v62, v62
	v_max_f32_e32 v5, v5, v5
	v_max_f32_e32 v4, v4, v4
	s_waitcnt lgkmcnt(2)
	v_max_f32_e32 v37, v37, v37
	v_max_f32_e32 v36, v36, v36
	v_max_f32_e32 v57, v57, v64
	v_max_f32_e32 v62, v63, v62
	v_max_f32_e32 v5, v7, v5
	v_max_f32_e32 v4, v6, v4
	s_waitcnt lgkmcnt(0)
	v_max_f32_e32 v6, v61, v61
	v_max_f32_e32 v7, v65, v65
	v_max_f32_e32 v1, v1, v37
	v_max_f32_e32 v0, v0, v36
	ds_bpermute_b32 v36, v60, v4
	ds_bpermute_b32 v37, v60, v5
	ds_bpermute_b32 v61, v60, v62
	ds_bpermute_b32 v63, v60, v57
	v_max_f32_e32 v3, v3, v6
	v_max_f32_e32 v2, v2, v7
	;; [unrolled: 27-line block ×4, first 2 shown]
	ds_bpermute_b32 v2, v58, v36
	ds_bpermute_b32 v3, v58, v37
	;; [unrolled: 1-line block ×4, first 2 shown]
	s_waitcnt lgkmcnt(5)
	v_max_f32_e32 v58, v59, v59
	s_waitcnt lgkmcnt(4)
	v_max_f32_e32 v59, v61, v61
	v_max_f32_e32 v1, v1, v1
	;; [unrolled: 1-line block ×3, first 2 shown]
	s_waitcnt lgkmcnt(2)
	v_max_f32_e32 v61, v3, v3
	v_max_f32_e32 v64, v2, v2
	;; [unrolled: 1-line block ×6, first 2 shown]
	s_waitcnt lgkmcnt(0)
	v_max_f32_e32 v4, v7, v7
	v_max_f32_e32 v57, v6, v6
	;; [unrolled: 1-line block ×4, first 2 shown]
	v_sub_f32_e32 v58, v18, v0
	v_sub_f32_e32 v59, v19, v1
	v_sub_f32_e32 v39, v39, v3
	v_sub_f32_e32 v38, v38, v2
	v_sub_f32_e32 v60, v22, v2
	v_sub_f32_e32 v61, v23, v3
	v_sub_f32_e32 v64, v20, v0
	v_sub_f32_e32 v65, v21, v1
	v_pk_add_f32 v[36:37], v[14:15], v[0:1] neg_lo:[0,1] neg_hi:[0,1]
	v_pk_add_f32 v[22:23], v[12:13], v[2:3] neg_lo:[0,1] neg_hi:[0,1]
	v_max_f32_e32 v5, v62, v4
	v_max_f32_e32 v4, v63, v57
	v_sub_f32_e32 v56, v56, v6
	v_sub_f32_e32 v57, v66, v6
	v_pk_add_f32 v[20:21], v[26:27], v[6:7] neg_lo:[0,1] neg_hi:[0,1]
	v_mov_b32_e32 v12, v7
	v_mul_f32_e32 v26, 0x3fb8aa3b, v38
	v_mul_f32_e32 v27, 0x3fb8aa3b, v39
	;; [unrolled: 1-line block ×12, first 2 shown]
	v_pk_add_f32 v[18:19], v[16:17], v[4:5] neg_lo:[0,1] neg_hi:[0,1]
	v_pk_add_f32 v[16:17], v[24:25], v[4:5] neg_lo:[0,1] neg_hi:[0,1]
	;; [unrolled: 1-line block ×3, first 2 shown]
	v_mul_f32_e32 v24, 0x3fb8aa3b, v56
	v_mul_f32_e32 v25, 0x3fb8aa3b, v57
	;; [unrolled: 1-line block ×4, first 2 shown]
	v_pk_add_f32 v[12:13], v[68:69], v[12:13] op_sel_hi:[1,0] neg_lo:[0,1] neg_hi:[0,1]
	v_fma_f32 v68, v38, s60, -v26
	v_rndne_f32_e32 v69, v26
	v_fma_f32 v76, v39, s60, -v27
	v_rndne_f32_e32 v77, v27
	;; [unrolled: 2-line block ×12, first 2 shown]
	v_mul_f32_e32 v98, 0x3fb8aa3b, v19
	v_mul_f32_e32 v99, 0x3fb8aa3b, v18
	;; [unrolled: 1-line block ×5, first 2 shown]
	v_fma_f32 v147, v56, s60, -v24
	v_rndne_f32_e32 v148, v24
	v_fma_f32 v149, v57, s60, -v25
	v_rndne_f32_e32 v150, v25
	;; [unrolled: 2-line block ×4, first 2 shown]
	v_mul_f32_e32 v155, 0x3fb8aa3b, v13
	v_mul_f32_e32 v156, 0x3fb8aa3b, v12
	v_fmac_f32_e32 v68, 0x32a5705f, v38
	v_sub_f32_e32 v26, v26, v69
	v_fmac_f32_e32 v76, 0x32a5705f, v39
	v_sub_f32_e32 v27, v27, v77
	v_fmac_f32_e32 v78, 0x32a5705f, v59
	v_sub_f32_e32 v62, v62, v79
	v_fmac_f32_e32 v80, 0x32a5705f, v58
	v_sub_f32_e32 v63, v63, v81
	v_fmac_f32_e32 v82, 0x32a5705f, v65
	v_sub_f32_e32 v66, v66, v83
	v_fmac_f32_e32 v84, 0x32a5705f, v64
	v_sub_f32_e32 v67, v67, v85
	v_fmac_f32_e32 v86, 0x32a5705f, v37
	v_sub_f32_e32 v70, v70, v87
	v_fmac_f32_e32 v88, 0x32a5705f, v36
	v_sub_f32_e32 v71, v71, v89
	v_fmac_f32_e32 v90, 0x32a5705f, v61
	v_sub_f32_e32 v72, v72, v91
	v_fmac_f32_e32 v92, 0x32a5705f, v60
	v_sub_f32_e32 v73, v73, v93
	v_fmac_f32_e32 v94, 0x32a5705f, v23
	v_sub_f32_e32 v74, v74, v95
	v_fmac_f32_e32 v96, 0x32a5705f, v22
	v_sub_f32_e32 v75, v75, v97
	v_fma_f32 v157, v19, s60, -v98
	v_rndne_f32_e32 v158, v98
	v_mul_f32_e32 v102, 0x3fb8aa3b, v15
	v_fma_f32 v159, v18, s60, -v99
	v_rndne_f32_e32 v160, v99
	v_fma_f32 v161, v17, s60, -v100
	v_rndne_f32_e32 v162, v100
	;; [unrolled: 2-line block ×4, first 2 shown]
	v_fmac_f32_e32 v147, 0x32a5705f, v56
	v_sub_f32_e32 v24, v24, v148
	v_fmac_f32_e32 v149, 0x32a5705f, v57
	v_sub_f32_e32 v25, v25, v150
	;; [unrolled: 2-line block ×4, first 2 shown]
	v_fma_f32 v169, v13, s60, -v155
	v_rndne_f32_e32 v170, v155
	v_fma_f32 v171, v12, s60, -v156
	v_rndne_f32_e32 v172, v156
	v_add_f32_e32 v26, v26, v68
	v_add_f32_e32 v27, v27, v76
	;; [unrolled: 1-line block ×12, first 2 shown]
	v_fmac_f32_e32 v157, 0x32a5705f, v19
	v_sub_f32_e32 v75, v98, v158
	v_cvt_i32_f32_e32 v69, v69
	v_cvt_i32_f32_e32 v77, v77
	;; [unrolled: 1-line block ×8, first 2 shown]
	v_fma_f32 v165, v15, s60, -v102
	v_rndne_f32_e32 v166, v102
	v_fmac_f32_e32 v159, 0x32a5705f, v18
	v_sub_f32_e32 v78, v99, v160
	v_fmac_f32_e32 v161, 0x32a5705f, v17
	v_sub_f32_e32 v82, v100, v162
	;; [unrolled: 2-line block ×4, first 2 shown]
	v_add_f32_e32 v24, v24, v147
	v_add_f32_e32 v25, v25, v149
	;; [unrolled: 1-line block ×4, first 2 shown]
	v_fmac_f32_e32 v169, 0x32a5705f, v13
	v_sub_f32_e32 v98, v155, v170
	v_fmac_f32_e32 v171, 0x32a5705f, v12
	v_sub_f32_e32 v100, v156, v172
	v_exp_f32_e32 v26, v26
	v_exp_f32_e32 v27, v27
	;; [unrolled: 1-line block ×8, first 2 shown]
	v_add_f32_e32 v75, v75, v157
	v_cvt_i32_f32_e32 v91, v91
	v_cvt_i32_f32_e32 v93, v93
	;; [unrolled: 1-line block ×9, first 2 shown]
	v_fmac_f32_e32 v165, 0x32a5705f, v15
	v_sub_f32_e32 v90, v102, v166
	v_exp_f32_e32 v71, v71
	v_exp_f32_e32 v72, v72
	;; [unrolled: 1-line block ×4, first 2 shown]
	v_add_f32_e32 v78, v78, v159
	v_add_f32_e32 v82, v82, v161
	;; [unrolled: 1-line block ×4, first 2 shown]
	v_exp_f32_e32 v24, v24
	v_exp_f32_e32 v25, v25
	;; [unrolled: 1-line block ×4, first 2 shown]
	v_add_f32_e32 v98, v98, v169
	v_add_f32_e32 v100, v100, v171
	v_exp_f32_e32 v75, v75
	v_cvt_i32_f32_e32 v80, v160
	v_cvt_i32_f32_e32 v84, v162
	;; [unrolled: 1-line block ×6, first 2 shown]
	v_add_f32_e32 v90, v90, v165
	v_exp_f32_e32 v78, v78
	v_exp_f32_e32 v82, v82
	v_exp_f32_e32 v86, v86
	v_exp_f32_e32 v94, v94
	v_exp_f32_e32 v98, v98
	v_exp_f32_e32 v100, v100
	v_cvt_i32_f32_e32 v92, v166
	v_exp_f32_e32 v90, v90
	v_ldexp_f32 v26, v26, v69
	v_ldexp_f32 v27, v27, v77
	v_cmp_ngt_f32_e32 vcc, s61, v39
	v_ldexp_f32 v62, v62, v79
	v_cmp_ngt_f32_e64 s[0:1], s61, v59
	v_ldexp_f32 v63, v63, v81
	v_cmp_ngt_f32_e64 s[2:3], s61, v58
	;; [unrolled: 2-line block ×6, first 2 shown]
	v_cmp_ngt_f32_e64 s[24:25], s61, v38
	v_ldexp_f32 v70, v71, v91
	v_cmp_ngt_f32_e64 s[16:17], s61, v61
	v_ldexp_f32 v71, v72, v93
	;; [unrolled: 2-line block ×5, first 2 shown]
	v_ldexp_f32 v25, v25, v150
	v_cmp_ngt_f32_e64 s[26:27], s61, v57
	v_ldexp_f32 v28, v28, v152
	v_cmp_ngt_f32_e64 s[28:29], s61, v21
	;; [unrolled: 2-line block ×3, first 2 shown]
	v_cndmask_b32_e64 v26, 0, v26, s[24:25]
	v_cmp_nlt_f32_e64 s[24:25], s69, v38
	v_cndmask_b32_e32 v27, 0, v27, vcc
	v_cmp_nlt_f32_e32 vcc, s69, v39
	v_cndmask_b32_e64 v38, 0, v62, s[0:1]
	v_cmp_nlt_f32_e64 s[0:1], s69, v59
	v_cndmask_b32_e64 v39, 0, v63, s[2:3]
	v_cmp_nlt_f32_e64 s[2:3], s69, v58
	;; [unrolled: 2-line block ×6, first 2 shown]
	v_ldexp_f32 v64, v75, v76
	v_cmp_ngt_f32_e64 s[34:35], s61, v19
	v_cmp_ngt_f32_e64 s[46:47], s61, v56
	v_cndmask_b32_e64 v36, 0, v70, s[16:17]
	v_cmp_nlt_f32_e64 s[16:17], s69, v61
	v_cndmask_b32_e64 v61, 0, v71, s[18:19]
	v_cmp_nlt_f32_e64 s[18:19], s69, v60
	;; [unrolled: 2-line block ×4, first 2 shown]
	v_ldexp_f32 v65, v78, v80
	v_cmp_ngt_f32_e64 s[36:37], s61, v18
	v_ldexp_f32 v66, v82, v84
	v_cmp_ngt_f32_e64 s[38:39], s61, v17
	;; [unrolled: 2-line block ×4, first 2 shown]
	v_cndmask_b32_e64 v70, 0, v24, s[46:47]
	v_cndmask_b32_e64 v71, 0, v25, s[26:27]
	v_cmp_nlt_f32_e64 s[26:27], s69, v57
	v_cndmask_b32_e64 v57, 0, v28, s[28:29]
	v_cmp_nlt_f32_e64 s[28:29], s69, v21
	v_cndmask_b32_e64 v72, 0, v29, s[30:31]
	v_cmp_nlt_f32_e64 s[30:31], s69, v20
	v_ldexp_f32 v73, v98, v99
	v_cmp_ngt_f32_e64 s[46:47], s61, v13
	v_ldexp_f32 v74, v100, v101
	v_cmp_ngt_f32_e64 s[48:49], s61, v12
	v_cndmask_b32_e64 v20, v144, v26, s[24:25]
	v_cndmask_b32_e32 v21, v144, v27, vcc
	v_cndmask_b32_e64 v23, v144, v38, s[0:1]
	v_cndmask_b32_e64 v22, v144, v39, s[2:3]
	;; [unrolled: 1-line block ×6, first 2 shown]
	v_cmp_nlt_f32_e32 vcc, s69, v19
	v_cmp_nlt_f32_e64 s[14:15], s69, v56
	v_ldexp_f32 v68, v90, v92
	v_cmp_ngt_f32_e64 s[42:43], s61, v15
	v_cndmask_b32_e64 v27, v144, v62, s[12:13]
	v_cndmask_b32_e64 v29, v144, v36, s[16:17]
	;; [unrolled: 1-line block ×5, first 2 shown]
	v_cmp_nlt_f32_e64 s[0:1], s69, v18
	v_cndmask_b32_e64 v60, 0, v66, s[38:39]
	v_cmp_nlt_f32_e64 s[2:3], s69, v17
	v_cndmask_b32_e64 v17, 0, v67, s[40:41]
	v_cmp_nlt_f32_e64 s[8:9], s69, v16
	v_cmp_nlt_f32_e64 s[10:11], s69, v15
	v_cndmask_b32_e64 v15, 0, v69, s[44:45]
	v_cmp_nlt_f32_e64 s[12:13], s69, v14
	v_cndmask_b32_e64 v14, v144, v70, s[14:15]
	v_cndmask_b32_e64 v19, v144, v57, s[28:29]
	;; [unrolled: 1-line block ×4, first 2 shown]
	v_cmp_nlt_f32_e64 s[14:15], s69, v12
	v_pk_add_f32 v[38:39], v[22:23], v[24:25]
	v_cvt_f16_f32_e32 v66, v23
	v_cndmask_b32_e32 v23, v144, v58, vcc
	v_cmp_nlt_f32_e32 vcc, s69, v13
	v_cndmask_b32_e64 v36, v144, v63, s[22:23]
	v_cndmask_b32_e64 v61, 0, v68, s[42:43]
	;; [unrolled: 1-line block ×3, first 2 shown]
	v_cvt_f16_f32_e32 v62, v24
	v_cvt_f16_f32_e32 v64, v25
	;; [unrolled: 1-line block ×6, first 2 shown]
	v_pk_add_f32 v[20:21], v[20:21], v[28:29]
	v_cndmask_b32_e64 v22, v144, v59, s[0:1]
	v_cndmask_b32_e64 v25, v144, v60, s[2:3]
	;; [unrolled: 1-line block ×4, first 2 shown]
	v_cndmask_b32_e32 v17, v144, v56, vcc
	v_cndmask_b32_e64 v15, v144, v57, s[14:15]
	v_cndmask_b32_e64 v18, v144, v72, s[30:31]
	v_cvt_f16_f32_e32 v63, v26
	v_cvt_f16_f32_e32 v72, v29
	v_cndmask_b32_e64 v29, v144, v61, s[10:11]
	v_cvt_f16_f32_e32 v58, v14
	v_cvt_f16_f32_e32 v59, v16
	v_pk_fma_f32 v[108:109], v[108:109], v[26:27], v[38:39]
	v_pk_fma_f32 v[110:111], v[110:111], v[36:37], v[20:21]
	v_cvt_f16_f32_e32 v20, v23
	v_cvt_f16_f32_e32 v21, v22
	;; [unrolled: 1-line block ×3, first 2 shown]
	v_pk_add_f32 v[12:13], v[22:23], v[24:25]
	v_cvt_f16_f32_e32 v22, v25
	v_cvt_f16_f32_e32 v24, v15
	;; [unrolled: 1-line block ×10, first 2 shown]
	v_pk_add_f32 v[14:15], v[14:15], v[16:17]
	v_pk_fma_f32 v[106:107], v[106:107], v[28:29], v[12:13]
	v_pk_fma_f32 v[104:105], v[104:105], v[18:19], v[14:15]
	v_pack_b32_f16 v13, v69, v68
	v_pack_b32_f16 v12, v67, v66
	;; [unrolled: 1-line block ×8, first 2 shown]
	v_pk_mul_f16 v28, v63, v54 op_sel_hi:[0,1]
	v_pk_mul_f16 v29, v63, v55 op_sel_hi:[0,1]
	;; [unrolled: 1-line block ×16, first 2 shown]
	ds_write_b128 v145, v[12:15]
	ds_write_b128 v145, v[16:19] offset:512
	ds_write_b128 v139, v[8:11]
	s_waitcnt lgkmcnt(0)
	s_barrier
	ds_read2_b64 v[20:23], v142 offset1:32
	ds_read_b128 v[24:27], v138
	ds_read_b128 v[36:39], v138 offset:16
	ds_read_b128 v[40:43], v138 offset:32
	;; [unrolled: 1-line block ×3, first 2 shown]
	ds_read2_b64 v[48:51], v142 offset0:64 offset1:96
	ds_read2_b64 v[52:55], v142 offset0:128 offset1:160
	ds_read_b128 v[56:59], v138 offset:64
	ds_read_b128 v[60:63], v138 offset:80
	ds_read2_b64 v[64:67], v142 offset0:192 offset1:224
	ds_read_b128 v[68:71], v138 offset:96
	ds_read_b128 v[72:75], v138 offset:112
	ds_read2_b64 v[76:79], v146 offset1:32
	ds_read_b128 v[80:83], v138 offset:128
	ds_read_b128 v[84:87], v138 offset:144
	ds_read2_b64 v[88:91], v146 offset0:64 offset1:96
	ds_read_b128 v[92:95], v138 offset:160
	ds_read_b128 v[96:99], v138 offset:176
	ds_read2_b64 v[100:103], v146 offset0:128 offset1:160
	;; [unrolled: 3-line block ×3, first 2 shown]
	ds_read_b128 v[156:159], v138 offset:224
	ds_read_b128 v[12:15], v138 offset:240
	s_waitcnt lgkmcnt(0)
	s_barrier
	global_load_dwordx4 v[16:19], v[34:35], off
	v_pk_fma_f16 v28, v20, v24, v28 op_sel_hi:[1,0,1]
	v_pk_fma_f16 v34, v20, v24, v147 op_sel:[0,1,0]
	v_pk_fma_f16 v35, v20, v25, v161 op_sel_hi:[1,0,1]
	v_pk_fma_f16 v147, v20, v25, v163 op_sel:[0,1,0]
	;; [unrolled: 2-line block ×128, first 2 shown]
	s_waitcnt vmcnt(0)
	ds_write_b128 v139, v[16:19]
	s_waitcnt lgkmcnt(0)
	s_barrier
	ds_read2_b64 v[20:23], v142 offset1:32
	ds_read_b128 v[24:27], v138 offset:256
	ds_read_b128 v[34:37], v138 offset:272
	;; [unrolled: 1-line block ×4, first 2 shown]
	ds_read2_b64 v[46:49], v142 offset0:64 offset1:96
	ds_read2_b64 v[50:53], v142 offset0:128 offset1:160
	ds_read_b128 v[54:57], v138 offset:320
	ds_read_b128 v[58:61], v138 offset:336
	ds_read2_b64 v[62:65], v142 offset0:192 offset1:224
	ds_read_b128 v[66:69], v138 offset:352
	ds_read_b128 v[70:73], v138 offset:368
	ds_read2_b64 v[74:77], v146 offset1:32
	ds_read_b128 v[78:81], v138 offset:384
	ds_read_b128 v[82:85], v138 offset:400
	ds_read2_b64 v[86:89], v146 offset0:64 offset1:96
	ds_read_b128 v[90:93], v138 offset:416
	ds_read_b128 v[94:97], v138 offset:432
	ds_read2_b64 v[98:101], v146 offset0:128 offset1:160
	;; [unrolled: 3-line block ×3, first 2 shown]
	ds_read_b128 v[156:159], v138 offset:480
	ds_read_b128 v[12:15], v138 offset:496
	s_waitcnt lgkmcnt(0)
	s_barrier
	global_load_dwordx4 v[16:19], v[32:33], off
	v_pk_fma_f16 v32, v20, v24, v102 op_sel_hi:[1,0,1]
	v_pk_fma_f16 v33, v20, v24, v103 op_sel:[0,1,0]
	v_pk_fma_f16 v28, v20, v25, v28 op_sel_hi:[1,0,1]
	v_pk_fma_f16 v102, v20, v25, v147 op_sel:[0,1,0]
	;; [unrolled: 2-line block ×128, first 2 shown]
	s_waitcnt vmcnt(0)
	ds_write_b128 v139, v[16:19]
	s_waitcnt lgkmcnt(0)
	s_barrier
	ds_read2_b64 v[20:23], v142 offset1:32
	ds_read_b128 v[24:27], v138 offset:512
	ds_read_b128 v[32:35], v138 offset:528
	;; [unrolled: 1-line block ×4, first 2 shown]
	ds_read2_b64 v[44:47], v142 offset0:64 offset1:96
	ds_read2_b64 v[48:51], v142 offset0:128 offset1:160
	ds_read_b128 v[52:55], v138 offset:576
	ds_read_b128 v[56:59], v138 offset:592
	ds_read2_b64 v[60:63], v142 offset0:192 offset1:224
	ds_read_b128 v[64:67], v138 offset:608
	ds_read_b128 v[68:71], v138 offset:624
	ds_read2_b64 v[72:75], v146 offset1:32
	ds_read_b128 v[76:79], v138 offset:640
	ds_read_b128 v[80:83], v138 offset:656
	ds_read2_b64 v[84:87], v146 offset0:64 offset1:96
	ds_read_b128 v[88:91], v138 offset:672
	ds_read_b128 v[92:95], v138 offset:688
	ds_read2_b64 v[96:99], v146 offset0:128 offset1:160
	;; [unrolled: 3-line block ×3, first 2 shown]
	ds_read_b128 v[152:155], v138 offset:736
	ds_read_b128 v[12:15], v138 offset:752
	s_waitcnt lgkmcnt(0)
	s_barrier
	global_load_dwordx4 v[16:19], v[30:31], off
	v_pk_fma_f16 v30, v20, v24, v147 op_sel_hi:[1,0,1]
	v_pk_fma_f16 v31, v20, v24, v156 op_sel:[0,1,0]
	v_pk_fma_f16 v28, v20, v25, v28 op_sel_hi:[1,0,1]
	v_pk_fma_f16 v147, v20, v25, v157 op_sel:[0,1,0]
	;; [unrolled: 2-line block ×128, first 2 shown]
	s_waitcnt vmcnt(0)
	ds_write_b128 v139, v[16:19]
	s_waitcnt lgkmcnt(0)
	s_barrier
	ds_read2_b64 v[16:19], v142 offset1:32
	ds_read_b128 v[40:43], v138 offset:768
	ds_read_b128 v[20:23], v138 offset:784
	;; [unrolled: 1-line block ×4, first 2 shown]
	ds_read2_b64 v[24:27], v142 offset0:64 offset1:96
	ds_read2_b64 v[28:31], v142 offset0:128 offset1:160
	ds_read_b128 v[48:51], v138 offset:832
	ds_read_b128 v[52:55], v138 offset:848
	ds_read2_b64 v[32:35], v142 offset0:192 offset1:224
	ds_read_b128 v[60:63], v138 offset:864
	ds_read_b128 v[64:67], v138 offset:880
	ds_read2_b64 v[36:39], v146 offset1:32
	ds_read_b128 v[72:75], v138 offset:896
	ds_read_b128 v[76:79], v138 offset:912
	ds_read2_b64 v[44:47], v146 offset0:64 offset1:96
	ds_read_b128 v[80:83], v138 offset:928
	ds_read_b128 v[84:87], v138 offset:944
	ds_read2_b64 v[56:59], v146 offset0:128 offset1:160
	;; [unrolled: 3-line block ×3, first 2 shown]
	ds_read_b128 v[96:99], v138 offset:992
	ds_read_b128 v[100:103], v138 offset:1008
	s_waitcnt lgkmcnt(14)
	v_pk_fma_f16 v147, v16, v40, v147 op_sel_hi:[1,0,1]
	v_pk_fma_f16 v148, v16, v40, v148 op_sel:[0,1,0]
	v_pk_fma_f16 v149, v16, v41, v149 op_sel_hi:[1,0,1]
	v_pk_fma_f16 v150, v16, v41, v150 op_sel:[0,1,0]
	;; [unrolled: 2-line block ×48, first 2 shown]
	s_waitcnt lgkmcnt(13)
	v_pk_fma_f16 v15, v32, v60, v15 op_sel_hi:[1,0,1]
	v_pk_fma_f16 v17, v32, v60, v17 op_sel:[0,1,0]
	v_pk_fma_f16 v19, v32, v61, v19 op_sel_hi:[1,0,1]
	v_pk_fma_f16 v20, v32, v61, v20 op_sel:[0,1,0]
	;; [unrolled: 2-line block ×8, first 2 shown]
	s_waitcnt lgkmcnt(12)
	v_pk_fma_f16 v15, v34, v64, v15 op_sel_hi:[1,0,1]
	v_pk_fma_f16 v17, v34, v64, v17 op_sel:[0,1,0]
	v_pk_fma_f16 v19, v34, v65, v19 op_sel_hi:[1,0,1]
	v_pk_fma_f16 v20, v34, v65, v20 op_sel:[0,1,0]
	;; [unrolled: 2-line block ×8, first 2 shown]
	s_waitcnt lgkmcnt(0)
	s_barrier
	s_load_dword s0, s[50:51], 0x4
	v_pk_fma_f16 v15, v36, v72, v15 op_sel_hi:[1,0,1]
	v_pk_fma_f16 v17, v36, v72, v17 op_sel:[0,1,0]
	v_pk_fma_f16 v19, v36, v73, v19 op_sel_hi:[1,0,1]
	v_pk_fma_f16 v20, v36, v73, v20 op_sel:[0,1,0]
	;; [unrolled: 2-line block ×40, first 2 shown]
	s_waitcnt lgkmcnt(0)
	s_lshl_b32 s0, s0, 6
	v_pk_fma_f16 v15, v58, v92, v15 op_sel_hi:[1,0,1]
	v_pk_fma_f16 v17, v58, v92, v17 op_sel:[0,1,0]
	v_pk_fma_f16 v19, v58, v93, v19 op_sel_hi:[1,0,1]
	v_pk_fma_f16 v20, v58, v93, v20 op_sel:[0,1,0]
	;; [unrolled: 2-line block ×8, first 2 shown]
	s_add_i32 s54, s0, s54
	v_pk_fma_f16 v15, v68, v96, v15 op_sel_hi:[1,0,1]
	v_pk_fma_f16 v17, v68, v96, v17 op_sel:[0,1,0]
	v_pk_fma_f16 v19, v68, v97, v19 op_sel_hi:[1,0,1]
	v_pk_fma_f16 v20, v68, v97, v20 op_sel:[0,1,0]
	;; [unrolled: 2-line block ×8, first 2 shown]
	s_cmp_ge_i32 s54, s66
	v_pk_fma_f16 v54, v70, v100, v15 op_sel_hi:[1,0,1]
	v_pk_fma_f16 v53, v70, v100, v17 op_sel:[0,1,0]
	v_pk_fma_f16 v51, v70, v101, v19 op_sel_hi:[1,0,1]
	v_pk_fma_f16 v49, v70, v101, v20 op_sel:[0,1,0]
	;; [unrolled: 2-line block ×8, first 2 shown]
	s_cbranch_scc0 .LBB17_9
.LBB17_10:
	v_cmp_lt_i32_e32 vcc, v129, v125
	v_cndmask_b32_e32 v8, v124, v129, vcc
	v_lshlrev_b32_e32 v17, 2, v8
	ds_bpermute_b32 v12, v17, v110
	ds_bpermute_b32 v13, v17, v111
	v_cmp_lt_i32_e32 vcc, v130, v125
	v_cndmask_b32_e32 v10, v124, v130, vcc
	v_cmp_lt_i32_e32 vcc, v128, v125
	v_lshlrev_b32_e32 v23, 2, v10
	v_cndmask_b32_e32 v10, v124, v128, vcc
	v_cmp_lt_i32_e32 vcc, v127, v125
	v_cndmask_b32_e32 v14, v124, v127, vcc
	s_waitcnt lgkmcnt(0)
	v_pk_add_f32 v[12:13], v[110:111], v[12:13]
	v_lshlrev_b32_e32 v25, 2, v14
	ds_bpermute_b32 v14, v23, v12
	ds_bpermute_b32 v15, v23, v13
	v_lshlrev_b32_e32 v24, 2, v10
	ds_bpermute_b32 v8, v17, v108
	ds_bpermute_b32 v9, v17, v109
	;; [unrolled: 1-line block ×3, first 2 shown]
	s_waitcnt lgkmcnt(3)
	v_pk_add_f32 v[12:13], v[12:13], v[14:15]
	ds_bpermute_b32 v14, v24, v12
	ds_bpermute_b32 v15, v24, v13
	;; [unrolled: 1-line block ×3, first 2 shown]
	s_waitcnt lgkmcnt(4)
	v_pk_add_f32 v[8:9], v[108:109], v[8:9]
	v_cmp_lt_i32_e32 vcc, v126, v125
	ds_bpermute_b32 v10, v23, v8
	s_waitcnt lgkmcnt(2)
	v_pk_add_f32 v[12:13], v[12:13], v[14:15]
	ds_bpermute_b32 v14, v17, v106
	ds_bpermute_b32 v15, v17, v107
	s_waitcnt lgkmcnt(3)
	v_pk_add_f32 v[18:19], v[104:105], v[18:19]
	ds_bpermute_b32 v11, v23, v9
	v_cndmask_b32_e32 v16, v124, v126, vcc
	ds_bpermute_b32 v22, v23, v18
	s_waitcnt lgkmcnt(2)
	v_pk_add_f32 v[14:15], v[106:107], v[14:15]
	ds_bpermute_b32 v20, v23, v14
	ds_bpermute_b32 v21, v23, v15
	;; [unrolled: 1-line block ×3, first 2 shown]
	v_lshlrev_b32_e32 v27, 2, v16
	ds_bpermute_b32 v16, v25, v12
	ds_bpermute_b32 v17, v25, v13
	s_waitcnt lgkmcnt(6)
	v_pk_add_f32 v[8:9], v[8:9], v[10:11]
	s_waitcnt lgkmcnt(3)
	v_pk_add_f32 v[14:15], v[14:15], v[20:21]
	;; [unrolled: 2-line block ×3, first 2 shown]
	ds_bpermute_b32 v10, v24, v8
	ds_bpermute_b32 v11, v24, v9
	s_waitcnt lgkmcnt(2)
	v_pk_add_f32 v[12:13], v[12:13], v[16:17]
	ds_bpermute_b32 v16, v24, v14
	ds_bpermute_b32 v17, v24, v15
	;; [unrolled: 1-line block ×4, first 2 shown]
	s_waitcnt lgkmcnt(4)
	v_pk_add_f32 v[8:9], v[8:9], v[10:11]
	ds_bpermute_b32 v10, v25, v8
	s_waitcnt lgkmcnt(3)
	v_pk_add_f32 v[14:15], v[14:15], v[16:17]
	ds_bpermute_b32 v11, v25, v9
	;; [unrolled: 3-line block ×3, first 2 shown]
	ds_bpermute_b32 v17, v25, v15
	ds_bpermute_b32 v20, v25, v18
	ds_bpermute_b32 v21, v25, v19
	s_waitcnt lgkmcnt(4)
	v_pk_add_f32 v[8:9], v[8:9], v[10:11]
	ds_bpermute_b32 v10, v27, v8
	s_waitcnt lgkmcnt(3)
	v_pk_add_f32 v[14:15], v[14:15], v[16:17]
	ds_bpermute_b32 v11, v27, v9
	s_waitcnt lgkmcnt(2)
	v_pk_add_f32 v[18:19], v[18:19], v[20:21]
	ds_bpermute_b32 v22, v27, v12
	ds_bpermute_b32 v23, v27, v13
	ds_bpermute_b32 v16, v27, v14
	;; [unrolled: 1-line block ×5, first 2 shown]
	s_cmp_lg_u64 s[52:53], 0
	s_cselect_b64 s[0:1], -1, 0
	s_cmp_eq_u32 s7, 0
	s_cselect_b64 s[2:3], -1, 0
	s_and_b64 s[0:1], s[2:3], s[0:1]
	s_waitcnt lgkmcnt(6)
	v_pk_add_f32 v[24:25], v[8:9], v[10:11]
	s_waitcnt lgkmcnt(4)
	v_pk_add_f32 v[22:23], v[12:13], v[22:23]
	;; [unrolled: 2-line block ×4, first 2 shown]
	s_and_b64 vcc, exec, s[0:1]
	s_cbranch_vccz .LBB17_12
; %bb.11:
	s_ashr_i32 s65, s64, 31
	s_lshl_b64 s[0:1], s[64:65], 2
	s_add_u32 s0, s52, s0
	s_addc_u32 s1, s53, s1
	v_mov_b32_e32 v8, 0
	global_load_dwordx4 v[14:17], v8, s[0:1]
	v_max_f32_e32 v8, v1, v1
	v_max_f32_e32 v10, v0, v0
	s_mov_b32 s2, 0x3fb8aa3b
	v_max_f32_e32 v12, v2, v2
	v_max_f32_e32 v11, v3, v3
	s_mov_b32 s1, 0xc2ce8ed0
	s_mov_b32 s0, 0x42b17218
	v_mov_b32_e32 v26, 0x7f800000
	s_waitcnt vmcnt(0)
	v_max_f32_e32 v27, v15, v15
	v_max_f32_e32 v28, v14, v14
	;; [unrolled: 1-line block ×4, first 2 shown]
	v_pk_add_f32 v[0:1], v[0:1], v[8:9] neg_lo:[0,1] neg_hi:[0,1]
	v_max_f32_e32 v30, v16, v16
	v_mul_f32_e32 v31, 0x3fb8aa3b, v1
	v_max_f32_e32 v29, v17, v17
	v_max_f32_e32 v10, v12, v30
	v_pk_add_f32 v[12:13], v[14:15], v[8:9] neg_lo:[0,1] neg_hi:[0,1]
	v_mul_f32_e32 v32, 0x3fb8aa3b, v0
	v_fma_f32 v37, v1, s2, -v31
	v_rndne_f32_e32 v38, v31
	v_max_f32_e32 v11, v11, v29
	v_mul_f32_e32 v33, 0x3fb8aa3b, v13
	v_fma_f32 v39, v0, s2, -v32
	v_rndne_f32_e32 v56, v32
	v_fmac_f32_e32 v37, 0x32a5705f, v1
	v_sub_f32_e32 v31, v31, v38
	v_pk_add_f32 v[2:3], v[2:3], v[10:11] neg_lo:[0,1] neg_hi:[0,1]
	v_mul_f32_e32 v34, 0x3fb8aa3b, v12
	v_fma_f32 v57, v13, s2, -v33
	v_rndne_f32_e32 v58, v33
	v_fmac_f32_e32 v39, 0x32a5705f, v0
	v_sub_f32_e32 v32, v32, v56
	v_add_f32_e32 v31, v31, v37
	v_mul_f32_e32 v35, 0x3fb8aa3b, v3
	v_fma_f32 v59, v12, s2, -v34
	v_rndne_f32_e32 v60, v34
	v_cvt_i32_f32_e32 v38, v38
	v_fmac_f32_e32 v57, 0x32a5705f, v13
	v_sub_f32_e32 v33, v33, v58
	v_add_f32_e32 v32, v32, v39
	v_exp_f32_e32 v31, v31
	v_fma_f32 v61, v3, s2, -v35
	v_rndne_f32_e32 v62, v35
	v_cvt_i32_f32_e32 v56, v56
	v_fmac_f32_e32 v59, 0x32a5705f, v12
	v_sub_f32_e32 v34, v34, v60
	v_add_f32_e32 v33, v33, v57
	v_exp_f32_e32 v32, v32
	v_cvt_i32_f32_e32 v58, v58
	v_fmac_f32_e32 v61, 0x32a5705f, v3
	v_sub_f32_e32 v35, v35, v62
	v_add_f32_e32 v34, v34, v59
	v_exp_f32_e32 v33, v33
	v_cvt_i32_f32_e32 v60, v60
	v_add_f32_e32 v35, v35, v61
	v_exp_f32_e32 v34, v34
	v_cvt_i32_f32_e32 v62, v62
	v_exp_f32_e32 v35, v35
	v_ldexp_f32 v31, v31, v38
	v_cmp_ngt_f32_e32 vcc, s1, v1
	v_ldexp_f32 v32, v32, v56
	v_cndmask_b32_e32 v31, 0, v31, vcc
	v_cmp_ngt_f32_e32 vcc, s1, v0
	v_ldexp_f32 v33, v33, v58
	v_cndmask_b32_e32 v32, 0, v32, vcc
	;; [unrolled: 3-line block ×3, first 2 shown]
	v_cmp_ngt_f32_e32 vcc, s1, v12
	v_mul_f32_e32 v36, 0x3fb8aa3b, v2
	v_ldexp_f32 v35, v35, v62
	v_cndmask_b32_e32 v34, 0, v34, vcc
	v_cmp_ngt_f32_e32 vcc, s1, v3
	v_fma_f32 v63, v2, s2, -v36
	v_rndne_f32_e32 v64, v36
	v_cndmask_b32_e32 v35, 0, v35, vcc
	v_cmp_nlt_f32_e32 vcc, s0, v1
	v_fmac_f32_e32 v63, 0x32a5705f, v2
	v_sub_f32_e32 v36, v36, v64
	v_cndmask_b32_e32 v1, v26, v31, vcc
	v_cmp_nlt_f32_e32 vcc, s0, v0
	v_add_f32_e32 v36, v36, v63
	v_cndmask_b32_e32 v0, v26, v32, vcc
	v_cmp_nlt_f32_e32 vcc, s0, v13
	v_cvt_i32_f32_e32 v64, v64
	v_exp_f32_e32 v36, v36
	v_cndmask_b32_e32 v13, v26, v33, vcc
	v_cvt_f16_f32_e32 v31, v0
	v_cmp_nlt_f32_e32 vcc, s0, v12
	v_cvt_f16_f32_e32 v32, v1
	v_cndmask_b32_e32 v12, v26, v34, vcc
	v_pk_fma_f32 v[24:25], v[24:25], v[0:1], v[12:13]
	v_pk_add_f32 v[12:13], v[16:17], v[10:11] neg_lo:[0,1] neg_hi:[0,1]
	v_mul_f32_e32 v1, 0x3fb8aa3b, v13
	v_pk_mul_f16 v54, v31, v54 op_sel_hi:[0,1]
	v_pk_mul_f16 v55, v31, v55 op_sel_hi:[0,1]
	;; [unrolled: 1-line block ×4, first 2 shown]
	v_ldexp_f32 v0, v36, v64
	v_cmp_ngt_f32_e32 vcc, s1, v2
	v_fma_f32 v31, v13, s2, -v1
	v_rndne_f32_e32 v32, v1
	v_cndmask_b32_e32 v0, 0, v0, vcc
	v_cmp_nlt_f32_e32 vcc, s0, v2
	v_fmac_f32_e32 v31, 0x32a5705f, v13
	v_sub_f32_e32 v1, v1, v32
	v_cndmask_b32_e32 v0, v26, v0, vcc
	v_add_f32_e32 v1, v1, v31
	v_cvt_f16_f32_e32 v2, v0
	v_exp_f32_e32 v31, v1
	v_cvt_i32_f32_e32 v32, v32
	v_cmp_nlt_f32_e32 vcc, s0, v3
	v_mul_f32_e32 v3, 0x3fb8aa3b, v12
	v_pk_mul_f16 v51, v2, v51 op_sel_hi:[0,1]
	v_pk_mul_f16 v50, v2, v50 op_sel_hi:[0,1]
	v_ldexp_f32 v2, v31, v32
	v_fma_f32 v31, v12, s2, -v3
	v_rndne_f32_e32 v32, v3
	v_fmac_f32_e32 v31, 0x32a5705f, v12
	v_sub_f32_e32 v3, v3, v32
	v_add_f32_e32 v3, v3, v31
	v_exp_f32_e32 v31, v3
	v_cvt_i32_f32_e32 v32, v32
	v_cndmask_b32_e32 v1, v26, v35, vcc
	v_cmp_ngt_f32_e32 vcc, s1, v13
	v_cndmask_b32_e32 v2, 0, v2, vcc
	v_cmp_nlt_f32_e32 vcc, s0, v13
	v_cndmask_b32_e32 v3, v26, v2, vcc
	v_ldexp_f32 v2, v31, v32
	v_cmp_ngt_f32_e32 vcc, s1, v12
	v_cvt_f16_f32_e32 v13, v1
	v_cndmask_b32_e32 v2, 0, v2, vcc
	v_cmp_nlt_f32_e32 vcc, s0, v12
	v_cndmask_b32_e32 v2, v26, v2, vcc
	v_pk_fma_f32 v[22:23], v[22:23], v[0:1], v[2:3]
	v_max_f32_e32 v0, v5, v5
	v_pk_mul_f16 v49, v13, v49 op_sel_hi:[0,1]
	v_pk_mul_f16 v48, v13, v48 op_sel_hi:[0,1]
	v_max_f32_e32 v13, v0, v27
	v_max_f32_e32 v0, v4, v4
	;; [unrolled: 1-line block ×3, first 2 shown]
	v_pk_add_f32 v[0:1], v[4:5], v[12:13] neg_lo:[0,1] neg_hi:[0,1]
	v_mul_f32_e32 v2, 0x3fb8aa3b, v1
	v_fma_f32 v3, v1, s2, -v2
	v_rndne_f32_e32 v4, v2
	v_fmac_f32_e32 v3, 0x32a5705f, v1
	v_sub_f32_e32 v2, v2, v4
	v_add_f32_e32 v2, v2, v3
	v_cvt_i32_f32_e32 v3, v4
	v_mul_f32_e32 v4, 0x3fb8aa3b, v0
	v_fma_f32 v5, v0, s2, -v4
	v_rndne_f32_e32 v27, v4
	v_fmac_f32_e32 v5, 0x32a5705f, v0
	v_sub_f32_e32 v4, v4, v27
	v_exp_f32_e32 v2, v2
	v_add_f32_e32 v4, v4, v5
	v_exp_f32_e32 v4, v4
	v_cvt_i32_f32_e32 v5, v27
	v_ldexp_f32 v2, v2, v3
	v_cmp_ngt_f32_e32 vcc, s1, v1
	v_cndmask_b32_e32 v27, 0, v2, vcc
	v_ldexp_f32 v2, v4, v5
	v_cmp_ngt_f32_e32 vcc, s1, v0
	v_cndmask_b32_e32 v2, 0, v2, vcc
	v_cmp_nlt_f32_e32 vcc, s0, v0
	v_cndmask_b32_e32 v0, v26, v2, vcc
	v_pk_add_f32 v[2:3], v[14:15], v[12:13] neg_lo:[0,1] neg_hi:[0,1]
	v_mul_f32_e32 v5, 0x3fb8aa3b, v3
	v_fma_f32 v14, v3, s2, -v5
	v_rndne_f32_e32 v15, v5
	v_fmac_f32_e32 v14, 0x32a5705f, v3
	v_sub_f32_e32 v5, v5, v15
	v_add_f32_e32 v5, v5, v14
	v_cvt_f16_f32_e32 v4, v0
	v_exp_f32_e32 v5, v5
	v_cvt_i32_f32_e32 v14, v15
	v_cmp_nlt_f32_e32 vcc, s0, v1
	v_pk_mul_f16 v47, v4, v47 op_sel_hi:[0,1]
	v_pk_mul_f16 v46, v4, v46 op_sel_hi:[0,1]
	v_ldexp_f32 v4, v5, v14
	v_mul_f32_e32 v5, 0x3fb8aa3b, v2
	v_fma_f32 v14, v2, s2, -v5
	v_rndne_f32_e32 v15, v5
	v_fmac_f32_e32 v14, 0x32a5705f, v2
	v_sub_f32_e32 v5, v5, v15
	v_add_f32_e32 v5, v5, v14
	v_exp_f32_e32 v5, v5
	v_cvt_i32_f32_e32 v14, v15
	v_cndmask_b32_e32 v1, v26, v27, vcc
	v_cmp_ngt_f32_e32 vcc, s1, v3
	v_cndmask_b32_e32 v4, 0, v4, vcc
	v_cmp_nlt_f32_e32 vcc, s0, v3
	v_cndmask_b32_e32 v3, v26, v4, vcc
	v_ldexp_f32 v4, v5, v14
	v_cmp_ngt_f32_e32 vcc, s1, v2
	v_cndmask_b32_e32 v4, 0, v4, vcc
	v_cmp_nlt_f32_e32 vcc, s0, v2
	v_cndmask_b32_e32 v2, v26, v4, vcc
	v_pk_fma_f32 v[20:21], v[20:21], v[0:1], v[2:3]
	v_max_f32_e32 v0, v7, v7
	v_max_f32_e32 v15, v0, v29
	;; [unrolled: 1-line block ×4, first 2 shown]
	v_cvt_f16_f32_e32 v5, v1
	v_pk_add_f32 v[0:1], v[6:7], v[14:15] neg_lo:[0,1] neg_hi:[0,1]
	v_mul_f32_e32 v2, 0x3fb8aa3b, v1
	v_fma_f32 v3, v1, s2, -v2
	v_rndne_f32_e32 v4, v2
	v_fmac_f32_e32 v3, 0x32a5705f, v1
	v_sub_f32_e32 v2, v2, v4
	v_add_f32_e32 v2, v2, v3
	v_cvt_i32_f32_e32 v3, v4
	v_mul_f32_e32 v4, 0x3fb8aa3b, v0
	v_pk_mul_f16 v45, v5, v45 op_sel_hi:[0,1]
	v_pk_mul_f16 v44, v5, v44 op_sel_hi:[0,1]
	v_fma_f32 v5, v0, s2, -v4
	v_rndne_f32_e32 v6, v4
	v_fmac_f32_e32 v5, 0x32a5705f, v0
	v_sub_f32_e32 v4, v4, v6
	v_exp_f32_e32 v2, v2
	v_add_f32_e32 v4, v4, v5
	v_exp_f32_e32 v4, v4
	v_cvt_i32_f32_e32 v5, v6
	v_ldexp_f32 v2, v2, v3
	v_cmp_ngt_f32_e32 vcc, s1, v1
	v_cndmask_b32_e32 v6, 0, v2, vcc
	v_ldexp_f32 v2, v4, v5
	v_cmp_ngt_f32_e32 vcc, s1, v0
	v_cndmask_b32_e32 v2, 0, v2, vcc
	v_cmp_nlt_f32_e32 vcc, s0, v0
	v_cndmask_b32_e32 v0, v26, v2, vcc
	v_pk_add_f32 v[2:3], v[16:17], v[14:15] neg_lo:[0,1] neg_hi:[0,1]
	v_mul_f32_e32 v5, 0x3fb8aa3b, v3
	v_fma_f32 v7, v3, s2, -v5
	v_rndne_f32_e32 v16, v5
	v_fmac_f32_e32 v7, 0x32a5705f, v3
	v_sub_f32_e32 v5, v5, v16
	v_add_f32_e32 v5, v5, v7
	v_cvt_f16_f32_e32 v4, v0
	v_exp_f32_e32 v5, v5
	v_cvt_i32_f32_e32 v7, v16
	v_cmp_nlt_f32_e32 vcc, s0, v1
	v_pk_mul_f16 v43, v4, v43 op_sel_hi:[0,1]
	v_pk_mul_f16 v42, v4, v42 op_sel_hi:[0,1]
	v_ldexp_f32 v4, v5, v7
	v_mul_f32_e32 v5, 0x3fb8aa3b, v2
	v_cndmask_b32_e32 v1, v26, v6, vcc
	v_fma_f32 v6, v2, s2, -v5
	v_rndne_f32_e32 v7, v5
	v_fmac_f32_e32 v6, 0x32a5705f, v2
	v_sub_f32_e32 v5, v5, v7
	v_add_f32_e32 v5, v5, v6
	v_exp_f32_e32 v5, v5
	v_cvt_i32_f32_e32 v6, v7
	v_cmp_ngt_f32_e32 vcc, s1, v3
	v_cndmask_b32_e32 v4, 0, v4, vcc
	v_cmp_nlt_f32_e32 vcc, s0, v3
	v_cndmask_b32_e32 v3, v26, v4, vcc
	v_ldexp_f32 v4, v5, v6
	v_cvt_f16_f32_e32 v5, v1
	v_cmp_ngt_f32_e32 vcc, s1, v2
	v_cndmask_b32_e32 v4, 0, v4, vcc
	v_cmp_nlt_f32_e32 vcc, s0, v2
	v_cndmask_b32_e32 v2, v26, v4, vcc
	v_pk_fma_f32 v[18:19], v[18:19], v[0:1], v[2:3]
	v_pk_mul_f16 v41, v5, v41 op_sel_hi:[0,1]
	v_pk_mul_f16 v40, v5, v40 op_sel_hi:[0,1]
	v_pk_mov_b32 v[0:1], v[8:9], v[8:9] op_sel:[0,1]
	v_pk_mov_b32 v[2:3], v[10:11], v[10:11] op_sel:[0,1]
	;; [unrolled: 1-line block ×4, first 2 shown]
.LBB17_12:
	v_cmp_gt_i32_e32 vcc, s62, v123
	s_and_saveexec_b64 s[0:1], vcc
	s_cbranch_execz .LBB17_49
; %bb.13:
	s_load_dword s6, s[4:5], 0xd4
	v_mov_b32_e32 v8, 1.0
	s_waitcnt lgkmcnt(0)
	s_cmp_lg_u32 s6, 1
	s_cselect_b64 s[2:3], -1, 0
	s_cmp_eq_u32 s6, 1
	s_cselect_b64 s[4:5], -1, 0
	s_and_b64 vcc, exec, s[2:3]
	s_cbranch_vccnz .LBB17_15
; %bb.14:
	v_div_scale_f32 v8, s[0:1], v24, v24, 1.0
	v_rcp_f32_e32 v9, v8
	v_div_scale_f32 v10, vcc, 1.0, v24, 1.0
	v_fma_f32 v11, -v8, v9, 1.0
	v_fmac_f32_e32 v9, v11, v9
	v_mul_f32_e32 v11, v10, v9
	v_fma_f32 v12, -v8, v11, v10
	v_fmac_f32_e32 v11, v12, v9
	v_fma_f32 v8, -v8, v11, v10
	v_div_fmas_f32 v8, v8, v9, v11
	v_div_fixup_f32 v8, v8, v24, 1.0
.LBB17_15:
	s_mul_i32 s8, s33, s62
	s_add_i32 s8, s8, s67
	v_add_u32_e32 v9, s8, v121
	v_mul_lo_u32 v12, v9, s63
	v_add_u32_e32 v9, s64, v12
	v_mul_lo_u32 v9, s6, v9
	v_add_u32_e32 v10, s7, v9
	v_cvt_f32_f16_sdwa v17, v54 dst_sel:DWORD dst_unused:UNUSED_PAD src0_sel:WORD_1
	v_cvt_f32_f16_e32 v16, v54
	v_cvt_f32_f16_sdwa v27, v55 dst_sel:DWORD dst_unused:UNUSED_PAD src0_sel:WORD_1
	v_cvt_f32_f16_e32 v26, v55
	v_lshl_add_u32 v14, v10, 7, v119
	v_mov_b32_e32 v15, 0
	v_lshlrev_b64 v[14:15], 2, v[14:15]
	v_cmp_eq_u32_e32 vcc, 0, v122
	v_mov_b32_e32 v9, s57
	v_add_co_u32_e64 v28, s[0:1], s56, v14
	v_addc_co_u32_e64 v29, s[0:1], v9, v15, s[0:1]
	v_pk_mul_f32 v[14:15], v[8:9], v[16:17] op_sel_hi:[0,1]
	v_pk_mul_f32 v[16:17], v[8:9], v[26:27] op_sel_hi:[0,1]
	s_and_b64 s[2:3], vcc, s[2:3]
	global_store_dwordx4 v[28:29], v[14:17], off
	s_and_saveexec_b64 s[0:1], s[2:3]
	s_cbranch_execz .LBB17_17
; %bb.16:
	v_ashrrev_i32_e32 v11, 31, v10
	v_lshlrev_b64 v[8:9], 3, v[10:11]
	v_mov_b32_e32 v10, s59
	v_add_co_u32_e32 v8, vcc, s58, v8
	v_addc_co_u32_e32 v9, vcc, v10, v9, vcc
	v_mov_b32_e32 v10, v0
	v_mov_b32_e32 v11, v24
	global_store_dwordx2 v[8:9], v[10:11], off
.LBB17_17:
	s_or_b64 exec, exec, s[0:1]
	v_cndmask_b32_e64 v0, 0, 1, s[4:5]
	v_cmp_ne_u32_e64 s[0:1], 1, v0
	s_andn2_b64 vcc, exec, s[4:5]
	v_mov_b32_e32 v0, 1.0
	s_cbranch_vccnz .LBB17_19
; %bb.18:
	v_div_scale_f32 v0, s[4:5], v25, v25, 1.0
	v_rcp_f32_e32 v8, v0
	v_div_scale_f32 v9, vcc, 1.0, v25, 1.0
	v_fma_f32 v10, -v0, v8, 1.0
	v_fmac_f32_e32 v8, v10, v8
	v_mul_f32_e32 v10, v9, v8
	v_fma_f32 v11, -v0, v10, v9
	v_fmac_f32_e32 v10, v11, v8
	v_fma_f32 v0, -v0, v10, v9
	v_div_fmas_f32 v0, v0, v8, v10
	v_div_fixup_f32 v0, v0, v25, 1.0
.LBB17_19:
	s_add_i32 s11, s64, 1
	v_add_u32_e32 v8, s11, v12
	v_mul_lo_u32 v8, s6, v8
	v_add_u32_e32 v8, s7, v8
	v_cvt_f32_f16_sdwa v15, v53 dst_sel:DWORD dst_unused:UNUSED_PAD src0_sel:WORD_1
	v_cvt_f32_f16_e32 v14, v53
	v_cvt_f32_f16_sdwa v17, v52 dst_sel:DWORD dst_unused:UNUSED_PAD src0_sel:WORD_1
	v_cvt_f32_f16_e32 v16, v52
	v_lshl_add_u32 v10, v8, 7, v119
	v_mov_b32_e32 v11, 0
	v_lshlrev_b64 v[10:11], 2, v[10:11]
	v_mov_b32_e32 v9, s57
	v_add_co_u32_e32 v10, vcc, s56, v10
	v_addc_co_u32_e32 v11, vcc, v9, v11, vcc
	v_pk_mul_f32 v[14:15], v[0:1], v[14:15] op_sel_hi:[0,1]
	v_pk_mul_f32 v[16:17], v[0:1], v[16:17] op_sel_hi:[0,1]
	global_store_dwordx4 v[10:11], v[14:17], off
	s_and_saveexec_b64 s[4:5], s[2:3]
	s_cbranch_execz .LBB17_21
; %bb.20:
	v_ashrrev_i32_e32 v9, 31, v8
	v_lshlrev_b64 v[8:9], 3, v[8:9]
	v_mov_b32_e32 v0, s59
	v_add_co_u32_e32 v8, vcc, s58, v8
	v_addc_co_u32_e32 v9, vcc, v0, v9, vcc
	v_mov_b32_e32 v24, v1
	global_store_dwordx2 v[8:9], v[24:25], off
.LBB17_21:
	s_or_b64 exec, exec, s[4:5]
	s_and_b64 vcc, exec, s[0:1]
	v_mov_b32_e32 v8, 1.0
	s_cbranch_vccnz .LBB17_23
; %bb.22:
	v_div_scale_f32 v0, s[4:5], v22, v22, 1.0
	v_rcp_f32_e32 v1, v0
	v_div_scale_f32 v8, vcc, 1.0, v22, 1.0
	v_fma_f32 v9, -v0, v1, 1.0
	v_fmac_f32_e32 v1, v9, v1
	v_mul_f32_e32 v9, v8, v1
	v_fma_f32 v10, -v0, v9, v8
	v_fmac_f32_e32 v9, v10, v1
	v_fma_f32 v0, -v0, v9, v8
	v_div_fmas_f32 v0, v0, v1, v9
	v_div_fixup_f32 v8, v0, v22, 1.0
.LBB17_23:
	s_add_i32 s10, s64, 2
	v_add_u32_e32 v0, s10, v12
	v_mul_lo_u32 v0, s6, v0
	v_add_u32_e32 v0, s7, v0
	v_cvt_f32_f16_sdwa v15, v51 dst_sel:DWORD dst_unused:UNUSED_PAD src0_sel:WORD_1
	v_cvt_f32_f16_e32 v14, v51
	v_cvt_f32_f16_sdwa v17, v50 dst_sel:DWORD dst_unused:UNUSED_PAD src0_sel:WORD_1
	v_cvt_f32_f16_e32 v16, v50
	v_lshl_add_u32 v10, v0, 7, v119
	v_mov_b32_e32 v11, 0
	v_lshlrev_b64 v[10:11], 2, v[10:11]
	v_mov_b32_e32 v1, s57
	v_add_co_u32_e32 v10, vcc, s56, v10
	v_addc_co_u32_e32 v11, vcc, v1, v11, vcc
	v_pk_mul_f32 v[14:15], v[8:9], v[14:15] op_sel_hi:[0,1]
	v_pk_mul_f32 v[16:17], v[8:9], v[16:17] op_sel_hi:[0,1]
	global_store_dwordx4 v[10:11], v[14:17], off
	s_and_saveexec_b64 s[4:5], s[2:3]
	s_cbranch_execz .LBB17_25
; %bb.24:
	v_ashrrev_i32_e32 v1, 31, v0
	v_lshlrev_b64 v[0:1], 3, v[0:1]
	v_mov_b32_e32 v8, s59
	v_add_co_u32_e32 v0, vcc, s58, v0
	v_addc_co_u32_e32 v1, vcc, v8, v1, vcc
	v_mov_b32_e32 v8, v2
	v_mov_b32_e32 v9, v22
	global_store_dwordx2 v[0:1], v[8:9], off
.LBB17_25:
	s_or_b64 exec, exec, s[4:5]
	s_and_b64 vcc, exec, s[0:1]
	v_mov_b32_e32 v2, 1.0
	s_cbranch_vccnz .LBB17_27
; %bb.26:
	v_div_scale_f32 v0, s[4:5], v23, v23, 1.0
	v_rcp_f32_e32 v1, v0
	v_div_scale_f32 v2, vcc, 1.0, v23, 1.0
	v_fma_f32 v8, -v0, v1, 1.0
	v_fmac_f32_e32 v1, v8, v1
	v_mul_f32_e32 v8, v2, v1
	v_fma_f32 v9, -v0, v8, v2
	v_fmac_f32_e32 v8, v9, v1
	v_fma_f32 v0, -v0, v8, v2
	v_div_fmas_f32 v0, v0, v1, v8
	v_div_fixup_f32 v2, v0, v23, 1.0
.LBB17_27:
	s_add_i32 s9, s64, 3
	v_add_u32_e32 v0, s9, v12
	v_mul_lo_u32 v0, s6, v0
	v_add_u32_e32 v0, s7, v0
	v_cvt_f32_f16_sdwa v11, v49 dst_sel:DWORD dst_unused:UNUSED_PAD src0_sel:WORD_1
	v_cvt_f32_f16_e32 v10, v49
	v_cvt_f32_f16_sdwa v13, v48 dst_sel:DWORD dst_unused:UNUSED_PAD src0_sel:WORD_1
	v_cvt_f32_f16_e32 v12, v48
	v_lshl_add_u32 v8, v0, 7, v119
	v_mov_b32_e32 v9, 0
	v_lshlrev_b64 v[8:9], 2, v[8:9]
	v_mov_b32_e32 v1, s57
	v_add_co_u32_e32 v14, vcc, s56, v8
	v_addc_co_u32_e32 v15, vcc, v1, v9, vcc
	v_pk_mul_f32 v[8:9], v[2:3], v[10:11] op_sel_hi:[0,1]
	v_pk_mul_f32 v[10:11], v[2:3], v[12:13] op_sel_hi:[0,1]
	global_store_dwordx4 v[14:15], v[8:11], off
	s_and_saveexec_b64 s[4:5], s[2:3]
	s_cbranch_execz .LBB17_29
; %bb.28:
	v_ashrrev_i32_e32 v1, 31, v0
	v_lshlrev_b64 v[0:1], 3, v[0:1]
	v_mov_b32_e32 v2, s59
	v_add_co_u32_e32 v0, vcc, s58, v0
	v_addc_co_u32_e32 v1, vcc, v2, v1, vcc
	v_mov_b32_e32 v22, v3
	global_store_dwordx2 v[0:1], v[22:23], off
.LBB17_29:
	s_or_b64 exec, exec, s[4:5]
	v_cmp_gt_i32_e32 vcc, s62, v120
	s_and_b64 exec, exec, vcc
	s_cbranch_execz .LBB17_49
; %bb.30:
	s_and_b64 vcc, exec, s[0:1]
	v_mov_b32_e32 v2, 1.0
	s_cbranch_vccnz .LBB17_32
; %bb.31:
	v_div_scale_f32 v0, s[4:5], v20, v20, 1.0
	v_rcp_f32_e32 v1, v0
	v_div_scale_f32 v2, vcc, 1.0, v20, 1.0
	v_fma_f32 v3, -v0, v1, 1.0
	v_fmac_f32_e32 v1, v3, v1
	v_mul_f32_e32 v3, v2, v1
	v_fma_f32 v8, -v0, v3, v2
	v_fmac_f32_e32 v3, v8, v1
	v_fma_f32 v0, -v0, v3, v2
	v_div_fmas_f32 v0, v0, v1, v3
	v_div_fixup_f32 v2, v0, v20, 1.0
.LBB17_32:
	v_add_u32_e32 v0, s8, v118
	v_mul_lo_u32 v0, v0, s63
	v_add_u32_e32 v0, s64, v0
	v_mul_lo_u32 v0, s6, v0
	v_add_u32_e32 v0, s7, v0
	v_cvt_f32_f16_sdwa v11, v47 dst_sel:DWORD dst_unused:UNUSED_PAD src0_sel:WORD_1
	v_cvt_f32_f16_e32 v10, v47
	v_cvt_f32_f16_sdwa v13, v46 dst_sel:DWORD dst_unused:UNUSED_PAD src0_sel:WORD_1
	v_cvt_f32_f16_e32 v12, v46
	v_lshl_add_u32 v8, v0, 7, v119
	v_mov_b32_e32 v9, 0
	v_lshlrev_b64 v[8:9], 2, v[8:9]
	v_mov_b32_e32 v1, s57
	v_add_co_u32_e32 v14, vcc, s56, v8
	v_addc_co_u32_e32 v15, vcc, v1, v9, vcc
	v_pk_mul_f32 v[8:9], v[2:3], v[10:11] op_sel_hi:[0,1]
	v_pk_mul_f32 v[10:11], v[2:3], v[12:13] op_sel_hi:[0,1]
	global_store_dwordx4 v[14:15], v[8:11], off
	s_and_saveexec_b64 s[4:5], s[2:3]
	s_cbranch_execz .LBB17_34
; %bb.33:
	v_ashrrev_i32_e32 v1, 31, v0
	v_lshlrev_b64 v[0:1], 3, v[0:1]
	v_mov_b32_e32 v2, s59
	v_add_co_u32_e32 v0, vcc, s58, v0
	v_addc_co_u32_e32 v1, vcc, v2, v1, vcc
	v_mov_b32_e32 v2, v4
	v_mov_b32_e32 v3, v20
	global_store_dwordx2 v[0:1], v[2:3], off
.LBB17_34:
	s_or_b64 exec, exec, s[4:5]
	v_cmp_gt_i32_e32 vcc, s62, v117
	s_and_b64 exec, exec, vcc
	s_cbranch_execz .LBB17_49
; %bb.35:
	s_and_b64 vcc, exec, s[0:1]
	v_mov_b32_e32 v2, 1.0
	s_cbranch_vccnz .LBB17_37
; %bb.36:
	v_div_scale_f32 v0, s[4:5], v21, v21, 1.0
	v_rcp_f32_e32 v1, v0
	v_div_scale_f32 v2, vcc, 1.0, v21, 1.0
	v_fma_f32 v3, -v0, v1, 1.0
	v_fmac_f32_e32 v1, v3, v1
	v_mul_f32_e32 v3, v2, v1
	v_fma_f32 v4, -v0, v3, v2
	v_fmac_f32_e32 v3, v4, v1
	v_fma_f32 v0, -v0, v3, v2
	v_div_fmas_f32 v0, v0, v1, v3
	v_div_fixup_f32 v2, v0, v21, 1.0
.LBB17_37:
	v_add_u32_e32 v0, s8, v116
	v_mul_lo_u32 v0, v0, s63
	v_add_u32_e32 v0, s11, v0
	v_mul_lo_u32 v0, s6, v0
	v_add_u32_e32 v0, s7, v0
	v_cvt_f32_f16_sdwa v11, v45 dst_sel:DWORD dst_unused:UNUSED_PAD src0_sel:WORD_1
	v_cvt_f32_f16_e32 v10, v45
	v_cvt_f32_f16_sdwa v13, v44 dst_sel:DWORD dst_unused:UNUSED_PAD src0_sel:WORD_1
	v_cvt_f32_f16_e32 v12, v44
	v_lshl_add_u32 v8, v0, 7, v119
	v_mov_b32_e32 v9, 0
	v_lshlrev_b64 v[8:9], 2, v[8:9]
	v_mov_b32_e32 v1, s57
	v_add_co_u32_e32 v14, vcc, s56, v8
	v_addc_co_u32_e32 v15, vcc, v1, v9, vcc
	v_pk_mul_f32 v[8:9], v[2:3], v[10:11] op_sel_hi:[0,1]
	v_pk_mul_f32 v[10:11], v[2:3], v[12:13] op_sel_hi:[0,1]
	global_store_dwordx4 v[14:15], v[8:11], off
	s_and_saveexec_b64 s[4:5], s[2:3]
	s_cbranch_execz .LBB17_39
; %bb.38:
	v_ashrrev_i32_e32 v1, 31, v0
	v_lshlrev_b64 v[0:1], 3, v[0:1]
	v_mov_b32_e32 v2, s59
	v_add_co_u32_e32 v0, vcc, s58, v0
	v_addc_co_u32_e32 v1, vcc, v2, v1, vcc
	v_mov_b32_e32 v20, v5
	global_store_dwordx2 v[0:1], v[20:21], off
.LBB17_39:
	s_or_b64 exec, exec, s[4:5]
	v_cmp_gt_i32_e32 vcc, s62, v115
	s_and_b64 exec, exec, vcc
	s_cbranch_execz .LBB17_49
; %bb.40:
	s_and_b64 vcc, exec, s[0:1]
	v_mov_b32_e32 v2, 1.0
	s_cbranch_vccnz .LBB17_42
; %bb.41:
	v_div_scale_f32 v0, s[4:5], v18, v18, 1.0
	v_rcp_f32_e32 v1, v0
	v_div_scale_f32 v2, vcc, 1.0, v18, 1.0
	v_fma_f32 v3, -v0, v1, 1.0
	v_fmac_f32_e32 v1, v3, v1
	v_mul_f32_e32 v3, v2, v1
	v_fma_f32 v4, -v0, v3, v2
	v_fmac_f32_e32 v3, v4, v1
	v_fma_f32 v0, -v0, v3, v2
	v_div_fmas_f32 v0, v0, v1, v3
	v_div_fixup_f32 v2, v0, v18, 1.0
.LBB17_42:
	v_add_u32_e32 v0, s8, v114
	v_mul_lo_u32 v0, v0, s63
	v_add_u32_e32 v0, s10, v0
	v_mul_lo_u32 v0, s6, v0
	v_add_u32_e32 v0, s7, v0
	v_cvt_f32_f16_sdwa v9, v43 dst_sel:DWORD dst_unused:UNUSED_PAD src0_sel:WORD_1
	v_cvt_f32_f16_e32 v8, v43
	v_cvt_f32_f16_sdwa v11, v42 dst_sel:DWORD dst_unused:UNUSED_PAD src0_sel:WORD_1
	v_cvt_f32_f16_e32 v10, v42
	v_lshl_add_u32 v4, v0, 7, v119
	v_mov_b32_e32 v5, 0
	v_lshlrev_b64 v[4:5], 2, v[4:5]
	v_mov_b32_e32 v1, s57
	v_add_co_u32_e32 v4, vcc, s56, v4
	v_addc_co_u32_e32 v5, vcc, v1, v5, vcc
	v_pk_mul_f32 v[8:9], v[2:3], v[8:9] op_sel_hi:[0,1]
	v_pk_mul_f32 v[10:11], v[2:3], v[10:11] op_sel_hi:[0,1]
	global_store_dwordx4 v[4:5], v[8:11], off
	s_and_saveexec_b64 s[4:5], s[2:3]
	s_cbranch_execz .LBB17_44
; %bb.43:
	v_ashrrev_i32_e32 v1, 31, v0
	v_lshlrev_b64 v[0:1], 3, v[0:1]
	v_mov_b32_e32 v2, s59
	v_add_co_u32_e32 v0, vcc, s58, v0
	v_addc_co_u32_e32 v1, vcc, v2, v1, vcc
	v_mov_b32_e32 v2, v6
	v_mov_b32_e32 v3, v18
	global_store_dwordx2 v[0:1], v[2:3], off
.LBB17_44:
	s_or_b64 exec, exec, s[4:5]
	v_cmp_gt_i32_e32 vcc, s62, v113
	s_and_b64 exec, exec, vcc
	s_cbranch_execz .LBB17_49
; %bb.45:
	s_and_b64 vcc, exec, s[0:1]
	v_mov_b32_e32 v2, 1.0
	s_cbranch_vccnz .LBB17_47
; %bb.46:
	v_div_scale_f32 v0, s[0:1], v19, v19, 1.0
	v_rcp_f32_e32 v1, v0
	v_div_scale_f32 v2, vcc, 1.0, v19, 1.0
	v_fma_f32 v3, -v0, v1, 1.0
	v_fmac_f32_e32 v1, v3, v1
	v_mul_f32_e32 v3, v2, v1
	v_fma_f32 v4, -v0, v3, v2
	v_fmac_f32_e32 v3, v4, v1
	v_fma_f32 v0, -v0, v3, v2
	v_div_fmas_f32 v0, v0, v1, v3
	v_div_fixup_f32 v2, v0, v19, 1.0
.LBB17_47:
	v_add_u32_e32 v0, s8, v112
	v_mul_lo_u32 v0, v0, s63
	v_add_u32_e32 v0, s9, v0
	v_mul_lo_u32 v0, s6, v0
	v_add_u32_e32 v0, s7, v0
	v_cvt_f32_f16_sdwa v9, v41 dst_sel:DWORD dst_unused:UNUSED_PAD src0_sel:WORD_1
	v_cvt_f32_f16_e32 v8, v41
	v_cvt_f32_f16_sdwa v11, v40 dst_sel:DWORD dst_unused:UNUSED_PAD src0_sel:WORD_1
	v_cvt_f32_f16_e32 v10, v40
	v_lshl_add_u32 v4, v0, 7, v119
	v_mov_b32_e32 v5, 0
	v_lshlrev_b64 v[4:5], 2, v[4:5]
	v_mov_b32_e32 v1, s57
	v_add_co_u32_e32 v4, vcc, s56, v4
	v_addc_co_u32_e32 v5, vcc, v1, v5, vcc
	v_pk_mul_f32 v[8:9], v[2:3], v[8:9] op_sel_hi:[0,1]
	v_pk_mul_f32 v[10:11], v[2:3], v[10:11] op_sel_hi:[0,1]
	global_store_dwordx4 v[4:5], v[8:11], off
	s_and_b64 exec, exec, s[2:3]
	s_cbranch_execz .LBB17_49
; %bb.48:
	v_ashrrev_i32_e32 v1, 31, v0
	v_lshlrev_b64 v[0:1], 3, v[0:1]
	v_mov_b32_e32 v2, s59
	v_add_co_u32_e32 v0, vcc, s58, v0
	v_addc_co_u32_e32 v1, vcc, v2, v1, vcc
	v_mov_b32_e32 v18, v7
	global_store_dwordx2 v[0:1], v[18:19], off
.LBB17_49:
	s_endpgm
	.section	.rodata,"a",@progbits
	.p2align	6, 0x0
	.amdhsa_kernel _ZL15flash_attn_tileILi128ELi128ELi16ELi4ELb0EEvPKcS1_S1_S1_S1_PKiPfP15HIP_vector_typeIfLj2EEffffjfiS5_IjLj3EEiiiiiiiiiiiliiliiiiil
		.amdhsa_group_segment_fixed_size 29696
		.amdhsa_private_segment_fixed_size 0
		.amdhsa_kernarg_size 464
		.amdhsa_user_sgpr_count 6
		.amdhsa_user_sgpr_private_segment_buffer 1
		.amdhsa_user_sgpr_dispatch_ptr 0
		.amdhsa_user_sgpr_queue_ptr 0
		.amdhsa_user_sgpr_kernarg_segment_ptr 1
		.amdhsa_user_sgpr_dispatch_id 0
		.amdhsa_user_sgpr_flat_scratch_init 0
		.amdhsa_user_sgpr_kernarg_preload_length 0
		.amdhsa_user_sgpr_kernarg_preload_offset 0
		.amdhsa_user_sgpr_private_segment_size 0
		.amdhsa_uses_dynamic_stack 0
		.amdhsa_system_sgpr_private_segment_wavefront_offset 0
		.amdhsa_system_sgpr_workgroup_id_x 1
		.amdhsa_system_sgpr_workgroup_id_y 1
		.amdhsa_system_sgpr_workgroup_id_z 1
		.amdhsa_system_sgpr_workgroup_info 0
		.amdhsa_system_vgpr_workitem_id 1
		.amdhsa_next_free_vgpr 173
		.amdhsa_next_free_sgpr 70
		.amdhsa_accum_offset 176
		.amdhsa_reserve_vcc 1
		.amdhsa_reserve_flat_scratch 0
		.amdhsa_float_round_mode_32 0
		.amdhsa_float_round_mode_16_64 0
		.amdhsa_float_denorm_mode_32 3
		.amdhsa_float_denorm_mode_16_64 3
		.amdhsa_dx10_clamp 1
		.amdhsa_ieee_mode 1
		.amdhsa_fp16_overflow 0
		.amdhsa_tg_split 0
		.amdhsa_exception_fp_ieee_invalid_op 0
		.amdhsa_exception_fp_denorm_src 0
		.amdhsa_exception_fp_ieee_div_zero 0
		.amdhsa_exception_fp_ieee_overflow 0
		.amdhsa_exception_fp_ieee_underflow 0
		.amdhsa_exception_fp_ieee_inexact 0
		.amdhsa_exception_int_div_zero 0
	.end_amdhsa_kernel
	.section	.text._ZL15flash_attn_tileILi128ELi128ELi16ELi4ELb0EEvPKcS1_S1_S1_S1_PKiPfP15HIP_vector_typeIfLj2EEffffjfiS5_IjLj3EEiiiiiiiiiiiliiliiiiil,"axG",@progbits,_ZL15flash_attn_tileILi128ELi128ELi16ELi4ELb0EEvPKcS1_S1_S1_S1_PKiPfP15HIP_vector_typeIfLj2EEffffjfiS5_IjLj3EEiiiiiiiiiiiliiliiiiil,comdat
.Lfunc_end17:
	.size	_ZL15flash_attn_tileILi128ELi128ELi16ELi4ELb0EEvPKcS1_S1_S1_S1_PKiPfP15HIP_vector_typeIfLj2EEffffjfiS5_IjLj3EEiiiiiiiiiiiliiliiiiil, .Lfunc_end17-_ZL15flash_attn_tileILi128ELi128ELi16ELi4ELb0EEvPKcS1_S1_S1_S1_PKiPfP15HIP_vector_typeIfLj2EEffffjfiS5_IjLj3EEiiiiiiiiiiiliiliiiiil
                                        ; -- End function
	.section	.AMDGPU.csdata,"",@progbits
; Kernel info:
; codeLenInByte = 29988
; NumSgprs: 74
; NumVgprs: 173
; NumAgprs: 0
; TotalNumVgprs: 173
; ScratchSize: 0
; MemoryBound: 0
; FloatMode: 240
; IeeeMode: 1
; LDSByteSize: 29696 bytes/workgroup (compile time only)
; SGPRBlocks: 9
; VGPRBlocks: 21
; NumSGPRsForWavesPerEU: 74
; NumVGPRsForWavesPerEU: 173
; AccumOffset: 176
; Occupancy: 2
; WaveLimiterHint : 1
; COMPUTE_PGM_RSRC2:SCRATCH_EN: 0
; COMPUTE_PGM_RSRC2:USER_SGPR: 6
; COMPUTE_PGM_RSRC2:TRAP_HANDLER: 0
; COMPUTE_PGM_RSRC2:TGID_X_EN: 1
; COMPUTE_PGM_RSRC2:TGID_Y_EN: 1
; COMPUTE_PGM_RSRC2:TGID_Z_EN: 1
; COMPUTE_PGM_RSRC2:TIDIG_COMP_CNT: 1
; COMPUTE_PGM_RSRC3_GFX90A:ACCUM_OFFSET: 43
; COMPUTE_PGM_RSRC3_GFX90A:TG_SPLIT: 0
	.section	.text._ZL25flash_attn_mask_to_KV_maxILi16EEvPK7__half2Piiii,"axG",@progbits,_ZL25flash_attn_mask_to_KV_maxILi16EEvPK7__half2Piiii,comdat
	.globl	_ZL25flash_attn_mask_to_KV_maxILi16EEvPK7__half2Piiii ; -- Begin function _ZL25flash_attn_mask_to_KV_maxILi16EEvPK7__half2Piiii
	.p2align	8
	.type	_ZL25flash_attn_mask_to_KV_maxILi16EEvPK7__half2Piiii,@function
_ZL25flash_attn_mask_to_KV_maxILi16EEvPK7__half2Piiii: ; @_ZL25flash_attn_mask_to_KV_maxILi16EEvPK7__half2Piiii
; %bb.0:
	s_load_dwordx4 s[8:11], s[4:5], 0x0
	v_cmp_gt_u32_e32 vcc, 32, v0
	s_and_saveexec_b64 s[0:1], vcc
	s_cbranch_execz .LBB18_2
; %bb.1:
	v_lshlrev_b32_e32 v1, 2, v0
	v_mov_b32_e32 v2, 1
	ds_write_b32 v1, v2
.LBB18_2:
	s_or_b64 exec, exec, s[0:1]
	s_load_dwordx4 s[12:15], s[4:5], 0x10
	s_load_dword s33, s[4:5], 0x20
	v_and_b32_e32 v2, 31, v0
	v_lshlrev_b32_e32 v6, 2, v2
	v_lshrrev_b32_e32 v1, 3, v0
	s_waitcnt lgkmcnt(0)
	s_mul_i32 s1, s6, s13
	s_mul_i32 s0, s7, s14
	s_lshl_b32 s1, s1, 4
	s_add_i32 s0, s0, s1
	s_ashr_i32 s1, s0, 31
	s_lshl_b64 s[0:1], s[0:1], 2
	s_add_u32 s74, s8, s0
	s_addc_u32 s75, s9, s1
	v_cmp_eq_u32_e64 s[0:1], 0, v2
	v_mbcnt_lo_u32_b32 v2, -1, 0
	s_lshl_b32 s12, s12, 8
	s_mov_b64 s[4:5], 0
	v_mov_b32_e32 v3, 0
	s_movk_i32 s76, 0x204
	s_movk_i32 s77, 0x7fff
	;; [unrolled: 1-line block ×3, first 2 shown]
	v_mbcnt_hi_u32_b32 v7, -1, v2
	s_barrier
	s_waitcnt lgkmcnt(0)
                                        ; implicit-def: $sgpr2_sgpr3
	s_branch .LBB18_5
.LBB18_3:                               ;   in Loop: Header=BB18_5 Depth=1
	s_or_b64 exec, exec, s[8:9]
	s_waitcnt lgkmcnt(0)
	s_barrier
	ds_read_b32 v10, v6
	s_waitcnt lgkmcnt(0)
	s_barrier
	ds_bpermute_b32 v2, v2, v10
	v_cmp_ne_u32_e32 vcc, 0, v10
	s_waitcnt lgkmcnt(0)
	v_cmp_ne_u32_e64 s[2:3], 0, v2
	s_and_b64 s[2:3], vcc, s[2:3]
	v_cndmask_b32_e64 v2, 0, 1, s[2:3]
	ds_bpermute_b32 v2, v4, v2
	s_waitcnt lgkmcnt(0)
	v_cmp_ne_u32_e32 vcc, 0, v2
	s_and_b64 s[2:3], vcc, s[2:3]
	v_cndmask_b32_e64 v2, 0, 1, s[2:3]
	ds_bpermute_b32 v2, v5, v2
	s_waitcnt lgkmcnt(0)
	v_cmp_ne_u32_e32 vcc, 0, v2
	;; [unrolled: 5-line block ×3, first 2 shown]
	s_and_b64 s[2:3], vcc, s[2:3]
	v_cndmask_b32_e64 v2, 0, 1, s[2:3]
	ds_bpermute_b32 v2, v9, v2
	s_xor_b64 s[2:3], s[2:3], -1
	s_waitcnt lgkmcnt(0)
	v_cmp_eq_u32_e32 vcc, 0, v2
	s_or_b64 s[2:3], vcc, s[2:3]
.LBB18_4:                               ;   in Loop: Header=BB18_5 Depth=1
	s_and_b64 s[8:9], exec, s[2:3]
	s_or_b64 s[4:5], s[8:9], s[4:5]
	v_mov_b32_e32 v2, s12
	s_mov_b32 s12, s79
	s_andn2_b64 exec, exec, s[4:5]
	s_cbranch_execz .LBB18_68
.LBB18_5:                               ; =>This Inner Loop Header: Depth=1
	s_add_i32 s79, s12, 0xffffff00
	s_or_b64 s[2:3], s[2:3], exec
	s_cmp_lt_i32 s79, 0
	s_cbranch_scc1 .LBB18_4
; %bb.6:                                ;   in Loop: Header=BB18_5 Depth=1
	s_lshr_b32 s2, s79, 1
	v_add_u32_e32 v2, s2, v0
	v_lshlrev_b64 v[4:5], 2, v[2:3]
	v_mov_b32_e32 v8, s75
	v_add_co_u32_e32 v4, vcc, s74, v4
	v_addc_co_u32_e32 v5, vcc, v8, v5, vcc
	global_load_dword v4, v[4:5], off
	s_mov_b64 s[8:9], 0
	s_waitcnt vmcnt(0)
	v_cmp_class_f16_e64 s[2:3], v4, s76
	v_and_b32_sdwa v4, s77, v4 dst_sel:DWORD dst_unused:UNUSED_PAD src0_sel:DWORD src1_sel:WORD_1
	v_cmp_eq_f16_e32 vcc, s78, v4
	s_and_b64 s[14:15], s[2:3], vcc
	s_and_saveexec_b64 s[2:3], s[14:15]
	s_cbranch_execz .LBB18_66
; %bb.7:                                ;   in Loop: Header=BB18_5 Depth=1
	v_add_u32_e32 v4, s13, v2
	v_ashrrev_i32_e32 v5, 31, v4
	v_lshlrev_b64 v[8:9], 2, v[4:5]
	v_mov_b32_e32 v2, s75
	v_add_co_u32_e32 v8, vcc, s74, v8
	v_addc_co_u32_e32 v9, vcc, v2, v9, vcc
	global_load_dword v2, v[8:9], off
	s_mov_b64 s[14:15], 0
	s_waitcnt vmcnt(0)
	v_cmp_class_f16_e64 s[16:17], v2, s76
	s_and_saveexec_b64 s[8:9], s[16:17]
	s_cbranch_execz .LBB18_65
; %bb.8:                                ;   in Loop: Header=BB18_5 Depth=1
	v_cmp_class_f16_sdwa s[18:19], v2, s76 src0_sel:WORD_1 src1_sel:DWORD
	s_mov_b64 s[16:17], 0
	s_and_saveexec_b64 s[14:15], s[18:19]
	s_cbranch_execz .LBB18_64
; %bb.9:                                ;   in Loop: Header=BB18_5 Depth=1
	v_add_u32_e32 v4, s13, v4
	v_ashrrev_i32_e32 v5, 31, v4
	v_lshlrev_b64 v[8:9], 2, v[4:5]
	v_mov_b32_e32 v2, s75
	v_add_co_u32_e32 v8, vcc, s74, v8
	v_addc_co_u32_e32 v9, vcc, v2, v9, vcc
	global_load_dword v2, v[8:9], off
	s_mov_b64 s[18:19], 0
	s_waitcnt vmcnt(0)
	v_cmp_class_f16_e64 s[20:21], v2, s76
	s_and_saveexec_b64 s[16:17], s[20:21]
	s_cbranch_execz .LBB18_63
; %bb.10:                               ;   in Loop: Header=BB18_5 Depth=1
	v_cmp_class_f16_sdwa s[22:23], v2, s76 src0_sel:WORD_1 src1_sel:DWORD
	s_mov_b64 s[20:21], 0
	s_and_saveexec_b64 s[18:19], s[22:23]
	s_cbranch_execz .LBB18_62
; %bb.11:                               ;   in Loop: Header=BB18_5 Depth=1
	v_add_u32_e32 v4, s13, v4
	v_ashrrev_i32_e32 v5, 31, v4
	v_lshlrev_b64 v[8:9], 2, v[4:5]
	v_mov_b32_e32 v2, s75
	v_add_co_u32_e32 v8, vcc, s74, v8
	v_addc_co_u32_e32 v9, vcc, v2, v9, vcc
	global_load_dword v2, v[8:9], off
	s_mov_b64 s[22:23], 0
	s_waitcnt vmcnt(0)
	v_cmp_class_f16_e64 s[24:25], v2, s76
	s_and_saveexec_b64 s[20:21], s[24:25]
	s_cbranch_execz .LBB18_61
; %bb.12:                               ;   in Loop: Header=BB18_5 Depth=1
	v_cmp_class_f16_sdwa s[26:27], v2, s76 src0_sel:WORD_1 src1_sel:DWORD
	s_mov_b64 s[24:25], 0
	s_and_saveexec_b64 s[22:23], s[26:27]
	s_cbranch_execz .LBB18_60
; %bb.13:                               ;   in Loop: Header=BB18_5 Depth=1
	;; [unrolled: 18-line block ×13, first 2 shown]
	v_add_u32_e32 v4, s13, v4
	v_ashrrev_i32_e32 v5, 31, v4
	v_lshlrev_b64 v[4:5], 2, v[4:5]
	v_mov_b32_e32 v2, s75
	v_add_co_u32_e32 v4, vcc, s74, v4
	v_addc_co_u32_e32 v5, vcc, v2, v5, vcc
	global_load_dword v2, v[4:5], off
	s_waitcnt vmcnt(0)
	v_cmp_class_f16_e64 s[80:81], v2, s76
	s_and_saveexec_b64 s[72:73], s[80:81]
; %bb.36:                               ;   in Loop: Header=BB18_5 Depth=1
	v_cmp_class_f16_sdwa s[70:71], v2, s76 src0_sel:WORD_1 src1_sel:DWORD
	s_and_b64 s[70:71], s[70:71], exec
; %bb.37:                               ;   in Loop: Header=BB18_5 Depth=1
	s_or_b64 exec, exec, s[72:73]
	s_and_b64 s[70:71], s[70:71], exec
.LBB18_38:                              ;   in Loop: Header=BB18_5 Depth=1
	s_or_b64 exec, exec, s[68:69]
	s_and_b64 s[68:69], s[70:71], exec
.LBB18_39:                              ;   in Loop: Header=BB18_5 Depth=1
	s_or_b64 exec, exec, s[66:67]
	s_and_b64 s[66:67], s[68:69], exec
.LBB18_40:                              ;   in Loop: Header=BB18_5 Depth=1
	s_or_b64 exec, exec, s[64:65]
	s_and_b64 s[64:65], s[66:67], exec
.LBB18_41:                              ;   in Loop: Header=BB18_5 Depth=1
	s_or_b64 exec, exec, s[62:63]
	s_and_b64 s[62:63], s[64:65], exec
.LBB18_42:                              ;   in Loop: Header=BB18_5 Depth=1
	s_or_b64 exec, exec, s[60:61]
	s_and_b64 s[60:61], s[62:63], exec
.LBB18_43:                              ;   in Loop: Header=BB18_5 Depth=1
	s_or_b64 exec, exec, s[58:59]
	s_and_b64 s[58:59], s[60:61], exec
.LBB18_44:                              ;   in Loop: Header=BB18_5 Depth=1
	s_or_b64 exec, exec, s[56:57]
	s_and_b64 s[56:57], s[58:59], exec
.LBB18_45:                              ;   in Loop: Header=BB18_5 Depth=1
	s_or_b64 exec, exec, s[54:55]
	s_and_b64 s[54:55], s[56:57], exec
.LBB18_46:                              ;   in Loop: Header=BB18_5 Depth=1
	s_or_b64 exec, exec, s[52:53]
	s_and_b64 s[52:53], s[54:55], exec
.LBB18_47:                              ;   in Loop: Header=BB18_5 Depth=1
	s_or_b64 exec, exec, s[50:51]
	s_and_b64 s[50:51], s[52:53], exec
.LBB18_48:                              ;   in Loop: Header=BB18_5 Depth=1
	s_or_b64 exec, exec, s[48:49]
	s_and_b64 s[48:49], s[50:51], exec
.LBB18_49:                              ;   in Loop: Header=BB18_5 Depth=1
	s_or_b64 exec, exec, s[46:47]
	s_and_b64 s[46:47], s[48:49], exec
.LBB18_50:                              ;   in Loop: Header=BB18_5 Depth=1
	s_or_b64 exec, exec, s[44:45]
	s_and_b64 s[44:45], s[46:47], exec
.LBB18_51:                              ;   in Loop: Header=BB18_5 Depth=1
	s_or_b64 exec, exec, s[42:43]
	s_and_b64 s[42:43], s[44:45], exec
.LBB18_52:                              ;   in Loop: Header=BB18_5 Depth=1
	s_or_b64 exec, exec, s[40:41]
	s_and_b64 s[40:41], s[42:43], exec
.LBB18_53:                              ;   in Loop: Header=BB18_5 Depth=1
	s_or_b64 exec, exec, s[38:39]
	s_and_b64 s[38:39], s[40:41], exec
.LBB18_54:                              ;   in Loop: Header=BB18_5 Depth=1
	s_or_b64 exec, exec, s[36:37]
	s_and_b64 s[36:37], s[38:39], exec
.LBB18_55:                              ;   in Loop: Header=BB18_5 Depth=1
	s_or_b64 exec, exec, s[34:35]
	s_and_b64 s[34:35], s[36:37], exec
.LBB18_56:                              ;   in Loop: Header=BB18_5 Depth=1
	s_or_b64 exec, exec, s[30:31]
	s_and_b64 s[30:31], s[34:35], exec
.LBB18_57:                              ;   in Loop: Header=BB18_5 Depth=1
	s_or_b64 exec, exec, s[28:29]
	s_and_b64 s[28:29], s[30:31], exec
.LBB18_58:                              ;   in Loop: Header=BB18_5 Depth=1
	s_or_b64 exec, exec, s[26:27]
	s_and_b64 s[26:27], s[28:29], exec
.LBB18_59:                              ;   in Loop: Header=BB18_5 Depth=1
	s_or_b64 exec, exec, s[24:25]
	s_and_b64 s[24:25], s[26:27], exec
.LBB18_60:                              ;   in Loop: Header=BB18_5 Depth=1
	s_or_b64 exec, exec, s[22:23]
	s_and_b64 s[22:23], s[24:25], exec
.LBB18_61:                              ;   in Loop: Header=BB18_5 Depth=1
	s_or_b64 exec, exec, s[20:21]
	s_and_b64 s[20:21], s[22:23], exec
.LBB18_62:                              ;   in Loop: Header=BB18_5 Depth=1
	s_or_b64 exec, exec, s[18:19]
	s_and_b64 s[18:19], s[20:21], exec
.LBB18_63:                              ;   in Loop: Header=BB18_5 Depth=1
	s_or_b64 exec, exec, s[16:17]
	s_and_b64 s[16:17], s[18:19], exec
.LBB18_64:                              ;   in Loop: Header=BB18_5 Depth=1
	s_or_b64 exec, exec, s[14:15]
	s_and_b64 s[14:15], s[16:17], exec
.LBB18_65:                              ;   in Loop: Header=BB18_5 Depth=1
	s_or_b64 exec, exec, s[8:9]
	s_and_b64 s[8:9], s[14:15], exec
.LBB18_66:                              ;   in Loop: Header=BB18_5 Depth=1
	s_or_b64 exec, exec, s[2:3]
	v_and_b32_e32 v2, 0x60, v7
	v_add_u32_e32 v9, 32, v2
	v_xor_b32_e32 v2, 16, v7
	v_cmp_lt_i32_e32 vcc, v2, v9
	v_cndmask_b32_e32 v2, v7, v2, vcc
	v_cndmask_b32_e64 v4, 0, 1, s[8:9]
	v_lshlrev_b32_e32 v2, 2, v2
	ds_bpermute_b32 v4, v2, v4
	v_xor_b32_e32 v11, 1, v7
	s_waitcnt lgkmcnt(0)
	v_cmp_ne_u32_e32 vcc, 0, v4
	v_xor_b32_e32 v4, 8, v7
	s_and_b64 s[2:3], s[8:9], vcc
	v_cmp_lt_i32_e32 vcc, v4, v9
	v_cndmask_b32_e32 v4, v7, v4, vcc
	v_cndmask_b32_e64 v5, 0, 1, s[2:3]
	v_lshlrev_b32_e32 v4, 2, v4
	ds_bpermute_b32 v5, v4, v5
	s_waitcnt lgkmcnt(0)
	v_cmp_ne_u32_e32 vcc, 0, v5
	v_xor_b32_e32 v5, 4, v7
	s_and_b64 s[2:3], vcc, s[2:3]
	v_cmp_lt_i32_e32 vcc, v5, v9
	v_cndmask_b32_e32 v5, v7, v5, vcc
	v_cndmask_b32_e64 v8, 0, 1, s[2:3]
	v_lshlrev_b32_e32 v5, 2, v5
	ds_bpermute_b32 v8, v5, v8
	s_waitcnt lgkmcnt(0)
	v_cmp_ne_u32_e32 vcc, 0, v8
	v_xor_b32_e32 v8, 2, v7
	s_and_b64 s[2:3], vcc, s[2:3]
	v_cmp_lt_i32_e32 vcc, v8, v9
	v_cndmask_b32_e32 v8, v7, v8, vcc
	v_cndmask_b32_e64 v10, 0, 1, s[2:3]
	v_lshlrev_b32_e32 v8, 2, v8
	ds_bpermute_b32 v10, v8, v10
	s_waitcnt lgkmcnt(0)
	v_cmp_ne_u32_e32 vcc, 0, v10
	s_and_b64 s[2:3], vcc, s[2:3]
	v_cmp_lt_i32_e32 vcc, v11, v9
	v_cndmask_b32_e32 v9, v7, v11, vcc
	v_cndmask_b32_e64 v10, 0, 1, s[2:3]
	v_lshlrev_b32_e32 v9, 2, v9
	ds_bpermute_b32 v10, v9, v10
	s_and_saveexec_b64 s[8:9], s[0:1]
	s_cbranch_execz .LBB18_3
; %bb.67:                               ;   in Loop: Header=BB18_5 Depth=1
	s_waitcnt lgkmcnt(0)
	v_cmp_ne_u32_e32 vcc, 0, v10
	s_and_b64 s[2:3], vcc, s[2:3]
	v_cndmask_b32_e64 v10, 0, 1, s[2:3]
	ds_write_b32 v1, v10
	s_branch .LBB18_3
.LBB18_68:
	s_or_b64 exec, exec, s[4:5]
	v_cmp_eq_u32_e32 vcc, 0, v0
	s_and_saveexec_b64 s[0:1], vcc
	s_cbranch_execz .LBB18_70
; %bb.69:
	s_mul_i32 s0, s33, s7
	s_add_i32 s0, s0, s6
	s_ashr_i32 s1, s0, 31
	s_lshl_b64 s[0:1], s[0:1], 2
	s_add_u32 s0, s10, s0
	s_addc_u32 s1, s11, s1
	v_mov_b32_e32 v0, 0
	global_store_dword v0, v2, s[0:1]
.LBB18_70:
	s_endpgm
	.section	.rodata,"a",@progbits
	.p2align	6, 0x0
	.amdhsa_kernel _ZL25flash_attn_mask_to_KV_maxILi16EEvPK7__half2Piiii
		.amdhsa_group_segment_fixed_size 128
		.amdhsa_private_segment_fixed_size 0
		.amdhsa_kernarg_size 288
		.amdhsa_user_sgpr_count 6
		.amdhsa_user_sgpr_private_segment_buffer 1
		.amdhsa_user_sgpr_dispatch_ptr 0
		.amdhsa_user_sgpr_queue_ptr 0
		.amdhsa_user_sgpr_kernarg_segment_ptr 1
		.amdhsa_user_sgpr_dispatch_id 0
		.amdhsa_user_sgpr_flat_scratch_init 0
		.amdhsa_user_sgpr_kernarg_preload_length 0
		.amdhsa_user_sgpr_kernarg_preload_offset 0
		.amdhsa_user_sgpr_private_segment_size 0
		.amdhsa_uses_dynamic_stack 0
		.amdhsa_system_sgpr_private_segment_wavefront_offset 0
		.amdhsa_system_sgpr_workgroup_id_x 1
		.amdhsa_system_sgpr_workgroup_id_y 1
		.amdhsa_system_sgpr_workgroup_id_z 0
		.amdhsa_system_sgpr_workgroup_info 0
		.amdhsa_system_vgpr_workitem_id 0
		.amdhsa_next_free_vgpr 12
		.amdhsa_next_free_sgpr 82
		.amdhsa_accum_offset 12
		.amdhsa_reserve_vcc 1
		.amdhsa_reserve_flat_scratch 0
		.amdhsa_float_round_mode_32 0
		.amdhsa_float_round_mode_16_64 0
		.amdhsa_float_denorm_mode_32 3
		.amdhsa_float_denorm_mode_16_64 3
		.amdhsa_dx10_clamp 1
		.amdhsa_ieee_mode 1
		.amdhsa_fp16_overflow 0
		.amdhsa_tg_split 0
		.amdhsa_exception_fp_ieee_invalid_op 0
		.amdhsa_exception_fp_denorm_src 0
		.amdhsa_exception_fp_ieee_div_zero 0
		.amdhsa_exception_fp_ieee_overflow 0
		.amdhsa_exception_fp_ieee_underflow 0
		.amdhsa_exception_fp_ieee_inexact 0
		.amdhsa_exception_int_div_zero 0
	.end_amdhsa_kernel
	.section	.text._ZL25flash_attn_mask_to_KV_maxILi16EEvPK7__half2Piiii,"axG",@progbits,_ZL25flash_attn_mask_to_KV_maxILi16EEvPK7__half2Piiii,comdat
.Lfunc_end18:
	.size	_ZL25flash_attn_mask_to_KV_maxILi16EEvPK7__half2Piiii, .Lfunc_end18-_ZL25flash_attn_mask_to_KV_maxILi16EEvPK7__half2Piiii
                                        ; -- End function
	.section	.AMDGPU.csdata,"",@progbits
; Kernel info:
; codeLenInByte = 2192
; NumSgprs: 86
; NumVgprs: 12
; NumAgprs: 0
; TotalNumVgprs: 12
; ScratchSize: 0
; MemoryBound: 0
; FloatMode: 240
; IeeeMode: 1
; LDSByteSize: 128 bytes/workgroup (compile time only)
; SGPRBlocks: 10
; VGPRBlocks: 1
; NumSGPRsForWavesPerEU: 86
; NumVGPRsForWavesPerEU: 12
; AccumOffset: 12
; Occupancy: 8
; WaveLimiterHint : 0
; COMPUTE_PGM_RSRC2:SCRATCH_EN: 0
; COMPUTE_PGM_RSRC2:USER_SGPR: 6
; COMPUTE_PGM_RSRC2:TRAP_HANDLER: 0
; COMPUTE_PGM_RSRC2:TGID_X_EN: 1
; COMPUTE_PGM_RSRC2:TGID_Y_EN: 1
; COMPUTE_PGM_RSRC2:TGID_Z_EN: 0
; COMPUTE_PGM_RSRC2:TIDIG_COMP_CNT: 0
; COMPUTE_PGM_RSRC3_GFX90A:ACCUM_OFFSET: 2
; COMPUTE_PGM_RSRC3_GFX90A:TG_SPLIT: 0
	.section	.text._ZL33flash_attn_stream_k_fixup_uniformILi128ELi16ELi4EEvPfPK15HIP_vector_typeIfLj2EEiiiiiiS1_IjLj3EES5_S5_,"axG",@progbits,_ZL33flash_attn_stream_k_fixup_uniformILi128ELi16ELi4EEvPfPK15HIP_vector_typeIfLj2EEiiiiiiS1_IjLj3EES5_S5_,comdat
	.globl	_ZL33flash_attn_stream_k_fixup_uniformILi128ELi16ELi4EEvPfPK15HIP_vector_typeIfLj2EEiiiiiiS1_IjLj3EES5_S5_ ; -- Begin function _ZL33flash_attn_stream_k_fixup_uniformILi128ELi16ELi4EEvPfPK15HIP_vector_typeIfLj2EEiiiiiiS1_IjLj3EES5_S5_
	.p2align	8
	.type	_ZL33flash_attn_stream_k_fixup_uniformILi128ELi16ELi4EEvPfPK15HIP_vector_typeIfLj2EEiiiiiiS1_IjLj3EES5_S5_,@function
_ZL33flash_attn_stream_k_fixup_uniformILi128ELi16ELi4EEvPfPK15HIP_vector_typeIfLj2EEiiiiiiS1_IjLj3EES5_S5_: ; @_ZL33flash_attn_stream_k_fixup_uniformILi128ELi16ELi4EEvPfPK15HIP_vector_typeIfLj2EEiiiiiiS1_IjLj3EES5_S5_
; %bb.0:
	s_load_dwordx8 s[12:19], s[4:5], 0x1c
	s_load_dwordx2 s[10:11], s[4:5], 0x10
	s_load_dwordx4 s[0:3], s[4:5], 0x3c
	s_waitcnt lgkmcnt(0)
	s_mul_hi_u32 s9, s15, s6
	s_add_i32 s9, s6, s9
	s_lshr_b32 s9, s9, s16
	s_mul_i32 s15, s9, s17
	s_sub_i32 s15, s6, s15
	s_mul_hi_u32 s16, s15, s18
	s_add_i32 s16, s15, s16
	s_lshr_b32 s16, s16, s19
	s_mul_i32 s0, s16, s0
	s_sub_i32 s0, s15, s0
	;; [unrolled: 5-line block ×3, first 2 shown]
	s_lshl_b32 s0, s17, 4
	s_lshl_b32 s15, s1, 2
	s_add_i32 s0, s0, s7
	s_cmp_lt_i32 s0, s10
	s_cselect_b64 s[0:1], -1, 0
	s_add_i32 s2, s15, s8
	s_cmp_lt_i32 s2, s13
	s_cselect_b64 s[2:3], -1, 0
	s_and_b64 s[0:1], s[0:1], s[2:3]
	s_andn2_b64 vcc, exec, s[0:1]
	s_cbranch_vccnz .LBB19_6
; %bb.1:
	s_load_dwordx4 s[0:3], s[4:5], 0x0
	s_mul_i32 s4, s9, s10
	s_add_i32 s4, s4, s7
	s_mul_i32 s4, s4, s11
	s_mul_i32 s16, s16, s13
	s_add_i32 s4, s4, s8
	s_add_i32 s4, s4, s16
	s_mul_i32 s5, s11, s17
	s_add_i32 s4, s4, s15
	s_lshl_b32 s5, s5, 11
	s_lshl_b32 s4, s4, 7
	s_add_i32 s5, s5, s4
	v_or_b32_e32 v2, s5, v0
	v_ashrrev_i32_e32 v3, 31, v2
	v_lshlrev_b64 v[2:3], 2, v[2:3]
	s_waitcnt lgkmcnt(0)
	v_mov_b32_e32 v1, s1
	v_add_co_u32_e32 v2, vcc, s0, v2
	v_addc_co_u32_e32 v3, vcc, v1, v3, vcc
	global_load_dword v8, v[2:3], off
	s_mul_i32 s9, s6, s14
	s_lshl_b32 s4, s7, 2
	s_add_i32 s11, s9, s14
	s_add_i32 s0, s4, s8
	s_lshl_b32 s1, s11, 6
	s_add_i32 s0, s0, s1
	s_sub_i32 s0, s0, 64
	s_ashr_i32 s1, s0, 31
	s_lshl_b64 s[0:1], s[0:1], 3
	s_add_u32 s0, s2, s0
	s_addc_u32 s1, s3, s1
	s_load_dword s5, s[0:1], 0x4
	s_add_i32 s10, s11, -2
	s_cmp_lt_i32 s10, s9
	s_cbranch_scc1 .LBB19_4
; %bb.2:
	s_lshl_b32 s16, s12, 8
	s_ashr_i32 s17, s16, 31
	s_lshl_b64 s[16:17], s[16:17], 2
	s_add_u32 s10, s2, s16
	s_addc_u32 s13, s3, s17
	s_add_i32 s6, s6, 1
	s_load_dword s0, s[0:1], 0x0
	s_mul_i32 s1, s14, s6
	s_lshl_b32 s7, s7, 9
	s_lshl_b32 s14, s8, 7
	;; [unrolled: 1-line block ×3, first 2 shown]
	s_add_i32 s7, s14, s7
	s_lshl_b32 s1, s1, 6
	s_add_i32 s7, s7, s6
	s_add_i32 s1, s8, s1
	s_lshl_b32 s6, s12, 6
	s_add_i32 s1, s1, s6
	v_or_b32_e32 v0, s7, v0
	s_add_i32 s1, s1, s4
	s_add_i32 s11, s11, -1
	v_add_u32_e32 v0, 0xffffc000, v0
	s_add_i32 s4, s1, 0xffffff80
	s_waitcnt lgkmcnt(0)
	v_mov_b32_e32 v7, s5
	v_mov_b32_e32 v6, s0
	;; [unrolled: 1-line block ×3, first 2 shown]
	s_mov_b32 s6, 0x3fb8aa3b
	s_mov_b32 s7, 0xc2ce8ed0
	;; [unrolled: 1-line block ×3, first 2 shown]
	v_mov_b32_e32 v5, 0x7f800000
	s_mov_b32 s12, 0xc1a00000
.LBB19_3:                               ; =>This Inner Loop Header: Depth=1
	v_ashrrev_i32_e32 v1, 31, v0
	v_lshlrev_b64 v[10:11], 2, v[0:1]
	v_add_co_u32_e32 v10, vcc, s10, v10
	v_addc_co_u32_e32 v11, vcc, v4, v11, vcc
	global_load_dword v1, v[10:11], off
	s_ashr_i32 s5, s4, 31
	s_lshl_b64 s[0:1], s[4:5], 3
	s_add_u32 s0, s2, s0
	s_addc_u32 s1, s3, s1
	s_load_dwordx2 s[14:15], s[0:1], 0x0
	s_waitcnt vmcnt(1)
	v_mov_b32_e32 v9, v8
	v_max_f32_e32 v8, v6, v6
	v_mov_b32_e32 v10, v7
	s_add_i32 s11, s11, -1
	s_waitcnt lgkmcnt(0)
	v_max_f32_e64 v7, s14, s14
	v_max_f32_e32 v7, v8, v7
	v_sub_f32_e32 v11, s14, v7
	v_sub_f32_e32 v8, v6, v7
	v_mul_f32_e32 v12, 0x3fb8aa3b, v11
	v_mov_b32_e32 v6, v7
	v_mul_f32_e32 v7, 0x3fb8aa3b, v8
	v_fma_f32 v15, v11, s6, -v12
	v_rndne_f32_e32 v16, v12
	v_fma_f32 v13, v8, s6, -v7
	v_rndne_f32_e32 v14, v7
	v_fmac_f32_e32 v15, 0x32a5705f, v11
	v_sub_f32_e32 v12, v12, v16
	v_fmac_f32_e32 v13, 0x32a5705f, v8
	v_sub_f32_e32 v7, v7, v14
	v_add_f32_e32 v12, v12, v15
	v_cvt_i32_f32_e32 v16, v16
	v_add_f32_e32 v7, v7, v13
	v_exp_f32_e32 v12, v12
	v_cvt_i32_f32_e32 v14, v14
	v_exp_f32_e32 v7, v7
	v_cmp_ngt_f32_e32 vcc, s7, v11
	v_ldexp_f32 v12, v12, v16
	v_cmp_ngt_f32_e64 s[0:1], s7, v8
	v_ldexp_f32 v7, v7, v14
	v_cndmask_b32_e32 v12, 0, v12, vcc
	v_cmp_nlt_f32_e32 vcc, s8, v11
	v_cndmask_b32_e64 v7, 0, v7, s[0:1]
	v_cmp_nlt_f32_e64 s[0:1], s8, v8
	v_cndmask_b32_e32 v12, v5, v12, vcc
	v_cmp_le_f32_e32 vcc, s12, v11
	v_cndmask_b32_e64 v7, v5, v7, s[0:1]
	v_cmp_le_f32_e64 s[0:1], s12, v8
	v_cndmask_b32_e32 v8, 0, v12, vcc
	s_sub_i32 s4, s4, 64
	v_cndmask_b32_e64 v11, 0, v7, s[0:1]
	v_mul_f32_e32 v7, s15, v8
	v_add_u32_e32 v0, 0xffffe000, v0
	s_cmp_le_i32 s11, s9
	v_fmac_f32_e32 v7, v10, v11
	s_waitcnt vmcnt(0)
	v_mul_f32_e32 v8, v1, v8
	v_fmac_f32_e32 v8, v9, v11
	s_cbranch_scc0 .LBB19_3
	s_branch .LBB19_5
.LBB19_4:
	s_waitcnt lgkmcnt(0)
	v_mov_b32_e32 v7, s5
.LBB19_5:
	s_waitcnt vmcnt(0)
	v_div_scale_f32 v0, s[0:1], v7, v7, v8
	v_rcp_f32_e32 v1, v0
	v_div_scale_f32 v4, vcc, v8, v7, v8
	v_fma_f32 v5, -v0, v1, 1.0
	v_fmac_f32_e32 v1, v5, v1
	v_mul_f32_e32 v5, v4, v1
	v_fma_f32 v6, -v0, v5, v4
	v_fmac_f32_e32 v5, v6, v1
	v_fma_f32 v0, -v0, v5, v4
	v_div_fmas_f32 v0, v0, v1, v5
	v_div_fixup_f32 v0, v0, v7, v8
	global_store_dword v[2:3], v0, off
.LBB19_6:
	s_endpgm
	.section	.rodata,"a",@progbits
	.p2align	6, 0x0
	.amdhsa_kernel _ZL33flash_attn_stream_k_fixup_uniformILi128ELi16ELi4EEvPfPK15HIP_vector_typeIfLj2EEiiiiiiS1_IjLj3EES5_S5_
		.amdhsa_group_segment_fixed_size 0
		.amdhsa_private_segment_fixed_size 0
		.amdhsa_kernarg_size 76
		.amdhsa_user_sgpr_count 6
		.amdhsa_user_sgpr_private_segment_buffer 1
		.amdhsa_user_sgpr_dispatch_ptr 0
		.amdhsa_user_sgpr_queue_ptr 0
		.amdhsa_user_sgpr_kernarg_segment_ptr 1
		.amdhsa_user_sgpr_dispatch_id 0
		.amdhsa_user_sgpr_flat_scratch_init 0
		.amdhsa_user_sgpr_kernarg_preload_length 0
		.amdhsa_user_sgpr_kernarg_preload_offset 0
		.amdhsa_user_sgpr_private_segment_size 0
		.amdhsa_uses_dynamic_stack 0
		.amdhsa_system_sgpr_private_segment_wavefront_offset 0
		.amdhsa_system_sgpr_workgroup_id_x 1
		.amdhsa_system_sgpr_workgroup_id_y 1
		.amdhsa_system_sgpr_workgroup_id_z 1
		.amdhsa_system_sgpr_workgroup_info 0
		.amdhsa_system_vgpr_workitem_id 0
		.amdhsa_next_free_vgpr 17
		.amdhsa_next_free_sgpr 20
		.amdhsa_accum_offset 20
		.amdhsa_reserve_vcc 1
		.amdhsa_reserve_flat_scratch 0
		.amdhsa_float_round_mode_32 0
		.amdhsa_float_round_mode_16_64 0
		.amdhsa_float_denorm_mode_32 3
		.amdhsa_float_denorm_mode_16_64 3
		.amdhsa_dx10_clamp 1
		.amdhsa_ieee_mode 1
		.amdhsa_fp16_overflow 0
		.amdhsa_tg_split 0
		.amdhsa_exception_fp_ieee_invalid_op 0
		.amdhsa_exception_fp_denorm_src 0
		.amdhsa_exception_fp_ieee_div_zero 0
		.amdhsa_exception_fp_ieee_overflow 0
		.amdhsa_exception_fp_ieee_underflow 0
		.amdhsa_exception_fp_ieee_inexact 0
		.amdhsa_exception_int_div_zero 0
	.end_amdhsa_kernel
	.section	.text._ZL33flash_attn_stream_k_fixup_uniformILi128ELi16ELi4EEvPfPK15HIP_vector_typeIfLj2EEiiiiiiS1_IjLj3EES5_S5_,"axG",@progbits,_ZL33flash_attn_stream_k_fixup_uniformILi128ELi16ELi4EEvPfPK15HIP_vector_typeIfLj2EEiiiiiiS1_IjLj3EES5_S5_,comdat
.Lfunc_end19:
	.size	_ZL33flash_attn_stream_k_fixup_uniformILi128ELi16ELi4EEvPfPK15HIP_vector_typeIfLj2EEiiiiiiS1_IjLj3EES5_S5_, .Lfunc_end19-_ZL33flash_attn_stream_k_fixup_uniformILi128ELi16ELi4EEvPfPK15HIP_vector_typeIfLj2EEiiiiiiS1_IjLj3EES5_S5_
                                        ; -- End function
	.section	.AMDGPU.csdata,"",@progbits
; Kernel info:
; codeLenInByte = 860
; NumSgprs: 24
; NumVgprs: 17
; NumAgprs: 0
; TotalNumVgprs: 17
; ScratchSize: 0
; MemoryBound: 0
; FloatMode: 240
; IeeeMode: 1
; LDSByteSize: 0 bytes/workgroup (compile time only)
; SGPRBlocks: 2
; VGPRBlocks: 2
; NumSGPRsForWavesPerEU: 24
; NumVGPRsForWavesPerEU: 17
; AccumOffset: 20
; Occupancy: 8
; WaveLimiterHint : 0
; COMPUTE_PGM_RSRC2:SCRATCH_EN: 0
; COMPUTE_PGM_RSRC2:USER_SGPR: 6
; COMPUTE_PGM_RSRC2:TRAP_HANDLER: 0
; COMPUTE_PGM_RSRC2:TGID_X_EN: 1
; COMPUTE_PGM_RSRC2:TGID_Y_EN: 1
; COMPUTE_PGM_RSRC2:TGID_Z_EN: 1
; COMPUTE_PGM_RSRC2:TIDIG_COMP_CNT: 0
; COMPUTE_PGM_RSRC3_GFX90A:ACCUM_OFFSET: 4
; COMPUTE_PGM_RSRC3_GFX90A:TG_SPLIT: 0
	.section	.text._ZL33flash_attn_stream_k_fixup_generalILi128ELi16ELi4EEvPfPK15HIP_vector_typeIfLj2EEiiiiS1_IjLj3EES5_S5_S5_,"axG",@progbits,_ZL33flash_attn_stream_k_fixup_generalILi128ELi16ELi4EEvPfPK15HIP_vector_typeIfLj2EEiiiiS1_IjLj3EES5_S5_S5_,comdat
	.globl	_ZL33flash_attn_stream_k_fixup_generalILi128ELi16ELi4EEvPfPK15HIP_vector_typeIfLj2EEiiiiS1_IjLj3EES5_S5_S5_ ; -- Begin function _ZL33flash_attn_stream_k_fixup_generalILi128ELi16ELi4EEvPfPK15HIP_vector_typeIfLj2EEiiiiS1_IjLj3EES5_S5_S5_
	.p2align	8
	.type	_ZL33flash_attn_stream_k_fixup_generalILi128ELi16ELi4EEvPfPK15HIP_vector_typeIfLj2EEiiiiS1_IjLj3EES5_S5_S5_,@function
_ZL33flash_attn_stream_k_fixup_generalILi128ELi16ELi4EEvPfPK15HIP_vector_typeIfLj2EEiiiiS1_IjLj3EES5_S5_S5_: ; @_ZL33flash_attn_stream_k_fixup_generalILi128ELi16ELi4EEvPfPK15HIP_vector_typeIfLj2EEiiiiS1_IjLj3EES5_S5_S5_
; %bb.0:
	s_load_dwordx4 s[12:15], s[4:5], 0x10
	s_load_dword s9, s[4:5], 0x50
	s_mov_b32 s2, 0
	s_waitcnt lgkmcnt(0)
	s_mul_hi_i32 s3, s15, s6
	s_cmp_lg_u64 s[2:3], 0
	s_mul_i32 s2, s15, s6
	s_cbranch_scc0 .LBB20_21
; %bb.1:
	v_cvt_f32_u32_e32 v1, s9
	v_cvt_f32_ubyte0_e32 v2, 0
	s_sub_u32 s10, 0, s9
	s_subb_u32 s11, 0, 0
	v_madmk_f32 v1, v2, 0x4f800000, v1
	v_rcp_f32_e32 v1, v1
	v_mul_f32_e32 v1, 0x5f7ffffc, v1
	v_mul_f32_e32 v2, 0x2f800000, v1
	v_trunc_f32_e32 v2, v2
	v_madmk_f32 v1, v2, 0xcf800000, v1
	v_cvt_u32_f32_e32 v2, v2
	v_cvt_u32_f32_e32 v1, v1
	v_readfirstlane_b32 s16, v2
	v_readfirstlane_b32 s17, v1
	s_mul_i32 s18, s10, s16
	s_mul_hi_u32 s20, s10, s17
	s_mul_i32 s19, s11, s17
	s_add_i32 s18, s20, s18
	s_add_i32 s18, s18, s19
	s_mul_i32 s21, s10, s17
	s_mul_hi_u32 s19, s17, s18
	s_mul_i32 s20, s17, s18
	s_mul_hi_u32 s17, s17, s21
	s_add_u32 s17, s17, s20
	s_addc_u32 s19, 0, s19
	s_mul_hi_u32 s22, s16, s21
	s_mul_i32 s21, s16, s21
	s_add_u32 s17, s17, s21
	s_mul_hi_u32 s20, s16, s18
	s_addc_u32 s17, s19, s22
	s_addc_u32 s19, s20, 0
	s_mul_i32 s18, s16, s18
	s_add_u32 s17, s17, s18
	s_addc_u32 s18, 0, s19
	v_add_co_u32_e32 v1, vcc, s17, v1
	s_cmp_lg_u64 vcc, 0
	s_addc_u32 s16, s16, s18
	v_readfirstlane_b32 s18, v1
	s_mul_i32 s17, s10, s16
	s_mul_hi_u32 s19, s10, s18
	s_add_i32 s17, s19, s17
	s_mul_i32 s11, s11, s18
	s_add_i32 s17, s17, s11
	s_mul_i32 s10, s10, s18
	s_mul_hi_u32 s19, s16, s10
	s_mul_i32 s20, s16, s10
	s_mul_i32 s22, s18, s17
	s_mul_hi_u32 s10, s18, s10
	s_mul_hi_u32 s21, s18, s17
	s_add_u32 s10, s10, s22
	s_addc_u32 s18, 0, s21
	s_add_u32 s10, s10, s20
	s_mul_hi_u32 s11, s16, s17
	s_addc_u32 s10, s18, s19
	s_addc_u32 s11, s11, 0
	s_mul_i32 s17, s16, s17
	s_add_u32 s10, s10, s17
	s_addc_u32 s11, 0, s11
	v_add_co_u32_e32 v1, vcc, s10, v1
	s_cmp_lg_u64 vcc, 0
	s_addc_u32 s18, s16, s11
	s_ashr_i32 s10, s3, 31
	s_add_u32 s16, s2, s10
	s_mov_b32 s11, s10
	s_addc_u32 s17, s3, s10
	s_xor_b64 s[16:17], s[16:17], s[10:11]
	v_readfirstlane_b32 s20, v1
	s_mul_i32 s19, s16, s18
	s_mul_hi_u32 s21, s16, s20
	s_mul_hi_u32 s3, s16, s18
	s_add_u32 s19, s21, s19
	s_addc_u32 s3, 0, s3
	s_mul_hi_u32 s22, s17, s20
	s_mul_i32 s20, s17, s20
	s_add_u32 s19, s19, s20
	s_mul_hi_u32 s21, s17, s18
	s_addc_u32 s3, s3, s22
	s_addc_u32 s19, s21, 0
	s_mul_i32 s18, s17, s18
	s_add_u32 s3, s3, s18
	s_addc_u32 s18, 0, s19
	s_add_u32 s19, s3, 1
	s_addc_u32 s20, s18, 0
	s_add_u32 s21, s3, 2
	s_mul_i32 s23, s9, s18
	s_mul_hi_u32 s24, s9, s3
	s_addc_u32 s22, s18, 0
	s_add_i32 s24, s24, s23
	s_mul_i32 s23, s9, s3
	v_mov_b32_e32 v1, s23
	v_sub_co_u32_e32 v1, vcc, s16, v1
	s_cmp_lg_u64 vcc, 0
	s_subb_u32 s16, s17, s24
	v_subrev_co_u32_e32 v2, vcc, s9, v1
	s_cmp_lg_u64 vcc, 0
	s_subb_u32 s17, s16, 0
	v_readfirstlane_b32 s23, v2
	s_cmp_ge_u32 s23, s9
	s_cselect_b32 s23, -1, 0
	s_cmp_eq_u32 s17, 0
	s_cselect_b32 s17, s23, -1
	s_cmp_lg_u32 s17, 0
	s_cselect_b32 s17, s22, s20
	v_readfirstlane_b32 s20, v1
	s_cselect_b32 s19, s21, s19
	s_cmp_ge_u32 s20, s9
	s_cselect_b32 s20, -1, 0
	s_cmp_eq_u32 s16, 0
	s_cselect_b32 s16, s20, -1
	s_cmp_lg_u32 s16, 0
	s_cselect_b32 s17, s17, s18
	s_cselect_b32 s16, s19, s3
	s_xor_b64 s[16:17], s[16:17], s[10:11]
	s_sub_u32 s20, s16, s10
	s_load_dwordx4 s[16:19], s[4:5], 0x44
	s_cbranch_execnz .LBB20_3
.LBB20_2:
	v_cvt_f32_u32_e32 v1, s9
	s_sub_i32 s0, 0, s9
	v_rcp_iflag_f32_e32 v1, v1
	v_mul_f32_e32 v1, 0x4f7ffffe, v1
	v_cvt_u32_f32_e32 v1, v1
	v_readfirstlane_b32 s1, v1
	s_mul_i32 s0, s0, s1
	s_mul_hi_u32 s0, s1, s0
	s_add_i32 s1, s1, s0
	s_mul_hi_u32 s0, s2, s1
	s_mul_i32 s3, s0, s9
	s_sub_i32 s2, s2, s3
	s_add_i32 s1, s0, 1
	s_sub_i32 s3, s2, s9
	s_cmp_ge_u32 s2, s9
	s_cselect_b32 s0, s1, s0
	s_cselect_b32 s2, s3, s2
	s_add_i32 s1, s0, 1
	s_cmp_ge_u32 s2, s9
	s_cselect_b32 s20, s1, s0
.LBB20_3:
	s_add_i32 s0, s6, 1
	s_mul_hi_i32 s3, s15, s0
	s_mov_b32 s2, 0
	s_cmp_lg_u64 s[2:3], 0
	s_mul_i32 s2, s15, s0
	s_cbranch_scc0 .LBB20_22
; %bb.4:
	v_cvt_f32_u32_e32 v1, s9
	v_cvt_f32_ubyte0_e32 v2, 0
	s_sub_u32 s10, 0, s9
	s_subb_u32 s11, 0, 0
	v_madmk_f32 v1, v2, 0x4f800000, v1
	v_rcp_f32_e32 v1, v1
	v_mul_f32_e32 v1, 0x5f7ffffc, v1
	v_mul_f32_e32 v2, 0x2f800000, v1
	v_trunc_f32_e32 v2, v2
	v_madmk_f32 v1, v2, 0xcf800000, v1
	v_cvt_u32_f32_e32 v2, v2
	v_cvt_u32_f32_e32 v1, v1
	s_waitcnt lgkmcnt(0)
	v_readfirstlane_b32 s19, v2
	v_readfirstlane_b32 s21, v1
	s_mul_i32 s22, s10, s19
	s_mul_hi_u32 s24, s10, s21
	s_mul_i32 s23, s11, s21
	s_add_i32 s22, s24, s22
	s_add_i32 s22, s22, s23
	s_mul_i32 s25, s10, s21
	s_mul_hi_u32 s23, s21, s22
	s_mul_i32 s24, s21, s22
	s_mul_hi_u32 s21, s21, s25
	s_add_u32 s21, s21, s24
	s_addc_u32 s23, 0, s23
	s_mul_hi_u32 s26, s19, s25
	s_mul_i32 s25, s19, s25
	s_add_u32 s21, s21, s25
	s_mul_hi_u32 s24, s19, s22
	s_addc_u32 s21, s23, s26
	s_addc_u32 s23, s24, 0
	s_mul_i32 s22, s19, s22
	s_add_u32 s21, s21, s22
	s_addc_u32 s22, 0, s23
	v_add_co_u32_e32 v1, vcc, s21, v1
	s_cmp_lg_u64 vcc, 0
	s_addc_u32 s19, s19, s22
	v_readfirstlane_b32 s22, v1
	s_mul_i32 s21, s10, s19
	s_mul_hi_u32 s23, s10, s22
	s_add_i32 s21, s23, s21
	s_mul_i32 s11, s11, s22
	s_add_i32 s21, s21, s11
	s_mul_i32 s10, s10, s22
	s_mul_hi_u32 s23, s19, s10
	s_mul_i32 s24, s19, s10
	s_mul_i32 s26, s22, s21
	s_mul_hi_u32 s10, s22, s10
	s_mul_hi_u32 s25, s22, s21
	s_add_u32 s10, s10, s26
	s_addc_u32 s22, 0, s25
	s_add_u32 s10, s10, s24
	s_mul_hi_u32 s11, s19, s21
	s_addc_u32 s10, s22, s23
	s_addc_u32 s11, s11, 0
	s_mul_i32 s21, s19, s21
	s_add_u32 s10, s10, s21
	s_addc_u32 s11, 0, s11
	v_add_co_u32_e32 v1, vcc, s10, v1
	s_cmp_lg_u64 vcc, 0
	s_addc_u32 s19, s19, s11
	s_ashr_i32 s10, s3, 31
	s_add_u32 s22, s2, s10
	s_mov_b32 s11, s10
	s_addc_u32 s23, s3, s10
	s_xor_b64 s[22:23], s[22:23], s[10:11]
	v_readfirstlane_b32 s21, v1
	s_mul_i32 s11, s22, s19
	s_mul_hi_u32 s24, s22, s21
	s_mul_hi_u32 s3, s22, s19
	s_add_u32 s11, s24, s11
	s_addc_u32 s3, 0, s3
	s_mul_hi_u32 s25, s23, s21
	s_mul_i32 s21, s23, s21
	s_add_u32 s11, s11, s21
	s_mul_hi_u32 s24, s23, s19
	s_addc_u32 s3, s3, s25
	s_addc_u32 s11, s24, 0
	s_mul_i32 s19, s23, s19
	s_add_u32 s3, s3, s19
	s_addc_u32 s11, 0, s11
	s_mul_i32 s11, s9, s11
	s_mul_hi_u32 s24, s9, s3
	s_add_i32 s24, s24, s11
	s_mul_i32 s11, s9, s3
	v_mov_b32_e32 v1, s11
	s_add_u32 s19, s3, 1
	s_add_u32 s21, s3, 2
	v_sub_co_u32_e32 v1, vcc, s22, v1
	s_cmp_lg_u64 vcc, 0
	s_subb_u32 s11, s23, s24
	v_subrev_co_u32_e32 v2, vcc, s9, v1
	s_cmp_lg_u64 vcc, 0
	s_subb_u32 s22, s11, 0
	v_cmp_le_u32_e32 vcc, s9, v2
	s_cmp_eq_u32 s22, 0
	v_cndmask_b32_e64 v2, 0, -1, vcc
	s_cselect_b64 vcc, -1, 0
	v_cndmask_b32_e32 v2, -1, v2, vcc
	v_mov_b32_e32 v3, s19
	v_mov_b32_e32 v4, s21
	v_cmp_ne_u32_e32 vcc, 0, v2
	v_cndmask_b32_e32 v2, v3, v4, vcc
	v_cmp_le_u32_e32 vcc, s9, v1
	s_cmp_eq_u32 s11, 0
	v_cndmask_b32_e64 v1, 0, -1, vcc
	s_cselect_b64 vcc, -1, 0
	v_cndmask_b32_e32 v1, -1, v1, vcc
	v_mov_b32_e32 v3, s3
	v_cmp_ne_u32_e32 vcc, 0, v1
	v_cndmask_b32_e32 v1, v3, v2, vcc
	v_xor_b32_e32 v1, s10, v1
	v_subrev_co_u32_e32 v2, vcc, s10, v1
	s_cbranch_execnz .LBB20_6
.LBB20_5:
	v_cvt_f32_u32_e32 v1, s9
	s_sub_i32 s0, 0, s9
	s_mov_b32 s1, 0
	v_rcp_iflag_f32_e32 v1, v1
	v_mul_f32_e32 v1, 0x4f7ffffe, v1
	v_cvt_u32_f32_e32 v1, v1
	v_readfirstlane_b32 s3, v1
	s_mul_i32 s0, s0, s3
	s_mul_hi_u32 s0, s3, s0
	s_add_i32 s3, s3, s0
	s_mul_hi_u32 s0, s2, s3
	s_mul_i32 s10, s0, s9
	s_sub_i32 s2, s2, s10
	s_add_i32 s3, s0, 1
	s_sub_i32 s10, s2, s9
	s_cmp_ge_u32 s2, s9
	s_cselect_b32 s0, s3, s0
	s_cselect_b32 s2, s10, s2
	s_add_i32 s3, s0, 1
	s_cmp_ge_u32 s2, s9
	s_cselect_b32 s0, s3, s0
	v_pk_mov_b32 v[2:3], s[0:1], s[0:1] op_sel:[0,1]
.LBB20_6:
	s_waitcnt lgkmcnt(0)
	s_mul_hi_u32 s0, s20, s16
	s_add_i32 s0, s0, s20
	v_mul_hi_u32 v1, v2, s16
	s_lshr_b32 s19, s0, s17
	v_add_u32_e32 v1, v1, v2
	s_mul_i32 s0, s19, s18
	v_lshrrev_b32_e32 v1, s17, v1
	s_cmp_eq_u32 s0, s20
	v_cmp_eq_u32_e64 s[0:1], s19, v1
	v_mul_lo_u32 v1, v1, s18
	v_cmp_eq_u32_e32 vcc, s20, v2
	s_cselect_b64 s[10:11], -1, 0
	v_cmp_ne_u32_e64 s[2:3], v1, v2
	s_and_b64 s[0:1], s[0:1], s[2:3]
	s_or_b64 s[2:3], vcc, s[10:11]
	s_or_b64 s[0:1], s[2:3], s[0:1]
	s_and_b64 vcc, exec, s[0:1]
	s_cbranch_vccnz .LBB20_24
; %bb.7:
	s_load_dwordx8 s[24:31], s[4:5], 0x20
	s_load_dword s0, s[4:5], 0x40
	s_mov_b32 s10, 0
	s_waitcnt lgkmcnt(0)
	s_mul_hi_u32 s1, s20, s24
	s_add_i32 s1, s1, s20
	s_lshr_b32 s11, s1, s25
	s_mul_i32 s1, s11, s26
	s_sub_i32 s1, s20, s1
	s_mul_hi_u32 s2, s1, s27
	s_add_i32 s2, s1, s2
	s_lshr_b32 s24, s2, s28
	s_mul_i32 s2, s24, s29
	s_sub_i32 s1, s1, s2
	;; [unrolled: 5-line block ×3, first 2 shown]
	s_mul_hi_u32 s1, s0, s16
	s_add_i32 s0, s0, s1
	s_lshr_b32 s26, s0, s17
	s_lshl_b32 s0, s26, 4
	s_lshl_b32 s25, s2, 2
	s_add_i32 s0, s0, s7
	s_cmp_lt_i32 s0, s12
	s_cselect_b64 s[0:1], -1, 0
	s_add_i32 s2, s25, s8
	s_cmp_lt_i32 s2, s14
	s_cselect_b64 s[2:3], -1, 0
	s_and_b64 s[0:1], s[0:1], s[2:3]
	s_andn2_b64 vcc, exec, s[0:1]
	s_cbranch_vccnz .LBB20_24
; %bb.8:
	s_load_dwordx4 s[0:3], s[4:5], 0x0
	s_lshl_b32 s21, s7, 2
	s_lshl_b32 s4, s9, 8
	s_mov_b32 s5, s10
	s_add_i32 s21, s21, s8
	s_lshl_b64 s[4:5], s[4:5], 2
	s_waitcnt lgkmcnt(0)
	s_add_u32 s22, s2, s4
	s_mul_i32 s4, s11, s12
	s_addc_u32 s23, s3, s5
	s_add_i32 s4, s4, s7
	s_mul_i32 s4, s4, s13
	s_mul_i32 s24, s24, s14
	s_add_i32 s4, s4, s8
	s_add_i32 s4, s4, s24
	s_mul_i32 s5, s13, s26
	s_add_i32 s4, s4, s25
	s_lshl_b32 s5, s5, 11
	s_lshl_b32 s4, s4, 7
	s_add_i32 s5, s5, s4
	v_or_b32_e32 v2, s5, v0
	v_ashrrev_i32_e32 v3, 31, v2
	v_lshlrev_b64 v[2:3], 2, v[2:3]
	v_mov_b32_e32 v1, s1
	v_add_co_u32_e32 v2, vcc, s0, v2
	v_addc_co_u32_e32 v3, vcc, v1, v3, vcc
	global_load_dword v5, v[2:3], off
	v_lshl_or_b32 v4, s21, 7, v0
	v_cvt_f32_u32_e32 v0, s9
	v_cvt_f32_ubyte0_e32 v1, 0
	s_lshl_b32 s0, s6, 6
	s_add_i32 s0, s21, s0
	v_mac_f32_e32 v0, 0x4f800000, v1
	v_rcp_f32_e32 v0, v0
	v_cvt_f32_u32_e32 v1, s9
	s_ashr_i32 s1, s0, 31
	s_lshl_b64 s[0:1], s[0:1], 3
	v_mul_f32_e32 v0, 0x5f7ffffc, v0
	v_rcp_iflag_f32_e32 v1, v1
	s_add_u32 s0, s2, s0
	v_mul_f32_e32 v9, 0x2f800000, v0
	s_addc_u32 s1, s3, s1
	v_trunc_f32_e32 v10, v9
	s_load_dwordx2 s[0:1], s[0:1], 0x0
	v_mac_f32_e32 v0, 0xcf800000, v10
	v_cvt_u32_f32_e32 v9, v0
	v_mul_f32_e32 v0, 0x4f7ffffe, v1
	v_cvt_u32_f32_e32 v10, v10
	v_cvt_u32_f32_e32 v11, v0
	s_add_i32 s8, s6, -1
	s_waitcnt lgkmcnt(0)
	v_mov_b32_e32 v6, s1
	v_mov_b32_e32 v7, s0
	;; [unrolled: 1-line block ×3, first 2 shown]
	s_mov_b32 s6, 0x3fb8aa3b
	s_mov_b32 s7, 0xc2ce8ed0
	;; [unrolled: 1-line block ×4, first 2 shown]
	v_mov_b32_e32 v12, 0x7f800000
	s_mul_hi_i32 s11, s8, s15
	s_cmp_lg_u64 s[10:11], 0
	s_mul_i32 s4, s8, s15
	s_cbranch_scc0 .LBB20_15
.LBB20_9:
	s_sub_u32 s0, 0, s9
	v_readfirstlane_b32 s5, v9
	v_readfirstlane_b32 s24, v10
	s_subb_u32 s1, 0, 0
	s_mul_hi_u32 s20, s0, s5
	s_mul_i32 s25, s0, s24
	s_mul_i32 s14, s1, s5
	s_add_i32 s20, s20, s25
	s_add_i32 s20, s20, s14
	s_mul_i32 s26, s0, s5
	s_mul_hi_u32 s14, s5, s20
	s_mul_i32 s25, s5, s20
	s_mul_hi_u32 s5, s5, s26
	s_add_u32 s5, s5, s25
	s_addc_u32 s14, 0, s14
	s_mul_hi_u32 s27, s24, s26
	s_mul_i32 s26, s24, s26
	s_add_u32 s5, s5, s26
	s_mul_hi_u32 s25, s24, s20
	s_addc_u32 s5, s14, s27
	s_addc_u32 s14, s25, 0
	s_mul_i32 s20, s24, s20
	s_add_u32 s5, s5, s20
	s_addc_u32 s14, 0, s14
	v_add_co_u32_e32 v0, vcc, s5, v9
	s_cmp_lg_u64 vcc, 0
	s_addc_u32 s5, s24, s14
	v_readfirstlane_b32 s20, v0
	s_mul_i32 s14, s0, s5
	s_mul_hi_u32 s24, s0, s20
	s_add_i32 s14, s24, s14
	s_mul_i32 s1, s1, s20
	s_add_i32 s14, s14, s1
	s_mul_i32 s0, s0, s20
	s_mul_hi_u32 s24, s5, s0
	s_mul_i32 s25, s5, s0
	s_mul_i32 s27, s20, s14
	s_mul_hi_u32 s0, s20, s0
	s_mul_hi_u32 s26, s20, s14
	s_add_u32 s0, s0, s27
	s_addc_u32 s20, 0, s26
	s_add_u32 s0, s0, s25
	s_mul_hi_u32 s1, s5, s14
	s_addc_u32 s0, s20, s24
	s_addc_u32 s1, s1, 0
	s_mul_i32 s14, s5, s14
	s_add_u32 s0, s0, s14
	s_addc_u32 s1, 0, s1
	v_add_co_u32_e32 v0, vcc, s0, v0
	s_cmp_lg_u64 vcc, 0
	s_addc_u32 s5, s5, s1
	s_ashr_i32 s0, s11, 31
	s_add_u32 s24, s4, s0
	s_mov_b32 s1, s0
	s_addc_u32 s25, s11, s0
	s_xor_b64 s[24:25], s[24:25], s[0:1]
	v_readfirstlane_b32 s14, v0
	s_mul_i32 s11, s24, s5
	s_mul_hi_u32 s20, s24, s14
	s_mul_hi_u32 s1, s24, s5
	s_add_u32 s11, s20, s11
	s_addc_u32 s1, 0, s1
	s_mul_hi_u32 s26, s25, s14
	s_mul_i32 s14, s25, s14
	s_add_u32 s11, s11, s14
	s_mul_hi_u32 s20, s25, s5
	s_addc_u32 s1, s1, s26
	s_addc_u32 s11, s20, 0
	s_mul_i32 s5, s25, s5
	s_add_u32 s1, s1, s5
	s_addc_u32 s5, 0, s11
	s_mul_i32 s5, s9, s5
	s_mul_hi_u32 s20, s9, s1
	s_add_i32 s20, s20, s5
	s_mul_i32 s5, s9, s1
	v_mov_b32_e32 v0, s5
	s_add_u32 s11, s1, 1
	s_add_u32 s14, s1, 2
	v_sub_co_u32_e32 v0, vcc, s24, v0
	s_cmp_lg_u64 vcc, 0
	s_subb_u32 s5, s25, s20
	v_subrev_co_u32_e32 v1, vcc, s9, v0
	s_cmp_lg_u64 vcc, 0
	s_subb_u32 s20, s5, 0
	v_cmp_le_u32_e32 vcc, s9, v1
	s_cmp_eq_u32 s20, 0
	v_cndmask_b32_e64 v1, 0, -1, vcc
	s_cselect_b64 vcc, -1, 0
	v_cndmask_b32_e32 v1, -1, v1, vcc
	v_mov_b32_e32 v13, s11
	v_mov_b32_e32 v14, s14
	v_cmp_ne_u32_e32 vcc, 0, v1
	v_cndmask_b32_e32 v1, v13, v14, vcc
	v_cmp_le_u32_e32 vcc, s9, v0
	s_cmp_eq_u32 s5, 0
	v_cndmask_b32_e64 v0, 0, -1, vcc
	s_cselect_b64 vcc, -1, 0
	v_cndmask_b32_e32 v0, -1, v0, vcc
	v_mov_b32_e32 v13, s1
	v_cmp_ne_u32_e32 vcc, 0, v0
	v_cndmask_b32_e32 v0, v13, v1, vcc
	v_xor_b32_e32 v0, s0, v0
	v_subrev_co_u32_e32 v0, vcc, s0, v0
	s_cbranch_execnz .LBB20_11
.LBB20_10:
	s_sub_i32 s0, 0, s9
	v_mul_lo_u32 v0, s0, v11
	v_mul_hi_u32 v0, v11, v0
	v_add_u32_e32 v0, v11, v0
	v_mul_hi_u32 v0, s4, v0
	v_mul_lo_u32 v13, v0, s9
	v_sub_u32_e32 v13, s4, v13
	v_add_u32_e32 v1, 1, v0
	v_subrev_u32_e32 v14, s9, v13
	v_cmp_le_u32_e32 vcc, s9, v13
	v_cndmask_b32_e32 v13, v13, v14, vcc
	v_cndmask_b32_e32 v0, v0, v1, vcc
	v_add_u32_e32 v1, 1, v0
	v_cmp_le_u32_e32 vcc, s9, v13
	v_cndmask_b32_e32 v0, v0, v1, vcc
.LBB20_11:
	v_cmp_ne_u32_e32 vcc, v8, v0
	s_cbranch_vccz .LBB20_14
; %bb.12:
	s_add_i32 s0, s8, s9
	s_lshl_b32 s0, s0, 6
	v_mul_hi_u32 v1, v0, s16
	s_add_i32 s0, s0, s21
	s_mov_b32 s1, s10
	v_add_u32_e32 v1, v1, v0
	s_lshl_b64 s[0:1], s[0:1], 3
	v_lshrrev_b32_e32 v1, s17, v1
	s_add_u32 s4, s2, s0
	v_mul_lo_u32 v13, v1, s18
	s_addc_u32 s5, s3, s1
	v_cmp_eq_u32_e32 vcc, v13, v0
	v_cmp_gt_u32_e64 s[0:1], s19, v1
	s_or_b64 s[0:1], s[0:1], vcc
	s_and_b64 vcc, exec, s[0:1]
	s_cbranch_vccnz .LBB20_16
; %bb.13:
	s_add_i32 s11, s8, -1
	s_mov_b64 s[0:1], 0
	s_branch .LBB20_17
.LBB20_14:
                                        ; implicit-def: $sgpr0_sgpr1
                                        ; implicit-def: $vgpr14
                                        ; implicit-def: $vgpr1
                                        ; implicit-def: $vgpr13
                                        ; implicit-def: $sgpr11
                                        ; implicit-def: $vgpr0
	s_branch .LBB20_18
.LBB20_15:
                                        ; implicit-def: $vgpr0_vgpr1
	s_branch .LBB20_10
.LBB20_16:
	s_mov_b64 s[0:1], -1
	s_mov_b32 s11, s8
	v_mov_b32_e32 v0, v8
.LBB20_17:
	v_lshl_add_u32 v14, s8, 13, v4
	v_ashrrev_i32_e32 v15, 31, v14
	v_lshlrev_b64 v[14:15], 2, v[14:15]
	v_mov_b32_e32 v1, s23
	v_add_co_u32_e32 v14, vcc, s22, v14
	v_addc_co_u32_e32 v15, vcc, v1, v15, vcc
	global_load_dword v14, v[14:15], off
	s_load_dwordx2 s[4:5], s[4:5], 0x0
	v_max_f32_e32 v1, v7, v7
	s_waitcnt lgkmcnt(0)
	v_max_f32_e64 v13, s4, s4
	v_max_f32_e32 v1, v1, v13
	v_sub_f32_e32 v13, v7, v1
	v_sub_f32_e32 v15, s4, v1
	v_mul_f32_e32 v16, 0x3fb8aa3b, v13
	v_mul_f32_e32 v17, 0x3fb8aa3b, v15
	v_fma_f32 v18, v13, s6, -v16
	v_rndne_f32_e32 v19, v16
	v_fma_f32 v20, v15, s6, -v17
	v_rndne_f32_e32 v21, v17
	v_fmac_f32_e32 v18, 0x32a5705f, v13
	v_sub_f32_e32 v16, v16, v19
	v_fmac_f32_e32 v20, 0x32a5705f, v15
	v_sub_f32_e32 v17, v17, v21
	v_add_f32_e32 v16, v16, v18
	v_cvt_i32_f32_e32 v19, v19
	v_add_f32_e32 v17, v17, v20
	v_exp_f32_e32 v16, v16
	v_cvt_i32_f32_e32 v21, v21
	v_exp_f32_e32 v17, v17
	v_cmp_ngt_f32_e32 vcc, s7, v13
	v_ldexp_f32 v16, v16, v19
	v_cndmask_b32_e32 v16, 0, v16, vcc
	v_ldexp_f32 v17, v17, v21
	v_cmp_ngt_f32_e32 vcc, s7, v15
	v_cndmask_b32_e32 v17, 0, v17, vcc
	v_cmp_nlt_f32_e32 vcc, s12, v13
	v_cndmask_b32_e32 v16, v12, v16, vcc
	v_cmp_nlt_f32_e32 vcc, s12, v15
	v_cndmask_b32_e32 v17, v12, v17, vcc
	v_cmp_le_f32_e32 vcc, s13, v13
	v_cndmask_b32_e32 v16, 0, v16, vcc
	v_cmp_le_f32_e32 vcc, s13, v15
	v_cndmask_b32_e32 v15, 0, v17, vcc
	v_mul_f32_e32 v13, s5, v15
	v_fmac_f32_e32 v13, v6, v16
	s_waitcnt vmcnt(0)
	v_mul_f32_e32 v14, v14, v15
	v_fmac_f32_e32 v14, v5, v16
	s_cbranch_execnz .LBB20_19
.LBB20_18:
	s_add_i32 s11, s8, -1
	s_mov_b64 s[0:1], 0
	v_mov_b32_e32 v0, v8
	v_mov_b32_e32 v13, v6
	;; [unrolled: 1-line block ×3, first 2 shown]
	s_waitcnt vmcnt(0)
	v_mov_b32_e32 v14, v5
.LBB20_19:
	s_andn2_b64 vcc, exec, s[0:1]
	s_cbranch_vccz .LBB20_23
; %bb.20:
	v_mov_b32_e32 v8, v0
	s_mov_b32 s8, s11
	v_mov_b32_e32 v6, v13
	v_mov_b32_e32 v7, v1
	s_waitcnt vmcnt(0)
	v_mov_b32_e32 v5, v14
	s_mul_hi_i32 s11, s8, s15
	s_cmp_lg_u64 s[10:11], 0
	s_mul_i32 s4, s8, s15
	s_cbranch_scc1 .LBB20_9
	s_branch .LBB20_15
.LBB20_21:
                                        ; implicit-def: $sgpr20_sgpr21
	s_load_dwordx4 s[16:19], s[4:5], 0x44
	s_branch .LBB20_2
.LBB20_22:
                                        ; implicit-def: $vgpr2_vgpr3
	s_branch .LBB20_5
.LBB20_23:
	v_div_scale_f32 v0, s[0:1], v13, v13, v14
	v_rcp_f32_e32 v1, v0
	v_div_scale_f32 v4, vcc, v14, v13, v14
	s_waitcnt vmcnt(0)
	v_fma_f32 v5, -v0, v1, 1.0
	v_fmac_f32_e32 v1, v5, v1
	v_mul_f32_e32 v5, v4, v1
	v_fma_f32 v6, -v0, v5, v4
	v_fmac_f32_e32 v5, v6, v1
	v_fma_f32 v0, -v0, v5, v4
	v_div_fmas_f32 v0, v0, v1, v5
	v_div_fixup_f32 v0, v0, v13, v14
	global_store_dword v[2:3], v0, off
.LBB20_24:
	s_endpgm
	.section	.rodata,"a",@progbits
	.p2align	6, 0x0
	.amdhsa_kernel _ZL33flash_attn_stream_k_fixup_generalILi128ELi16ELi4EEvPfPK15HIP_vector_typeIfLj2EEiiiiS1_IjLj3EES5_S5_S5_
		.amdhsa_group_segment_fixed_size 0
		.amdhsa_private_segment_fixed_size 0
		.amdhsa_kernarg_size 336
		.amdhsa_user_sgpr_count 6
		.amdhsa_user_sgpr_private_segment_buffer 1
		.amdhsa_user_sgpr_dispatch_ptr 0
		.amdhsa_user_sgpr_queue_ptr 0
		.amdhsa_user_sgpr_kernarg_segment_ptr 1
		.amdhsa_user_sgpr_dispatch_id 0
		.amdhsa_user_sgpr_flat_scratch_init 0
		.amdhsa_user_sgpr_kernarg_preload_length 0
		.amdhsa_user_sgpr_kernarg_preload_offset 0
		.amdhsa_user_sgpr_private_segment_size 0
		.amdhsa_uses_dynamic_stack 0
		.amdhsa_system_sgpr_private_segment_wavefront_offset 0
		.amdhsa_system_sgpr_workgroup_id_x 1
		.amdhsa_system_sgpr_workgroup_id_y 1
		.amdhsa_system_sgpr_workgroup_id_z 1
		.amdhsa_system_sgpr_workgroup_info 0
		.amdhsa_system_vgpr_workitem_id 0
		.amdhsa_next_free_vgpr 22
		.amdhsa_next_free_sgpr 32
		.amdhsa_accum_offset 24
		.amdhsa_reserve_vcc 1
		.amdhsa_reserve_flat_scratch 0
		.amdhsa_float_round_mode_32 0
		.amdhsa_float_round_mode_16_64 0
		.amdhsa_float_denorm_mode_32 3
		.amdhsa_float_denorm_mode_16_64 3
		.amdhsa_dx10_clamp 1
		.amdhsa_ieee_mode 1
		.amdhsa_fp16_overflow 0
		.amdhsa_tg_split 0
		.amdhsa_exception_fp_ieee_invalid_op 0
		.amdhsa_exception_fp_denorm_src 0
		.amdhsa_exception_fp_ieee_div_zero 0
		.amdhsa_exception_fp_ieee_overflow 0
		.amdhsa_exception_fp_ieee_underflow 0
		.amdhsa_exception_fp_ieee_inexact 0
		.amdhsa_exception_int_div_zero 0
	.end_amdhsa_kernel
	.section	.text._ZL33flash_attn_stream_k_fixup_generalILi128ELi16ELi4EEvPfPK15HIP_vector_typeIfLj2EEiiiiS1_IjLj3EES5_S5_S5_,"axG",@progbits,_ZL33flash_attn_stream_k_fixup_generalILi128ELi16ELi4EEvPfPK15HIP_vector_typeIfLj2EEiiiiS1_IjLj3EES5_S5_S5_,comdat
.Lfunc_end20:
	.size	_ZL33flash_attn_stream_k_fixup_generalILi128ELi16ELi4EEvPfPK15HIP_vector_typeIfLj2EEiiiiS1_IjLj3EES5_S5_S5_, .Lfunc_end20-_ZL33flash_attn_stream_k_fixup_generalILi128ELi16ELi4EEvPfPK15HIP_vector_typeIfLj2EEiiiiS1_IjLj3EES5_S5_S5_
                                        ; -- End function
	.section	.AMDGPU.csdata,"",@progbits
; Kernel info:
; codeLenInByte = 2824
; NumSgprs: 36
; NumVgprs: 22
; NumAgprs: 0
; TotalNumVgprs: 22
; ScratchSize: 0
; MemoryBound: 0
; FloatMode: 240
; IeeeMode: 1
; LDSByteSize: 0 bytes/workgroup (compile time only)
; SGPRBlocks: 4
; VGPRBlocks: 2
; NumSGPRsForWavesPerEU: 36
; NumVGPRsForWavesPerEU: 22
; AccumOffset: 24
; Occupancy: 8
; WaveLimiterHint : 0
; COMPUTE_PGM_RSRC2:SCRATCH_EN: 0
; COMPUTE_PGM_RSRC2:USER_SGPR: 6
; COMPUTE_PGM_RSRC2:TRAP_HANDLER: 0
; COMPUTE_PGM_RSRC2:TGID_X_EN: 1
; COMPUTE_PGM_RSRC2:TGID_Y_EN: 1
; COMPUTE_PGM_RSRC2:TGID_Z_EN: 1
; COMPUTE_PGM_RSRC2:TIDIG_COMP_CNT: 0
; COMPUTE_PGM_RSRC3_GFX90A:ACCUM_OFFSET: 5
; COMPUTE_PGM_RSRC3_GFX90A:TG_SPLIT: 0
	.section	.text._ZL15flash_attn_tileILi128ELi128ELi8ELi4ELb0EEvPKcS1_S1_S1_S1_PKiPfP15HIP_vector_typeIfLj2EEffffjfiS5_IjLj3EEiiiiiiiiiiiliiliiiiil,"axG",@progbits,_ZL15flash_attn_tileILi128ELi128ELi8ELi4ELb0EEvPKcS1_S1_S1_S1_PKiPfP15HIP_vector_typeIfLj2EEffffjfiS5_IjLj3EEiiiiiiiiiiiliiliiiiil,comdat
	.globl	_ZL15flash_attn_tileILi128ELi128ELi8ELi4ELb0EEvPKcS1_S1_S1_S1_PKiPfP15HIP_vector_typeIfLj2EEffffjfiS5_IjLj3EEiiiiiiiiiiiliiliiiiil ; -- Begin function _ZL15flash_attn_tileILi128ELi128ELi8ELi4ELb0EEvPKcS1_S1_S1_S1_PKiPfP15HIP_vector_typeIfLj2EEffffjfiS5_IjLj3EEiiiiiiiiiiiliiliiiiil
	.p2align	8
	.type	_ZL15flash_attn_tileILi128ELi128ELi8ELi4ELb0EEvPKcS1_S1_S1_S1_PKiPfP15HIP_vector_typeIfLj2EEffffjfiS5_IjLj3EEiiiiiiiiiiiliiliiiiil,@function
_ZL15flash_attn_tileILi128ELi128ELi8ELi4ELb0EEvPKcS1_S1_S1_S1_PKiPfP15HIP_vector_typeIfLj2EEffffjfiS5_IjLj3EEiiiiiiiiiiiliiliiiiil: ; @_ZL15flash_attn_tileILi128ELi128ELi8ELi4ELb0EEvPKcS1_S1_S1_S1_PKiPfP15HIP_vector_typeIfLj2EEffffjfiS5_IjLj3EEiiiiiiiiiiiliiliiiiil
; %bb.0:
	s_load_dwordx4 s[60:63], s[4:5], 0x5c
	s_load_dwordx2 s[66:67], s[4:5], 0x80
	s_load_dwordx16 s[44:59], s[4:5], 0x0
	s_mov_b64 s[68:69], 0
	s_waitcnt lgkmcnt(0)
	s_ashr_i32 s0, s63, 31
	s_lshr_b32 s0, s0, 30
	s_add_i32 s0, s63, s0
	s_ashr_i32 s0, s0, 2
	v_cvt_f32_u32_e32 v1, s0
	s_sub_i32 s1, 0, s0
	v_rcp_iflag_f32_e32 v1, v1
	v_mul_f32_e32 v1, 0x4f7ffffe, v1
	v_cvt_u32_f32_e32 v1, v1
	v_readfirstlane_b32 s2, v1
	s_mul_i32 s1, s1, s2
	s_mul_hi_u32 s1, s2, s1
	s_add_i32 s2, s2, s1
	s_mul_hi_u32 s1, s8, s2
	s_mul_i32 s2, s1, s0
	s_sub_i32 s2, s8, s2
	s_add_i32 s3, s1, 1
	s_sub_i32 s9, s2, s0
	s_cmp_ge_u32 s2, s0
	s_cselect_b32 s1, s3, s1
	s_cselect_b32 s2, s9, s2
	s_add_i32 s3, s1, 1
	s_cmp_ge_u32 s2, s0
	s_cselect_b32 s33, s3, s1
	s_abs_i32 s0, s67
	v_cvt_f32_u32_e32 v1, s0
	s_lshl_b32 s1, s8, 2
	s_mul_i32 s8, s33, s63
	s_sub_i32 s9, 0, s0
	v_rcp_iflag_f32_e32 v1, v1
	s_sub_i32 s64, s1, s8
	s_abs_i32 s3, s63
	s_xor_b32 s2, s63, s67
	v_mul_f32_e32 v1, 0x4f7ffffe, v1
	v_cvt_u32_f32_e32 v1, v1
	s_ashr_i32 s2, s2, 31
	v_readfirstlane_b32 s1, v1
	s_mul_i32 s9, s9, s1
	s_mul_hi_u32 s8, s1, s9
	s_add_i32 s1, s1, s8
	s_mul_hi_u32 s1, s3, s1
	s_mul_i32 s8, s1, s0
	s_sub_i32 s3, s3, s8
	s_add_i32 s9, s1, 1
	s_sub_i32 s8, s3, s0
	s_cmp_ge_u32 s3, s0
	s_cselect_b32 s1, s9, s1
	s_cselect_b32 s3, s8, s3
	s_add_i32 s8, s1, 1
	s_cmp_ge_u32 s3, s0
	s_cselect_b32 s0, s8, s1
	s_xor_b32 s0, s0, s2
	s_sub_i32 s11, s0, s2
	s_abs_i32 s10, s11
	v_cvt_f32_u32_e32 v1, s10
	s_load_dwordx2 s[8:9], s[4:5], 0xb8
	s_cmp_eq_u64 s[50:51], 0
	v_rcp_iflag_f32_e32 v1, v1
	v_mul_f32_e32 v1, 0x4f7ffffe, v1
	v_cvt_u32_f32_e32 v1, v1
	v_readfirstlane_b32 s12, v1
	s_cbranch_scc1 .LBB21_2
; %bb.1:
	s_waitcnt lgkmcnt(0)
	s_abs_i32 s2, s8
	v_cvt_f32_u32_e32 v1, s2
	s_sub_i32 s13, 0, s2
	s_abs_i32 s8, s33
	s_ashr_i32 s3, s33, 31
	v_rcp_iflag_f32_e32 v1, v1
	s_load_dwordx2 s[0:1], s[4:5], 0xc8
	v_mul_f32_e32 v1, 0x4f7ffffe, v1
	v_cvt_u32_f32_e32 v1, v1
	v_readfirstlane_b32 s14, v1
	s_mul_i32 s13, s13, s14
	s_mul_hi_u32 s13, s14, s13
	s_add_i32 s14, s14, s13
	s_mul_hi_u32 s13, s8, s14
	s_mul_i32 s13, s13, s2
	s_sub_i32 s8, s8, s13
	s_sub_i32 s13, s8, s2
	s_cmp_ge_u32 s8, s2
	s_cselect_b32 s8, s13, s8
	s_sub_i32 s13, s8, s2
	s_cmp_ge_u32 s8, s2
	s_cselect_b32 s2, s13, s8
	s_xor_b32 s2, s2, s3
	s_sub_i32 s2, s2, s3
	s_ashr_i32 s3, s2, 31
	s_waitcnt lgkmcnt(0)
	s_mul_i32 s1, s2, s1
	s_mul_hi_u32 s8, s2, s0
	s_add_i32 s1, s8, s1
	s_mul_i32 s3, s3, s0
	s_add_i32 s1, s1, s3
	s_mul_i32 s2, s2, s0
	s_add_u32 s68, s50, s2
	s_addc_u32 s69, s51, s1
.LBB21_2:
	s_load_dwordx4 s[0:3], s[4:5], 0x70
	v_bfe_u32 v4, v0, 10, 10
	v_lshl_add_u32 v128, s6, 3, v4
	v_mul_hi_u32 v1, s60, v128
	v_add_u32_e32 v1, v128, v1
	s_waitcnt lgkmcnt(0)
	s_mul_i32 s2, s33, s2
	s_ashr_i32 s8, s2, 31
	s_mul_i32 s3, s64, s1
	s_add_u32 s2, s44, s2
	s_addc_u32 s8, s45, s8
	s_ashr_i32 s13, s3, 31
	s_add_u32 s18, s2, s3
	v_lshrrev_b32_e32 v1, s61, v1
	s_addc_u32 s8, s8, s13
	s_ashr_i32 s3, s1, 31
	s_mov_b32 s2, s1
	v_mul_lo_u32 v1, v1, s62
	s_lshr_b64 s[14:15], s[2:3], 2
	v_sub_u32_e32 v5, v128, v1
	s_ashr_i32 s2, s0, 31
	v_mov_b32_e32 v1, s0
	v_alignbit_b32 v1, s2, v1, 2
	v_mad_u64_u32 v[2:3], s[16:17], v1, v5, 0
	v_mov_b32_e32 v6, v3
	s_lshr_b32 s0, s2, 2
	v_mad_u64_u32 v[6:7], s[16:17], s0, v5, v[6:7]
	v_mov_b32_e32 v3, v6
	v_and_b32_e32 v112, 0x3ff, v0
	v_lshlrev_b64 v[0:1], 2, v[2:3]
	v_mov_b32_e32 v2, s8
	v_add_co_u32_e32 v0, vcc, s18, v0
	v_addc_co_u32_e32 v1, vcc, v2, v1, vcc
	v_lshlrev_b32_e32 v2, 4, v112
	v_add_co_u32_e32 v14, vcc, v0, v2
	v_addc_co_u32_e32 v15, vcc, 0, v1, vcc
	s_and_b32 s0, s1, -4
	v_mov_b32_e32 v0, s3
	v_add_co_u32_e32 v10, vcc, s0, v14
	v_addc_co_u32_e32 v11, vcc, v15, v0, vcc
	s_lshl_b64 s[14:15], s[14:15], 3
	v_mov_b32_e32 v16, s1
	global_load_dwordx4 v[0:3], v[14:15], off
	global_load_dwordx4 v[6:9], v[10:11], off
	v_mov_b32_e32 v11, s15
	v_add_co_u32_e32 v10, vcc, s14, v14
	v_alignbit_b32 v16, s3, v16, 2
	v_addc_co_u32_e32 v11, vcc, v15, v11, vcc
	v_mad_u64_u32 v[14:15], s[0:1], v16, 12, v[14:15]
	v_mov_b32_e32 v16, v15
	s_lshr_b32 s0, s3, 2
	v_mad_u64_u32 v[16:17], s[0:1], s0, 12, v[16:17]
	v_mov_b32_e32 v15, v16
	global_load_dwordx4 v[10:13], v[10:11], off
	s_load_dword s0, s[4:5], 0x40
	global_load_dwordx4 v[14:17], v[14:15], off
	v_lshlrev_b32_e32 v18, 8, v4
	v_lshlrev_b32_e32 v19, 1, v112
	v_add_lshl_u32 v18, v19, v18, 2
	v_add_u32_e32 v18, 0x2000, v18
	s_cmp_eq_u64 s[54:55], 0
	s_waitcnt vmcnt(3) lgkmcnt(0)
	v_pk_mul_f32 v[0:1], v[0:1], s[0:1] op_sel_hi:[1,0]
	v_pk_mul_f32 v[2:3], v[2:3], s[0:1] op_sel_hi:[1,0]
	v_cvt_f16_f32_e32 v19, v1
	v_cvt_f16_f32_e32 v20, v0
	;; [unrolled: 1-line block ×4, first 2 shown]
	s_waitcnt vmcnt(2)
	v_pk_mul_f32 v[0:1], v[6:7], s[0:1] op_sel_hi:[1,0]
	v_pk_mul_f32 v[2:3], v[8:9], s[0:1] op_sel_hi:[1,0]
	s_waitcnt vmcnt(1)
	v_pk_mul_f32 v[6:7], v[10:11], s[0:1] op_sel_hi:[1,0]
	v_pk_mul_f32 v[8:9], v[12:13], s[0:1] op_sel_hi:[1,0]
	v_cvt_f16_f32_e32 v10, v1
	v_cvt_f16_f32_e32 v11, v0
	v_cvt_f16_f32_e32 v12, v3
	v_cvt_f16_f32_e32 v13, v2
	s_waitcnt vmcnt(0)
	v_pk_mul_f32 v[0:1], v[14:15], s[0:1] op_sel_hi:[1,0]
	v_pk_mul_f32 v[2:3], v[16:17], s[0:1] op_sel_hi:[1,0]
	v_cvt_f16_f32_e32 v23, v7
	v_cvt_f16_f32_e32 v24, v6
	;; [unrolled: 1-line block ×8, first 2 shown]
	v_pack_b32_f16 v7, v22, v21
	v_pack_b32_f16 v6, v20, v19
	;; [unrolled: 1-line block ×6, first 2 shown]
	ds_write2_b64 v18, v[6:7], v[0:1] offset0:128 offset1:160
	v_pack_b32_f16 v1, v17, v16
	v_pack_b32_f16 v0, v15, v14
	ds_write2_b64 v18, v[2:3], v[0:1] offset0:192 offset1:224
	s_waitcnt lgkmcnt(0)
	s_barrier
	s_cbranch_scc1 .LBB21_4
; %bb.3:
	s_load_dword s0, s[4:5], 0xd0
	s_mov_b32 s1, 0
	s_waitcnt lgkmcnt(0)
	s_mul_i32 s0, s0, s33
	s_add_i32 s0, s0, s6
	s_lshl_b64 s[0:1], s[0:1], 2
	s_add_u32 s0, s54, s0
	s_addc_u32 s1, s55, s1
	s_load_dword s66, s[0:1], 0x0
.LBB21_4:
	s_lshl_b32 s60, s7, 6
	s_waitcnt lgkmcnt(0)
	s_cmp_lt_i32 s60, s66
	v_mbcnt_lo_u32_b32 v6, -1, 0
	s_cbranch_scc1 .LBB21_6
; %bb.5:
	v_mbcnt_hi_u32_b32 v119, -1, v6
	v_and_b32_e32 v0, 0x60, v119
	s_mov_b32 s2, 0
	v_add_u32_e32 v129, 32, v0
	v_xor_b32_e32 v132, 16, v119
	v_xor_b32_e32 v133, 8, v119
	;; [unrolled: 1-line block ×5, first 2 shown]
	s_mov_b64 s[0:1], 0
	s_mov_b32 s3, 0xfeffffff
	s_branch .LBB21_7
.LBB21_6:
	s_mov_b64 s[0:1], -1
                                        ; implicit-def: $sgpr3
                                        ; implicit-def: $sgpr2
                                        ; implicit-def: $vgpr119
                                        ; implicit-def: $vgpr129
                                        ; implicit-def: $vgpr132
                                        ; implicit-def: $vgpr133
                                        ; implicit-def: $vgpr134
                                        ; implicit-def: $vgpr131
                                        ; implicit-def: $vgpr130
.LBB21_7:
	v_lshlrev_b32_e32 v113, 2, v112
	s_andn2_b64 vcc, exec, s[0:1]
	v_mov_b32_e32 v3, s3
	v_mov_b32_e32 v115, s2
	;; [unrolled: 1-line block ×16, first 2 shown]
	s_cbranch_vccnz .LBB21_10
; %bb.8:
	s_sub_i32 s0, 0, s10
	s_mul_i32 s0, s0, s12
	s_mul_hi_u32 s0, s12, s0
	s_add_i32 s8, s12, s0
	s_load_dwordx2 s[12:13], s[4:5], 0x8c
	s_load_dwordx4 s[0:3], s[4:5], 0x98
	s_abs_i32 s6, s64
	s_mul_hi_u32 s8, s6, s8
	s_ashr_i32 s16, s64, 31
	s_waitcnt lgkmcnt(0)
	s_ashr_i32 s65, s12, 2
	s_ashr_i32 s61, s2, 2
	;; [unrolled: 1-line block ×4, first 2 shown]
	s_mul_i32 s1, s33, s1
	s_mul_hi_u32 s12, s33, s0
	s_add_i32 s1, s12, s1
	s_mul_i32 s12, s9, s0
	s_ashr_i32 s11, s11, 31
	s_add_i32 s1, s1, s12
	s_mul_i32 s0, s33, s0
	s_add_u32 s0, s46, s0
	s_mul_i32 s12, s8, s10
	s_addc_u32 s1, s47, s1
	s_sub_i32 s6, s6, s12
	s_xor_b32 s11, s16, s11
	s_add_i32 s12, s8, 1
	s_sub_i32 s16, s6, s10
	s_cmp_ge_u32 s6, s10
	s_cselect_b32 s8, s12, s8
	s_cselect_b32 s6, s16, s6
	s_add_i32 s12, s8, 1
	s_cmp_ge_u32 s6, s10
	s_cselect_b32 s6, s12, s8
	s_load_dwordx2 s[14:15], s[4:5], 0xa8
	s_xor_b32 s6, s6, s11
	s_sub_i32 s6, s6, s11
	s_mul_i32 s8, s6, s13
	s_ashr_i32 s10, s8, 31
	s_add_u32 s67, s0, s8
	s_addc_u32 s70, s1, s10
	s_waitcnt lgkmcnt(0)
	s_mul_i32 s0, s33, s15
	s_mul_hi_u32 s1, s33, s14
	s_add_i32 s0, s1, s0
	s_mul_i32 s9, s9, s14
	s_add_i32 s0, s0, s9
	s_mul_i32 s1, s33, s14
	s_add_u32 s1, s48, s1
	s_mul_i32 s6, s6, s3
	s_addc_u32 s0, s49, s0
	s_ashr_i32 s3, s6, 31
	s_add_u32 s71, s1, s6
	v_lshrrev_b32_e32 v0, 3, v112
	v_and_b32_e32 v2, 28, v113
	s_addc_u32 s72, s0, s3
	v_lshl_add_u32 v0, v4, 2, v0
	v_lshlrev_b32_e32 v1, 2, v2
	s_movk_i32 s0, 0x90
	v_mad_u32_u24 v135, v0, s0, v1
	v_mul_lo_u32 v8, s65, v0
	v_mov_b32_e32 v0, 0x2400
	v_lshl_add_u32 v138, v4, 10, v0
	v_mov_b32_e32 v0, 0x4400
	v_lshl_add_u32 v139, v4, 9, v0
	v_lshrrev_b32_e32 v0, 4, v112
	v_lshl_add_u32 v0, v4, 1, v0
	v_mad_u64_u32 v[118:119], s[0:1], v5, s2, v[112:113]
	v_and_b32_e32 v4, 60, v113
	v_mul_lo_u32 v14, s61, v0
	v_lshl_add_u32 v10, s65, 5, v8
	v_lshlrev_b32_e32 v1, 2, v4
	v_lshl_add_u32 v16, s61, 4, v14
	v_mbcnt_hi_u32_b32 v119, -1, v6
	v_mov_b32_e32 v13, 0
	v_ashrrev_i32_e32 v9, 31, v8
	v_ashrrev_i32_e32 v11, 31, v10
	v_lshlrev_b32_e32 v140, 3, v112
	v_lshl_or_b32 v141, v0, 8, v1
	v_ashrrev_i32_e32 v15, 31, v14
	v_ashrrev_i32_e32 v17, 31, v16
	s_add_u32 s54, s4, 0xd0
	v_mov_b32_e32 v0, 0xfeffffff
	v_and_b32_e32 v1, 0x60, v119
	v_add_u32_e32 v136, 0x1200, v135
	v_mul_u32_u24_e32 v137, 0x90, v112
	v_add_u32_e32 v142, 0x1000, v141
	s_addc_u32 s55, s5, 0
	v_lshlrev_b64 v[120:121], 2, v[8:9]
	v_lshlrev_b32_e32 v143, 2, v2
	v_lshlrev_b64 v[122:123], 2, v[10:11]
	v_add_u32_e32 v129, 32, v1
	v_xor_b32_e32 v132, 16, v119
	v_xor_b32_e32 v133, 8, v119
	;; [unrolled: 1-line block ×5, first 2 shown]
	v_mov_b32_e32 v144, s69
	s_mov_b32 s6, 0x40051340
	s_mov_b32 s69, 0x3fb8aa3b
	;; [unrolled: 1-line block ×4, first 2 shown]
	v_mov_b32_e32 v145, 0x7f800000
	v_add_u32_e32 v146, v139, v140
	v_lshlrev_b64 v[124:125], 2, v[14:15]
	v_lshlrev_b32_e32 v147, 2, v4
	v_lshlrev_b64 v[126:127], 2, v[16:17]
	v_add_u32_e32 v148, 0x800, v140
	v_add_u32_e32 v149, 0x1000, v140
	;; [unrolled: 1-line block ×3, first 2 shown]
	v_mov_b32_e32 v37, 0
	v_mov_b32_e32 v12, 0
	;; [unrolled: 1-line block ×14, first 2 shown]
.LBB21_9:                               ; =>This Inner Loop Header: Depth=1
	s_mul_hi_i32 s13, s60, s65
	s_mul_i32 s12, s60, s65
	v_cmp_lt_i32_e64 s[0:1], v133, v129
	v_add_u32_e32 v4, s60, v118
	v_cmp_lt_i32_e64 s[2:3], v134, v129
	v_cndmask_b32_e64 v7, v119, v133, s[0:1]
	s_lshl_b64 s[0:1], s[12:13], 2
	v_cmp_lt_i32_e32 vcc, v132, v129
	v_cmp_lt_i32_e64 s[10:11], v131, v129
	v_cmp_lt_i32_e64 s[8:9], v130, v129
	v_cndmask_b32_e64 v8, v119, v134, s[2:3]
	v_ashrrev_i32_e32 v5, 31, v4
	s_add_u32 s2, s67, s0
	v_cndmask_b32_e32 v6, v119, v132, vcc
	v_cndmask_b32_e64 v9, v119, v131, s[10:11]
	v_cndmask_b32_e64 v10, v119, v130, s[8:9]
	v_lshlrev_b64 v[4:5], 1, v[4:5]
	s_addc_u32 s8, s70, s1
	v_lshlrev_b32_e32 v44, 2, v6
	v_lshlrev_b32_e32 v43, 2, v7
	;; [unrolled: 1-line block ×3, first 2 shown]
	v_add_co_u32_e32 v4, vcc, s68, v4
	v_add_co_u32_e64 v6, s[0:1], s2, v122
	v_add_co_u32_e64 v7, s[2:3], s2, v120
	v_mov_b32_e32 v9, s8
	v_lshlrev_b32_e32 v42, 2, v8
	v_lshlrev_b32_e32 v40, 2, v10
	v_addc_co_u32_e32 v5, vcc, v144, v5, vcc
	v_mov_b32_e32 v10, s8
	v_add_co_u32_e64 v8, s[8:9], v7, v143
	v_addc_co_u32_e64 v7, s[2:3], v9, v121, s[2:3]
	v_add_co_u32_e32 v6, vcc, v6, v143
	v_addc_co_u32_e64 v10, s[0:1], v10, v123, s[0:1]
	v_addc_co_u32_e64 v9, s[8:9], 0, v7, s[8:9]
	v_addc_co_u32_e32 v7, vcc, 0, v10, vcc
	global_load_dwordx4 v[46:49], v[8:9], off
	global_load_dwordx4 v[50:53], v[6:7], off
	v_mov_b32_e32 v18, 0
	v_mov_b32_e32 v19, 0
	;; [unrolled: 1-line block ×8, first 2 shown]
	s_mul_hi_i32 s15, s60, s61
	s_mul_i32 s14, s60, s61
	s_lshl_b64 s[10:11], s[14:15], 2
	s_add_u32 s10, s71, s10
	s_addc_u32 s11, s72, s11
	s_or_b32 s12, s60, 32
	v_add_co_u32_e64 v11, s[0:1], s10, v124
	v_mov_b32_e32 v10, s11
	v_add_co_u32_e64 v28, s[2:3], s10, v126
	v_mov_b32_e32 v29, s11
	s_mul_hi_i32 s11, s12, s61
	s_mul_i32 s10, s12, s61
	v_add_co_u32_e64 v34, s[8:9], v11, v147
	v_addc_co_u32_e64 v10, s[0:1], v10, v125, s[0:1]
	v_addc_co_u32_e64 v11, s[0:1], v29, v127, s[2:3]
	s_lshl_b64 s[2:3], s[10:11], 2
	v_addc_co_u32_e64 v35, s[0:1], 0, v10, s[8:9]
	v_add_co_u32_e32 v32, vcc, v28, v147
	s_add_u32 s0, s71, s2
	v_addc_co_u32_e32 v33, vcc, 0, v11, vcc
	s_addc_u32 s2, s72, s3
	v_add_co_u32_e32 v10, vcc, s0, v126
	v_add_co_u32_e64 v11, s[0:1], s0, v124
	s_waitcnt vmcnt(1)
	ds_write_b128 v135, v[46:49]
	s_waitcnt vmcnt(0)
	ds_write_b128 v136, v[50:53]
	s_waitcnt lgkmcnt(0)
	s_barrier
	ds_read_b128 v[46:49], v138
	ds_read_b128 v[50:53], v137
	ds_read_b128 v[54:57], v137 offset:4608
	ds_read_b128 v[58:61], v138 offset:256
	;; [unrolled: 1-line block ×4, first 2 shown]
	s_waitcnt lgkmcnt(4)
	;;#ASMSTART
	v_dot2_f32_f16 v18, v50, v46, v18
	;;#ASMEND
	;;#ASMSTART
	v_dot2_f32_f16 v18, v51, v47, v18
	;;#ASMEND
	;;#ASMSTART
	v_dot2_f32_f16 v18, v52, v48, v18
	;;#ASMEND
	;;#ASMSTART
	v_dot2_f32_f16 v18, v53, v49, v18
	;;#ASMEND
	s_waitcnt lgkmcnt(2)
	;;#ASMSTART
	v_dot2_f32_f16 v19, v50, v58, v19
	;;#ASMEND
	;;#ASMSTART
	v_dot2_f32_f16 v19, v51, v59, v19
	;;#ASMEND
	;;#ASMSTART
	v_dot2_f32_f16 v19, v52, v60, v19
	;;#ASMEND
	;;#ASMSTART
	v_dot2_f32_f16 v19, v53, v61, v19
	;;#ASMEND
	;; [unrolled: 13-line block ×4, first 2 shown]
	;;#ASMSTART
	v_dot2_f32_f16 v22, v54, v46, v22
	;;#ASMEND
	;;#ASMSTART
	v_dot2_f32_f16 v22, v55, v47, v22
	;;#ASMEND
	;; [unrolled: 3-line block ×16, first 2 shown]
	ds_read_b128 v[46:49], v138 offset:16
	ds_read_b128 v[50:53], v137 offset:16
	;; [unrolled: 1-line block ×6, first 2 shown]
	s_waitcnt lgkmcnt(4)
	;;#ASMSTART
	v_dot2_f32_f16 v18, v50, v46, v18
	;;#ASMEND
	;;#ASMSTART
	v_dot2_f32_f16 v18, v51, v47, v18
	;;#ASMEND
	;;#ASMSTART
	v_dot2_f32_f16 v18, v52, v48, v18
	;;#ASMEND
	;;#ASMSTART
	v_dot2_f32_f16 v18, v53, v49, v18
	;;#ASMEND
	s_waitcnt lgkmcnt(2)
	;;#ASMSTART
	v_dot2_f32_f16 v19, v50, v58, v19
	;;#ASMEND
	;;#ASMSTART
	v_dot2_f32_f16 v19, v51, v59, v19
	;;#ASMEND
	;;#ASMSTART
	v_dot2_f32_f16 v19, v52, v60, v19
	;;#ASMEND
	;;#ASMSTART
	v_dot2_f32_f16 v19, v53, v61, v19
	;;#ASMEND
	;; [unrolled: 13-line block ×4, first 2 shown]
	;;#ASMSTART
	v_dot2_f32_f16 v22, v54, v46, v22
	;;#ASMEND
	;;#ASMSTART
	v_dot2_f32_f16 v22, v55, v47, v22
	;;#ASMEND
	;; [unrolled: 3-line block ×16, first 2 shown]
	ds_read_b128 v[46:49], v138 offset:32
	ds_read_b128 v[50:53], v137 offset:32
	;; [unrolled: 1-line block ×6, first 2 shown]
	s_waitcnt lgkmcnt(4)
	;;#ASMSTART
	v_dot2_f32_f16 v18, v50, v46, v18
	;;#ASMEND
	;;#ASMSTART
	v_dot2_f32_f16 v18, v51, v47, v18
	;;#ASMEND
	;;#ASMSTART
	v_dot2_f32_f16 v18, v52, v48, v18
	;;#ASMEND
	;;#ASMSTART
	v_dot2_f32_f16 v18, v53, v49, v18
	;;#ASMEND
	s_waitcnt lgkmcnt(2)
	;;#ASMSTART
	v_dot2_f32_f16 v19, v50, v58, v19
	;;#ASMEND
	;;#ASMSTART
	v_dot2_f32_f16 v19, v51, v59, v19
	;;#ASMEND
	;;#ASMSTART
	v_dot2_f32_f16 v19, v52, v60, v19
	;;#ASMEND
	;;#ASMSTART
	v_dot2_f32_f16 v19, v53, v61, v19
	;;#ASMEND
	;; [unrolled: 13-line block ×4, first 2 shown]
	;;#ASMSTART
	v_dot2_f32_f16 v22, v54, v46, v22
	;;#ASMEND
	;;#ASMSTART
	v_dot2_f32_f16 v22, v55, v47, v22
	;;#ASMEND
	;; [unrolled: 3-line block ×16, first 2 shown]
	ds_read_b128 v[46:49], v138 offset:48
	ds_read_b128 v[50:53], v137 offset:48
	;; [unrolled: 1-line block ×6, first 2 shown]
	s_waitcnt lgkmcnt(4)
	;;#ASMSTART
	v_dot2_f32_f16 v18, v50, v46, v18
	;;#ASMEND
	;;#ASMSTART
	v_dot2_f32_f16 v18, v51, v47, v18
	;;#ASMEND
	;;#ASMSTART
	v_dot2_f32_f16 v18, v52, v48, v18
	;;#ASMEND
	;;#ASMSTART
	v_dot2_f32_f16 v18, v53, v49, v18
	;;#ASMEND
	s_waitcnt lgkmcnt(2)
	;;#ASMSTART
	v_dot2_f32_f16 v19, v50, v58, v19
	;;#ASMEND
	;;#ASMSTART
	v_dot2_f32_f16 v19, v51, v59, v19
	;;#ASMEND
	;;#ASMSTART
	v_dot2_f32_f16 v19, v52, v60, v19
	;;#ASMEND
	;;#ASMSTART
	v_dot2_f32_f16 v19, v53, v61, v19
	;;#ASMEND
	;; [unrolled: 13-line block ×4, first 2 shown]
	;;#ASMSTART
	v_dot2_f32_f16 v22, v54, v46, v22
	;;#ASMEND
	;;#ASMSTART
	v_dot2_f32_f16 v22, v55, v47, v22
	;;#ASMEND
	;; [unrolled: 3-line block ×16, first 2 shown]
	ds_read_b128 v[46:49], v138 offset:64
	ds_read_b128 v[50:53], v137 offset:64
	;; [unrolled: 1-line block ×6, first 2 shown]
	s_waitcnt lgkmcnt(4)
	;;#ASMSTART
	v_dot2_f32_f16 v18, v50, v46, v18
	;;#ASMEND
	;;#ASMSTART
	v_dot2_f32_f16 v18, v51, v47, v18
	;;#ASMEND
	;;#ASMSTART
	v_dot2_f32_f16 v18, v52, v48, v18
	;;#ASMEND
	;;#ASMSTART
	v_dot2_f32_f16 v18, v53, v49, v18
	;;#ASMEND
	s_waitcnt lgkmcnt(2)
	;;#ASMSTART
	v_dot2_f32_f16 v19, v50, v58, v19
	;;#ASMEND
	;;#ASMSTART
	v_dot2_f32_f16 v19, v51, v59, v19
	;;#ASMEND
	;;#ASMSTART
	v_dot2_f32_f16 v19, v52, v60, v19
	;;#ASMEND
	;;#ASMSTART
	v_dot2_f32_f16 v19, v53, v61, v19
	;;#ASMEND
	;; [unrolled: 13-line block ×4, first 2 shown]
	;;#ASMSTART
	v_dot2_f32_f16 v22, v54, v46, v22
	;;#ASMEND
	;;#ASMSTART
	v_dot2_f32_f16 v22, v55, v47, v22
	;;#ASMEND
	;; [unrolled: 3-line block ×16, first 2 shown]
	ds_read_b128 v[46:49], v138 offset:80
	ds_read_b128 v[50:53], v137 offset:80
	;; [unrolled: 1-line block ×6, first 2 shown]
	s_waitcnt lgkmcnt(4)
	;;#ASMSTART
	v_dot2_f32_f16 v18, v50, v46, v18
	;;#ASMEND
	;;#ASMSTART
	v_dot2_f32_f16 v18, v51, v47, v18
	;;#ASMEND
	;;#ASMSTART
	v_dot2_f32_f16 v18, v52, v48, v18
	;;#ASMEND
	;;#ASMSTART
	v_dot2_f32_f16 v18, v53, v49, v18
	;;#ASMEND
	s_waitcnt lgkmcnt(2)
	;;#ASMSTART
	v_dot2_f32_f16 v19, v50, v58, v19
	;;#ASMEND
	;;#ASMSTART
	v_dot2_f32_f16 v19, v51, v59, v19
	;;#ASMEND
	;;#ASMSTART
	v_dot2_f32_f16 v19, v52, v60, v19
	;;#ASMEND
	;;#ASMSTART
	v_dot2_f32_f16 v19, v53, v61, v19
	;;#ASMEND
	;; [unrolled: 13-line block ×4, first 2 shown]
	;;#ASMSTART
	v_dot2_f32_f16 v22, v54, v46, v22
	;;#ASMEND
	;;#ASMSTART
	v_dot2_f32_f16 v22, v55, v47, v22
	;;#ASMEND
	;; [unrolled: 3-line block ×16, first 2 shown]
	ds_read_b128 v[46:49], v138 offset:96
	ds_read_b128 v[50:53], v137 offset:96
	;; [unrolled: 1-line block ×6, first 2 shown]
	s_waitcnt lgkmcnt(4)
	;;#ASMSTART
	v_dot2_f32_f16 v18, v50, v46, v18
	;;#ASMEND
	;;#ASMSTART
	v_dot2_f32_f16 v18, v51, v47, v18
	;;#ASMEND
	;;#ASMSTART
	v_dot2_f32_f16 v18, v52, v48, v18
	;;#ASMEND
	;;#ASMSTART
	v_dot2_f32_f16 v18, v53, v49, v18
	;;#ASMEND
	s_waitcnt lgkmcnt(2)
	;;#ASMSTART
	v_dot2_f32_f16 v19, v50, v58, v19
	;;#ASMEND
	;;#ASMSTART
	v_dot2_f32_f16 v19, v51, v59, v19
	;;#ASMEND
	;;#ASMSTART
	v_dot2_f32_f16 v19, v52, v60, v19
	;;#ASMEND
	;;#ASMSTART
	v_dot2_f32_f16 v19, v53, v61, v19
	;;#ASMEND
	;; [unrolled: 13-line block ×4, first 2 shown]
	;;#ASMSTART
	v_dot2_f32_f16 v22, v54, v46, v22
	;;#ASMEND
	;;#ASMSTART
	v_dot2_f32_f16 v22, v55, v47, v22
	;;#ASMEND
	;;#ASMSTART
	v_dot2_f32_f16 v22, v56, v48, v22
	;;#ASMEND
	;;#ASMSTART
	v_dot2_f32_f16 v22, v57, v49, v22
	;;#ASMEND
	;;#ASMSTART
	v_dot2_f32_f16 v23, v54, v58, v23
	;;#ASMEND
	;;#ASMSTART
	v_dot2_f32_f16 v23, v55, v59, v23
	;;#ASMEND
	;;#ASMSTART
	v_dot2_f32_f16 v23, v56, v60, v23
	;;#ASMEND
	;;#ASMSTART
	v_dot2_f32_f16 v23, v57, v61, v23
	;;#ASMEND
	;;#ASMSTART
	v_dot2_f32_f16 v39, v54, v62, v39
	;;#ASMEND
	;;#ASMSTART
	v_dot2_f32_f16 v39, v55, v63, v39
	;;#ASMEND
	;;#ASMSTART
	v_dot2_f32_f16 v39, v56, v64, v39
	;;#ASMEND
	;;#ASMSTART
	v_dot2_f32_f16 v39, v57, v65, v39
	;;#ASMEND
	;;#ASMSTART
	v_dot2_f32_f16 v21, v54, v66, v21
	;;#ASMEND
	;;#ASMSTART
	v_dot2_f32_f16 v21, v55, v67, v21
	;;#ASMEND
	;;#ASMSTART
	v_dot2_f32_f16 v21, v56, v68, v21
	;;#ASMEND
	;;#ASMSTART
	v_dot2_f32_f16 v21, v57, v69, v21
	;;#ASMEND
	ds_read_b128 v[46:49], v138 offset:112
	ds_read_b128 v[50:53], v137 offset:112
	;; [unrolled: 1-line block ×6, first 2 shown]
	s_waitcnt lgkmcnt(4)
	;;#ASMSTART
	v_dot2_f32_f16 v18, v50, v46, v18
	;;#ASMEND
	;;#ASMSTART
	v_dot2_f32_f16 v18, v51, v47, v18
	;;#ASMEND
	;;#ASMSTART
	v_dot2_f32_f16 v18, v52, v48, v18
	;;#ASMEND
	;;#ASMSTART
	v_dot2_f32_f16 v18, v53, v49, v18
	;;#ASMEND
	s_waitcnt lgkmcnt(2)
	;;#ASMSTART
	v_dot2_f32_f16 v19, v50, v58, v19
	;;#ASMEND
	;;#ASMSTART
	v_dot2_f32_f16 v19, v51, v59, v19
	;;#ASMEND
	;;#ASMSTART
	v_dot2_f32_f16 v19, v52, v60, v19
	;;#ASMEND
	;;#ASMSTART
	v_dot2_f32_f16 v19, v53, v61, v19
	;;#ASMEND
	;; [unrolled: 13-line block ×4, first 2 shown]
	;;#ASMSTART
	v_dot2_f32_f16 v22, v54, v46, v22
	;;#ASMEND
	;;#ASMSTART
	v_dot2_f32_f16 v22, v55, v47, v22
	;;#ASMEND
	;; [unrolled: 3-line block ×16, first 2 shown]
	s_barrier
	global_load_dwordx4 v[46:49], v[8:9], off offset:128
	global_load_dwordx4 v[50:53], v[6:7], off offset:128
	s_waitcnt vmcnt(1)
	ds_write_b128 v135, v[46:49]
	s_waitcnt vmcnt(0)
	ds_write_b128 v136, v[50:53]
	s_waitcnt lgkmcnt(0)
	s_barrier
	ds_read_b128 v[6:9], v138 offset:128
	ds_read_b128 v[46:49], v137
	ds_read_b128 v[50:53], v137 offset:4608
	ds_read_b128 v[54:57], v138 offset:384
	;; [unrolled: 1-line block ×4, first 2 shown]
	s_waitcnt lgkmcnt(4)
	;;#ASMSTART
	v_dot2_f32_f16 v18, v46, v6, v18
	;;#ASMEND
	;;#ASMSTART
	v_dot2_f32_f16 v18, v47, v7, v18
	;;#ASMEND
	;;#ASMSTART
	v_dot2_f32_f16 v18, v48, v8, v18
	;;#ASMEND
	;;#ASMSTART
	v_dot2_f32_f16 v18, v49, v9, v18
	;;#ASMEND
	s_waitcnt lgkmcnt(2)
	;;#ASMSTART
	v_dot2_f32_f16 v19, v46, v54, v19
	;;#ASMEND
	;;#ASMSTART
	v_dot2_f32_f16 v19, v47, v55, v19
	;;#ASMEND
	;;#ASMSTART
	v_dot2_f32_f16 v19, v48, v56, v19
	;;#ASMEND
	;;#ASMSTART
	v_dot2_f32_f16 v19, v49, v57, v19
	;;#ASMEND
	;; [unrolled: 13-line block ×4, first 2 shown]
	;;#ASMSTART
	v_dot2_f32_f16 v22, v50, v6, v22
	;;#ASMEND
	;;#ASMSTART
	v_dot2_f32_f16 v22, v51, v7, v22
	;;#ASMEND
	;; [unrolled: 3-line block ×16, first 2 shown]
	ds_read_b128 v[6:9], v138 offset:144
	ds_read_b128 v[46:49], v137 offset:16
	;; [unrolled: 1-line block ×6, first 2 shown]
	s_waitcnt lgkmcnt(4)
	;;#ASMSTART
	v_dot2_f32_f16 v18, v46, v6, v18
	;;#ASMEND
	;;#ASMSTART
	v_dot2_f32_f16 v18, v47, v7, v18
	;;#ASMEND
	;;#ASMSTART
	v_dot2_f32_f16 v18, v48, v8, v18
	;;#ASMEND
	;;#ASMSTART
	v_dot2_f32_f16 v18, v49, v9, v18
	;;#ASMEND
	s_waitcnt lgkmcnt(2)
	;;#ASMSTART
	v_dot2_f32_f16 v19, v46, v54, v19
	;;#ASMEND
	;;#ASMSTART
	v_dot2_f32_f16 v19, v47, v55, v19
	;;#ASMEND
	;;#ASMSTART
	v_dot2_f32_f16 v19, v48, v56, v19
	;;#ASMEND
	;;#ASMSTART
	v_dot2_f32_f16 v19, v49, v57, v19
	;;#ASMEND
	;; [unrolled: 13-line block ×4, first 2 shown]
	;;#ASMSTART
	v_dot2_f32_f16 v22, v50, v6, v22
	;;#ASMEND
	;;#ASMSTART
	v_dot2_f32_f16 v22, v51, v7, v22
	;;#ASMEND
	;; [unrolled: 3-line block ×16, first 2 shown]
	ds_read_b128 v[6:9], v138 offset:160
	ds_read_b128 v[46:49], v137 offset:32
	;; [unrolled: 1-line block ×6, first 2 shown]
	s_waitcnt lgkmcnt(4)
	;;#ASMSTART
	v_dot2_f32_f16 v18, v46, v6, v18
	;;#ASMEND
	;;#ASMSTART
	v_dot2_f32_f16 v18, v47, v7, v18
	;;#ASMEND
	;;#ASMSTART
	v_dot2_f32_f16 v18, v48, v8, v18
	;;#ASMEND
	;;#ASMSTART
	v_dot2_f32_f16 v18, v49, v9, v18
	;;#ASMEND
	s_waitcnt lgkmcnt(2)
	;;#ASMSTART
	v_dot2_f32_f16 v19, v46, v54, v19
	;;#ASMEND
	;;#ASMSTART
	v_dot2_f32_f16 v19, v47, v55, v19
	;;#ASMEND
	;;#ASMSTART
	v_dot2_f32_f16 v19, v48, v56, v19
	;;#ASMEND
	;;#ASMSTART
	v_dot2_f32_f16 v19, v49, v57, v19
	;;#ASMEND
	;; [unrolled: 13-line block ×4, first 2 shown]
	;;#ASMSTART
	v_dot2_f32_f16 v22, v50, v6, v22
	;;#ASMEND
	;;#ASMSTART
	v_dot2_f32_f16 v22, v51, v7, v22
	;;#ASMEND
	;; [unrolled: 3-line block ×16, first 2 shown]
	ds_read_b128 v[6:9], v138 offset:176
	ds_read_b128 v[46:49], v137 offset:48
	;; [unrolled: 1-line block ×6, first 2 shown]
	s_waitcnt lgkmcnt(4)
	;;#ASMSTART
	v_dot2_f32_f16 v18, v46, v6, v18
	;;#ASMEND
	;;#ASMSTART
	v_dot2_f32_f16 v18, v47, v7, v18
	;;#ASMEND
	;;#ASMSTART
	v_dot2_f32_f16 v18, v48, v8, v18
	;;#ASMEND
	;;#ASMSTART
	v_dot2_f32_f16 v18, v49, v9, v18
	;;#ASMEND
	s_waitcnt lgkmcnt(2)
	;;#ASMSTART
	v_dot2_f32_f16 v19, v46, v54, v19
	;;#ASMEND
	;;#ASMSTART
	v_dot2_f32_f16 v19, v47, v55, v19
	;;#ASMEND
	;;#ASMSTART
	v_dot2_f32_f16 v19, v48, v56, v19
	;;#ASMEND
	;;#ASMSTART
	v_dot2_f32_f16 v19, v49, v57, v19
	;;#ASMEND
	;; [unrolled: 13-line block ×4, first 2 shown]
	;;#ASMSTART
	v_dot2_f32_f16 v22, v50, v6, v22
	;;#ASMEND
	;;#ASMSTART
	v_dot2_f32_f16 v22, v51, v7, v22
	;;#ASMEND
	;; [unrolled: 3-line block ×16, first 2 shown]
	ds_read_b128 v[6:9], v138 offset:192
	ds_read_b128 v[46:49], v137 offset:64
	;; [unrolled: 1-line block ×6, first 2 shown]
	s_waitcnt lgkmcnt(4)
	;;#ASMSTART
	v_dot2_f32_f16 v18, v46, v6, v18
	;;#ASMEND
	;;#ASMSTART
	v_dot2_f32_f16 v18, v47, v7, v18
	;;#ASMEND
	;;#ASMSTART
	v_dot2_f32_f16 v18, v48, v8, v18
	;;#ASMEND
	;;#ASMSTART
	v_dot2_f32_f16 v18, v49, v9, v18
	;;#ASMEND
	s_waitcnt lgkmcnt(2)
	;;#ASMSTART
	v_dot2_f32_f16 v19, v46, v54, v19
	;;#ASMEND
	;;#ASMSTART
	v_dot2_f32_f16 v19, v47, v55, v19
	;;#ASMEND
	;;#ASMSTART
	v_dot2_f32_f16 v19, v48, v56, v19
	;;#ASMEND
	;;#ASMSTART
	v_dot2_f32_f16 v19, v49, v57, v19
	;;#ASMEND
	;; [unrolled: 13-line block ×4, first 2 shown]
	;;#ASMSTART
	v_dot2_f32_f16 v22, v50, v6, v22
	;;#ASMEND
	;;#ASMSTART
	v_dot2_f32_f16 v22, v51, v7, v22
	;;#ASMEND
	;; [unrolled: 3-line block ×16, first 2 shown]
	ds_read_b128 v[6:9], v138 offset:208
	ds_read_b128 v[46:49], v137 offset:80
	;; [unrolled: 1-line block ×6, first 2 shown]
	s_waitcnt lgkmcnt(4)
	;;#ASMSTART
	v_dot2_f32_f16 v18, v46, v6, v18
	;;#ASMEND
	;;#ASMSTART
	v_dot2_f32_f16 v18, v47, v7, v18
	;;#ASMEND
	;;#ASMSTART
	v_dot2_f32_f16 v18, v48, v8, v18
	;;#ASMEND
	;;#ASMSTART
	v_dot2_f32_f16 v18, v49, v9, v18
	;;#ASMEND
	s_waitcnt lgkmcnt(2)
	;;#ASMSTART
	v_dot2_f32_f16 v19, v46, v54, v19
	;;#ASMEND
	;;#ASMSTART
	v_dot2_f32_f16 v19, v47, v55, v19
	;;#ASMEND
	;;#ASMSTART
	v_dot2_f32_f16 v19, v48, v56, v19
	;;#ASMEND
	;;#ASMSTART
	v_dot2_f32_f16 v19, v49, v57, v19
	;;#ASMEND
	s_waitcnt lgkmcnt(1)
	;;#ASMSTART
	v_dot2_f32_f16 v38, v46, v58, v38
	;;#ASMEND
	;;#ASMSTART
	v_dot2_f32_f16 v38, v47, v59, v38
	;;#ASMEND
	;;#ASMSTART
	v_dot2_f32_f16 v38, v48, v60, v38
	;;#ASMEND
	;;#ASMSTART
	v_dot2_f32_f16 v38, v49, v61, v38
	;;#ASMEND
	s_waitcnt lgkmcnt(0)
	;;#ASMSTART
	v_dot2_f32_f16 v20, v46, v62, v20
	;;#ASMEND
	;;#ASMSTART
	v_dot2_f32_f16 v20, v47, v63, v20
	;;#ASMEND
	;;#ASMSTART
	v_dot2_f32_f16 v20, v48, v64, v20
	;;#ASMEND
	;;#ASMSTART
	v_dot2_f32_f16 v20, v49, v65, v20
	;;#ASMEND
	;;#ASMSTART
	v_dot2_f32_f16 v22, v50, v6, v22
	;;#ASMEND
	;;#ASMSTART
	v_dot2_f32_f16 v22, v51, v7, v22
	;;#ASMEND
	;; [unrolled: 3-line block ×16, first 2 shown]
	ds_read_b128 v[6:9], v138 offset:224
	ds_read_b128 v[46:49], v137 offset:96
	;; [unrolled: 1-line block ×6, first 2 shown]
	s_waitcnt lgkmcnt(4)
	;;#ASMSTART
	v_dot2_f32_f16 v18, v46, v6, v18
	;;#ASMEND
	;;#ASMSTART
	v_dot2_f32_f16 v18, v47, v7, v18
	;;#ASMEND
	;;#ASMSTART
	v_dot2_f32_f16 v18, v48, v8, v18
	;;#ASMEND
	;;#ASMSTART
	v_dot2_f32_f16 v18, v49, v9, v18
	;;#ASMEND
	s_waitcnt lgkmcnt(2)
	;;#ASMSTART
	v_dot2_f32_f16 v19, v46, v54, v19
	;;#ASMEND
	;;#ASMSTART
	v_dot2_f32_f16 v19, v47, v55, v19
	;;#ASMEND
	;;#ASMSTART
	v_dot2_f32_f16 v19, v48, v56, v19
	;;#ASMEND
	;;#ASMSTART
	v_dot2_f32_f16 v19, v49, v57, v19
	;;#ASMEND
	;; [unrolled: 13-line block ×4, first 2 shown]
	;;#ASMSTART
	v_dot2_f32_f16 v22, v50, v6, v22
	;;#ASMEND
	;;#ASMSTART
	v_dot2_f32_f16 v22, v51, v7, v22
	;;#ASMEND
	;; [unrolled: 3-line block ×16, first 2 shown]
	ds_read_b128 v[6:9], v138 offset:240
	ds_read_b128 v[46:49], v137 offset:112
	;; [unrolled: 1-line block ×6, first 2 shown]
	s_waitcnt lgkmcnt(4)
	;;#ASMSTART
	v_dot2_f32_f16 v18, v46, v6, v18
	;;#ASMEND
	;;#ASMSTART
	v_dot2_f32_f16 v18, v47, v7, v18
	;;#ASMEND
	;;#ASMSTART
	v_dot2_f32_f16 v18, v48, v8, v18
	;;#ASMEND
	;;#ASMSTART
	v_dot2_f32_f16 v18, v49, v9, v18
	;;#ASMEND
	s_waitcnt lgkmcnt(2)
	;;#ASMSTART
	v_dot2_f32_f16 v19, v46, v54, v19
	;;#ASMEND
	;;#ASMSTART
	v_dot2_f32_f16 v19, v47, v55, v19
	;;#ASMEND
	;;#ASMSTART
	v_dot2_f32_f16 v19, v48, v56, v19
	;;#ASMEND
	;;#ASMSTART
	v_dot2_f32_f16 v19, v49, v57, v19
	;;#ASMEND
	;; [unrolled: 13-line block ×4, first 2 shown]
	;;#ASMSTART
	v_dot2_f32_f16 v22, v50, v6, v22
	;;#ASMEND
	;;#ASMSTART
	v_dot2_f32_f16 v22, v51, v7, v22
	;;#ASMEND
	;; [unrolled: 3-line block ×16, first 2 shown]
	flat_load_ushort v45, v[4:5]
	flat_load_ushort v46, v[4:5] offset:64
	v_mov_b32_e32 v29, s2
	v_mov_b32_e32 v31, s2
	v_add_co_u32_e64 v28, s[2:3], v10, v147
	v_add_co_u32_e64 v30, s[8:9], v11, v147
	v_addc_co_u32_e64 v10, s[0:1], v29, v125, s[0:1]
	v_addc_co_u32_e32 v11, vcc, v31, v127, vcc
	v_addc_co_u32_e64 v31, vcc, 0, v10, s[8:9]
	v_addc_co_u32_e64 v29, vcc, 0, v11, s[2:3]
	s_waitcnt lgkmcnt(0)
	s_barrier
	global_load_dwordx4 v[4:7], v[34:35], off
	global_load_dwordx4 v[8:11], v[32:33], off
	v_mov_b32_e32 v24, v2
	v_mov_b32_e32 v25, v3
	;; [unrolled: 1-line block ×4, first 2 shown]
	s_waitcnt vmcnt(0)
	v_cvt_f32_f16_e32 v32, v45
	v_cvt_f32_f16_e32 v33, v46
	v_add_f32_e32 v34, v38, v32
	v_pk_add_f32 v[20:21], v[20:21], v[32:33]
	v_add_f32_e32 v38, v39, v33
	v_pk_add_f32 v[18:19], v[18:19], v[32:33] op_sel_hi:[1,0]
	v_mov_b32_e32 v32, v33
	v_mov_b32_e32 v35, v20
	;; [unrolled: 1-line block ×3, first 2 shown]
	v_pk_add_f32 v[22:23], v[22:23], v[32:33] op_sel_hi:[1,0]
	v_pk_add_f32 v[32:33], v[34:35], s[6:7] op_sel_hi:[1,0]
	;; [unrolled: 1-line block ×5, first 2 shown]
	v_max3_f32 v3, v3, v33, v49
	v_max3_f32 v2, v2, v32, v48
	;; [unrolled: 1-line block ×4, first 2 shown]
	ds_bpermute_b32 v32, v44, v3
	ds_bpermute_b32 v33, v44, v2
	ds_bpermute_b32 v35, v44, v1
	ds_bpermute_b32 v39, v44, v0
	s_waitcnt lgkmcnt(3)
	v_max_f32_e32 v32, v32, v32
	s_waitcnt lgkmcnt(2)
	v_max_f32_e32 v33, v33, v33
	s_waitcnt lgkmcnt(1)
	v_max_f32_e32 v35, v35, v35
	s_waitcnt lgkmcnt(0)
	v_max_f32_e32 v39, v39, v39
	v_max_f32_e32 v3, v3, v32
	v_max_f32_e32 v2, v2, v33
	v_max_f32_e32 v1, v1, v35
	v_max_f32_e32 v0, v0, v39
	ds_bpermute_b32 v32, v43, v3
	ds_bpermute_b32 v33, v43, v2
	ds_bpermute_b32 v35, v43, v1
	ds_bpermute_b32 v39, v43, v0
	s_waitcnt lgkmcnt(3)
	v_max_f32_e32 v32, v32, v32
	s_waitcnt lgkmcnt(2)
	v_max_f32_e32 v33, v33, v33
	s_waitcnt lgkmcnt(1)
	v_max_f32_e32 v35, v35, v35
	s_waitcnt lgkmcnt(0)
	v_max_f32_e32 v39, v39, v39
	v_max_f32_e32 v3, v3, v32
	v_max_f32_e32 v2, v2, v33
	v_max_f32_e32 v1, v1, v35
	v_max_f32_e32 v0, v0, v39
	;; [unrolled: 16-line block ×5, first 2 shown]
	v_sub_f32_e32 v33, v34, v2
	v_sub_f32_e32 v34, v38, v2
	v_pk_add_f32 v[24:25], v[24:25], v[2:3] neg_lo:[0,1] neg_hi:[0,1]
	v_mov_b32_e32 v32, v3
	v_pk_add_f32 v[18:19], v[18:19], v[0:1] neg_lo:[0,1] neg_hi:[0,1]
	v_pk_add_f32 v[22:23], v[22:23], v[0:1] neg_lo:[0,1] neg_hi:[0,1]
	;; [unrolled: 1-line block ×3, first 2 shown]
	v_mul_f32_e32 v35, 0x3fb8aa3b, v33
	v_mul_f32_e32 v38, 0x3fb8aa3b, v34
	v_mul_f32_e32 v39, 0x3fb8aa3b, v25
	v_mul_f32_e32 v40, 0x3fb8aa3b, v24
	v_pk_add_f32 v[20:21], v[20:21], v[32:33] op_sel_hi:[1,0] neg_lo:[0,1] neg_hi:[0,1]
	v_mul_f32_e32 v32, 0x3fb8aa3b, v19
	v_mul_f32_e32 v41, 0x3fb8aa3b, v18
	;; [unrolled: 1-line block ×5, first 2 shown]
	v_fma_f32 v46, v33, s69, -v35
	v_rndne_f32_e32 v47, v35
	v_fma_f32 v48, v34, s69, -v38
	v_rndne_f32_e32 v49, v38
	;; [unrolled: 2-line block ×4, first 2 shown]
	v_mul_f32_e32 v54, 0x3fb8aa3b, v21
	v_mul_f32_e32 v55, 0x3fb8aa3b, v20
	;; [unrolled: 1-line block ×3, first 2 shown]
	v_cmp_ngt_f32_e32 vcc, s73, v34
	v_cmp_ngt_f32_e64 s[0:1], s73, v25
	v_cmp_ngt_f32_e64 s[50:51], s73, v24
	v_cmp_ngt_f32_e64 s[36:37], s73, v33
	v_cmp_nlt_f32_e64 s[18:19], s74, v34
	v_cmp_nlt_f32_e64 s[20:21], s74, v25
	;; [unrolled: 1-line block ×4, first 2 shown]
	v_fma_f32 v56, v19, s69, -v32
	v_rndne_f32_e32 v57, v32
	v_fma_f32 v58, v18, s69, -v41
	v_rndne_f32_e32 v59, v41
	;; [unrolled: 2-line block ×5, first 2 shown]
	v_fmac_f32_e32 v46, 0x32a5705f, v33
	v_sub_f32_e32 v33, v35, v47
	v_cvt_i32_f32_e32 v35, v47
	v_fmac_f32_e32 v48, 0x32a5705f, v34
	v_sub_f32_e32 v34, v38, v49
	v_cvt_i32_f32_e32 v38, v49
	;; [unrolled: 3-line block ×4, first 2 shown]
	v_fma_f32 v47, v21, s69, -v54
	v_rndne_f32_e32 v49, v54
	v_fma_f32 v51, v20, s69, -v55
	v_rndne_f32_e32 v53, v55
	v_cmp_ngt_f32_e64 s[2:3], s73, v19
	v_cmp_ngt_f32_e64 s[8:9], s73, v18
	;; [unrolled: 1-line block ×5, first 2 shown]
	v_cmp_nlt_f32_e64 s[24:25], s74, v19
	v_cmp_nlt_f32_e64 s[26:27], s74, v18
	;; [unrolled: 1-line block ×5, first 2 shown]
	v_fma_f32 v66, v26, s69, -v45
	v_rndne_f32_e32 v67, v45
	v_cmp_ngt_f32_e64 s[44:45], s73, v21
	v_cmp_ngt_f32_e64 s[46:47], s73, v20
	v_cmp_nlt_f32_e64 s[42:43], s74, v20
	v_cmp_nlt_f32_e64 s[48:49], s74, v21
	v_fmac_f32_e32 v56, 0x32a5705f, v19
	v_sub_f32_e32 v19, v32, v57
	v_fmac_f32_e32 v58, 0x32a5705f, v18
	v_sub_f32_e32 v18, v41, v59
	;; [unrolled: 2-line block ×5, first 2 shown]
	v_add_f32_e32 v33, v33, v46
	v_add_f32_e32 v34, v34, v48
	v_fmac_f32_e32 v47, 0x32a5705f, v21
	v_sub_f32_e32 v21, v54, v49
	v_fmac_f32_e32 v51, 0x32a5705f, v20
	v_sub_f32_e32 v20, v55, v53
	v_cmp_ngt_f32_e64 s[16:17], s73, v26
	v_cmp_nlt_f32_e64 s[38:39], s74, v26
	v_fmac_f32_e32 v66, 0x32a5705f, v26
	v_sub_f32_e32 v26, v45, v67
	v_add_f32_e32 v25, v25, v50
	v_add_f32_e32 v24, v24, v52
	;; [unrolled: 1-line block ×7, first 2 shown]
	v_exp_f32_e32 v33, v33
	v_exp_f32_e32 v34, v34
	v_add_f32_e32 v21, v21, v47
	v_add_f32_e32 v20, v20, v51
	v_cvt_i32_f32_e32 v32, v57
	v_cvt_i32_f32_e32 v41, v59
	v_cvt_i32_f32_e32 v42, v61
	v_cvt_i32_f32_e32 v43, v63
	v_cvt_i32_f32_e32 v44, v65
	v_cvt_i32_f32_e32 v46, v49
	v_cvt_i32_f32_e32 v48, v53
	v_add_f32_e32 v26, v26, v66
	v_exp_f32_e32 v25, v25
	v_exp_f32_e32 v24, v24
	;; [unrolled: 1-line block ×9, first 2 shown]
	v_cvt_i32_f32_e32 v45, v67
	v_exp_f32_e32 v26, v26
	v_ldexp_f32 v33, v33, v35
	v_ldexp_f32 v34, v34, v38
	;; [unrolled: 1-line block ×9, first 2 shown]
	v_cndmask_b32_e64 v32, 0, v33, s[36:37]
	v_cndmask_b32_e32 v33, 0, v34, vcc
	v_ldexp_f32 v21, v21, v46
	v_ldexp_f32 v34, v20, v48
	;; [unrolled: 1-line block ×3, first 2 shown]
	v_cndmask_b32_e64 v25, 0, v25, s[0:1]
	v_cndmask_b32_e64 v24, 0, v24, s[50:51]
	;; [unrolled: 1-line block ×22, first 2 shown]
	v_cvt_f16_f32_e32 v35, v18
	v_cvt_f16_f32_e32 v38, v20
	;; [unrolled: 1-line block ×9, first 2 shown]
	v_pk_add_f32 v[24:25], v[24:25], v[26:27]
	v_cvt_f16_f32_e32 v26, v19
	v_cvt_f16_f32_e32 v27, v21
	;; [unrolled: 1-line block ×3, first 2 shown]
	v_pk_add_f32 v[18:19], v[18:19], v[20:21]
	v_pk_mul_f16 v160, v110, v12 op_sel_hi:[0,1]
	v_pk_mul_f16 v161, v34, v15 op_sel_hi:[0,1]
	;; [unrolled: 1-line block ×4, first 2 shown]
	v_pack_b32_f16 v12, v40, v39
	v_pack_b32_f16 v14, v41, v42
	;; [unrolled: 1-line block ×4, first 2 shown]
	v_pk_fma_f32 v[116:117], v[116:117], v[32:33], v[24:25]
	v_pk_fma_f32 v[114:115], v[114:115], v[22:23], v[18:19]
	ds_write2_b64 v146, v[12:13], v[14:15] offset1:32
	ds_write_b128 v141, v[4:7]
	ds_write_b128 v142, v[8:11]
	s_waitcnt lgkmcnt(0)
	s_barrier
	ds_read2_b64 v[4:7], v140 offset1:32
	ds_read_b128 v[8:11], v139
	ds_read_b128 v[12:15], v139 offset:16
	ds_read_b128 v[18:21], v139 offset:32
	ds_read_b128 v[22:25], v139 offset:48
	ds_read2_b64 v[32:35], v140 offset0:64 offset1:96
	ds_read2_b64 v[38:41], v140 offset0:128 offset1:160
	;; [unrolled: 1-line block ×3, first 2 shown]
	ds_read2_b64 v[46:49], v148 offset1:32
	ds_read2_b64 v[50:53], v148 offset0:64 offset1:96
	ds_read_b128 v[54:57], v139 offset:64
	ds_read_b128 v[58:61], v139 offset:80
	ds_read2_b64 v[62:65], v148 offset0:128 offset1:160
	ds_read2_b64 v[66:69], v148 offset0:192 offset1:224
	ds_read_b128 v[70:73], v139 offset:96
	ds_read_b128 v[74:77], v139 offset:112
	ds_read2_b64 v[78:81], v149 offset1:32
	ds_read2_b64 v[82:85], v149 offset0:64 offset1:96
	ds_read_b128 v[86:89], v139 offset:128
	ds_read_b128 v[90:93], v139 offset:144
	ds_read2_b64 v[94:97], v149 offset0:128 offset1:160
	ds_read2_b64 v[98:101], v149 offset0:192 offset1:224
	ds_read_b128 v[102:105], v139 offset:160
	ds_read_b128 v[106:109], v139 offset:176
	ds_read2_b64 v[152:155], v150 offset1:32
	s_waitcnt lgkmcnt(14)
	v_pk_mul_f16 v26, v4, v8 op_sel_hi:[1,0]
	v_pk_mul_f16 v16, v111, v16 op_sel_hi:[0,1]
	v_pk_fma_f16 v26, v111, v37, v26 op_sel_hi:[0,1,1]
	v_pk_mul_f16 v27, v4, v8 op_sel:[0,1]
	v_pk_mul_f16 v37, v4, v9 op_sel_hi:[1,0]
	v_pk_fma_f16 v27, v151, v36, v27 op_sel_hi:[0,1,1]
	v_pk_fma_f16 v17, v110, v17, v37 op_sel_hi:[0,1,1]
	v_pk_fma_f16 v4, v4, v9, v161 op_sel:[0,1,0]
	v_pk_fma_f16 v16, v5, v8, v16 op_sel_hi:[1,0,1]
	v_pk_fma_f16 v8, v5, v8, v163 op_sel:[0,1,0]
	;; [unrolled: 2-line block ×3, first 2 shown]
	v_pk_fma_f16 v37, v6, v11, v4 op_sel:[0,1,0]
	v_pk_fma_f16 v16, v7, v10, v16 op_sel_hi:[1,0,1]
	v_pk_fma_f16 v110, v7, v10, v8 op_sel:[0,1,0]
	v_pk_fma_f16 v36, v7, v11, v36 op_sel_hi:[1,0,1]
	;; [unrolled: 2-line block ×24, first 2 shown]
	ds_read2_b64 v[156:159], v150 offset0:64 offset1:96
	ds_read_b128 v[4:7], v139 offset:192
	ds_read_b128 v[8:11], v139 offset:208
	ds_read2_b64 v[12:15], v150 offset0:128 offset1:160
	ds_read2_b64 v[32:35], v150 offset0:192 offset1:224
	ds_read_b128 v[16:19], v139 offset:224
	ds_read_b128 v[36:39], v139 offset:240
	s_waitcnt lgkmcnt(0)
	s_barrier
	v_pk_fma_f16 v40, v44, v25, v40 op_sel:[0,1,0]
	v_pk_fma_f16 v42, v45, v24, v110 op_sel_hi:[1,0,1]
	v_pk_fma_f16 v43, v45, v24, v27 op_sel:[0,1,0]
	v_pk_fma_f16 v110, v45, v25, v111 op_sel_hi:[1,0,1]
	;; [unrolled: 2-line block ×4, first 2 shown]
	global_load_dwordx4 v[20:23], v[30:31], off
	global_load_dwordx4 v[24:27], v[28:29], off
	v_pk_fma_f16 v28, v46, v55, v40 op_sel:[0,1,0]
	v_pk_fma_f16 v29, v47, v54, v42 op_sel_hi:[1,0,1]
	v_pk_fma_f16 v30, v47, v54, v43 op_sel:[0,1,0]
	v_pk_fma_f16 v31, v47, v55, v110 op_sel_hi:[1,0,1]
	;; [unrolled: 2-line block ×96, first 2 shown]
	s_waitcnt vmcnt(1)
	ds_write_b128 v141, v[20:23]
	s_waitcnt vmcnt(0)
	ds_write_b128 v142, v[24:27]
	s_waitcnt lgkmcnt(0)
	s_barrier
	ds_read2_b64 v[104:107], v140 offset1:32
	ds_read_b128 v[108:111], v139 offset:256
	ds_read_b128 v[28:31], v139 offset:272
	;; [unrolled: 1-line block ×4, first 2 shown]
	ds_read2_b64 v[64:67], v140 offset0:64 offset1:96
	ds_read2_b64 v[20:23], v140 offset0:128 offset1:160
	;; [unrolled: 1-line block ×3, first 2 shown]
	ds_read2_b64 v[16:19], v148 offset1:32
	ds_read2_b64 v[24:27], v148 offset0:64 offset1:96
	ds_read_b128 v[52:55], v139 offset:320
	ds_read_b128 v[32:35], v139 offset:336
	ds_read2_b64 v[36:39], v148 offset0:128 offset1:160
	ds_read2_b64 v[40:43], v148 offset0:192 offset1:224
	ds_read_b128 v[72:75], v139 offset:352
	ds_read_b128 v[44:47], v139 offset:368
	ds_read2_b64 v[48:51], v149 offset1:32
	ds_read2_b64 v[56:59], v149 offset0:64 offset1:96
	ds_read_b128 v[88:91], v139 offset:384
	ds_read_b128 v[60:63], v139 offset:400
	ds_read2_b64 v[68:71], v149 offset0:128 offset1:160
	ds_read2_b64 v[76:79], v149 offset0:192 offset1:224
	ds_read_b128 v[96:99], v139 offset:416
	ds_read_b128 v[80:83], v139 offset:432
	ds_read2_b64 v[84:87], v150 offset1:32
	ds_read2_b64 v[92:95], v150 offset0:64 offset1:96
	ds_read_b128 v[100:103], v139 offset:448
	s_waitcnt lgkmcnt(14)
	v_pk_fma_f16 v156, v104, v108, v156 op_sel_hi:[1,0,1]
	v_pk_fma_f16 v157, v104, v108, v157 op_sel:[0,1,0]
	v_pk_fma_f16 v158, v104, v109, v158 op_sel_hi:[1,0,1]
	v_pk_fma_f16 v104, v104, v109, v151 op_sel:[0,1,0]
	;; [unrolled: 2-line block ×48, first 2 shown]
	s_waitcnt lgkmcnt(12)
	v_pk_fma_f16 v7, v36, v72, v7 op_sel_hi:[1,0,1]
	v_pk_fma_f16 v13, v36, v72, v13 op_sel:[0,1,0]
	v_pk_fma_f16 v15, v36, v73, v15 op_sel_hi:[1,0,1]
	v_pk_fma_f16 v12, v36, v73, v12 op_sel:[0,1,0]
	v_pk_fma_f16 v14, v37, v72, v14 op_sel_hi:[1,0,1]
	v_pk_fma_f16 v4, v37, v72, v4 op_sel:[0,1,0]
	v_pk_fma_f16 v6, v37, v73, v6 op_sel_hi:[1,0,1]
	v_pk_fma_f16 v5, v37, v73, v5 op_sel:[0,1,0]
	v_pk_fma_f16 v7, v38, v74, v7 op_sel_hi:[1,0,1]
	v_pk_fma_f16 v13, v38, v74, v13 op_sel:[0,1,0]
	v_pk_fma_f16 v15, v38, v75, v15 op_sel_hi:[1,0,1]
	v_pk_fma_f16 v12, v38, v75, v12 op_sel:[0,1,0]
	v_pk_fma_f16 v14, v39, v74, v14 op_sel_hi:[1,0,1]
	v_pk_fma_f16 v4, v39, v74, v4 op_sel:[0,1,0]
	v_pk_fma_f16 v6, v39, v75, v6 op_sel_hi:[1,0,1]
	v_pk_fma_f16 v5, v39, v75, v5 op_sel:[0,1,0]
	s_waitcnt lgkmcnt(11)
	v_pk_fma_f16 v7, v40, v44, v7 op_sel_hi:[1,0,1]
	v_pk_fma_f16 v13, v40, v44, v13 op_sel:[0,1,0]
	v_pk_fma_f16 v15, v40, v45, v15 op_sel_hi:[1,0,1]
	v_pk_fma_f16 v12, v40, v45, v12 op_sel:[0,1,0]
	v_pk_fma_f16 v14, v41, v44, v14 op_sel_hi:[1,0,1]
	v_pk_fma_f16 v4, v41, v44, v4 op_sel:[0,1,0]
	v_pk_fma_f16 v6, v41, v45, v6 op_sel_hi:[1,0,1]
	v_pk_fma_f16 v5, v41, v45, v5 op_sel:[0,1,0]
	v_pk_fma_f16 v7, v42, v46, v7 op_sel_hi:[1,0,1]
	v_pk_fma_f16 v13, v42, v46, v13 op_sel:[0,1,0]
	v_pk_fma_f16 v15, v42, v47, v15 op_sel_hi:[1,0,1]
	v_pk_fma_f16 v12, v42, v47, v12 op_sel:[0,1,0]
	v_pk_fma_f16 v14, v43, v46, v14 op_sel_hi:[1,0,1]
	v_pk_fma_f16 v4, v43, v46, v4 op_sel:[0,1,0]
	v_pk_fma_f16 v6, v43, v47, v6 op_sel_hi:[1,0,1]
	v_pk_fma_f16 v5, v43, v47, v5 op_sel:[0,1,0]
	;; [unrolled: 17-line block ×5, first 2 shown]
	ds_read_b128 v[104:107], v139 offset:464
	ds_read2_b64 v[108:111], v150 offset0:128 offset1:160
	s_waitcnt lgkmcnt(5)
	v_pk_fma_f16 v7, v76, v80, v7 op_sel_hi:[1,0,1]
	v_pk_fma_f16 v13, v76, v80, v13 op_sel:[0,1,0]
	v_pk_fma_f16 v15, v76, v81, v15 op_sel_hi:[1,0,1]
	v_pk_fma_f16 v12, v76, v81, v12 op_sel:[0,1,0]
	;; [unrolled: 2-line block ×4, first 2 shown]
	ds_read2_b64 v[28:31], v150 offset0:192 offset1:224
	ds_read_b128 v[64:67], v139 offset:480
	v_pk_fma_f16 v7, v78, v82, v7 op_sel_hi:[1,0,1]
	v_pk_fma_f16 v13, v78, v82, v13 op_sel:[0,1,0]
	v_pk_fma_f16 v15, v78, v83, v15 op_sel_hi:[1,0,1]
	v_pk_fma_f16 v12, v78, v83, v12 op_sel:[0,1,0]
	;; [unrolled: 2-line block ×4, first 2 shown]
	ds_read_b128 v[8:11], v139 offset:496
	s_waitcnt lgkmcnt(0)
	s_barrier
	s_load_dword s0, s[54:55], 0x4
	v_pk_fma_f16 v7, v84, v100, v7 op_sel_hi:[1,0,1]
	v_pk_fma_f16 v13, v84, v100, v13 op_sel:[0,1,0]
	v_pk_fma_f16 v15, v84, v101, v15 op_sel_hi:[1,0,1]
	v_pk_fma_f16 v12, v84, v101, v12 op_sel:[0,1,0]
	;; [unrolled: 2-line block ×20, first 2 shown]
	s_waitcnt lgkmcnt(0)
	s_lshl_b32 s0, s0, 6
	v_pk_fma_f16 v7, v110, v66, v7 op_sel_hi:[1,0,1]
	v_pk_fma_f16 v13, v110, v66, v13 op_sel:[0,1,0]
	v_pk_fma_f16 v15, v110, v67, v15 op_sel_hi:[1,0,1]
	v_pk_fma_f16 v12, v110, v67, v12 op_sel:[0,1,0]
	;; [unrolled: 2-line block ×4, first 2 shown]
	s_add_i32 s60, s0, s60
	v_pk_fma_f16 v7, v28, v8, v7 op_sel_hi:[1,0,1]
	v_pk_fma_f16 v13, v28, v8, v13 op_sel:[0,1,0]
	v_pk_fma_f16 v15, v28, v9, v15 op_sel_hi:[1,0,1]
	v_pk_fma_f16 v12, v28, v9, v12 op_sel:[0,1,0]
	;; [unrolled: 2-line block ×4, first 2 shown]
	s_cmp_ge_i32 s60, s66
	v_pk_fma_f16 v37, v30, v10, v7 op_sel_hi:[1,0,1]
	v_pk_fma_f16 v36, v30, v10, v13 op_sel:[0,1,0]
	v_pk_fma_f16 v17, v30, v11, v15 op_sel_hi:[1,0,1]
	v_pk_fma_f16 v15, v30, v11, v12 op_sel:[0,1,0]
	;; [unrolled: 2-line block ×4, first 2 shown]
	s_cbranch_scc0 .LBB21_9
.LBB21_10:
	v_cmp_lt_i32_e32 vcc, v132, v129
	v_cndmask_b32_e32 v4, v119, v132, vcc
	v_cmp_lt_i32_e32 vcc, v133, v129
	v_lshlrev_b32_e32 v7, 2, v4
	v_cndmask_b32_e32 v4, v119, v133, vcc
	v_cmp_lt_i32_e32 vcc, v134, v129
	v_lshlrev_b32_e32 v11, 2, v4
	v_cndmask_b32_e32 v4, v119, v134, vcc
	v_lshlrev_b32_e32 v18, 2, v4
	ds_bpermute_b32 v4, v7, v116
	ds_bpermute_b32 v5, v7, v117
	;; [unrolled: 1-line block ×4, first 2 shown]
	v_cmp_lt_i32_e32 vcc, v131, v129
	v_cndmask_b32_e32 v19, v119, v131, vcc
	s_waitcnt lgkmcnt(2)
	v_pk_add_f32 v[4:5], v[116:117], v[4:5]
	ds_bpermute_b32 v8, v11, v4
	s_waitcnt lgkmcnt(1)
	v_pk_add_f32 v[6:7], v[114:115], v[6:7]
	ds_bpermute_b32 v9, v11, v5
	ds_bpermute_b32 v10, v11, v6
	;; [unrolled: 1-line block ×3, first 2 shown]
	v_lshlrev_b32_e32 v19, 2, v19
	v_cmp_lt_i32_e32 vcc, v130, v129
	s_waitcnt lgkmcnt(2)
	v_pk_add_f32 v[4:5], v[4:5], v[8:9]
	ds_bpermute_b32 v8, v18, v4
	s_waitcnt lgkmcnt(1)
	v_pk_add_f32 v[6:7], v[6:7], v[10:11]
	ds_bpermute_b32 v9, v18, v5
	ds_bpermute_b32 v10, v18, v6
	;; [unrolled: 1-line block ×3, first 2 shown]
	v_cndmask_b32_e32 v18, v119, v130, vcc
	s_cmp_lg_u64 s[52:53], 0
	s_waitcnt lgkmcnt(2)
	v_pk_add_f32 v[4:5], v[4:5], v[8:9]
	ds_bpermute_b32 v8, v19, v4
	s_waitcnt lgkmcnt(1)
	v_pk_add_f32 v[6:7], v[6:7], v[10:11]
	ds_bpermute_b32 v9, v19, v5
	ds_bpermute_b32 v10, v19, v6
	;; [unrolled: 1-line block ×3, first 2 shown]
	v_lshlrev_b32_e32 v19, 2, v18
	s_cselect_b64 s[0:1], -1, 0
	s_waitcnt lgkmcnt(2)
	v_pk_add_f32 v[4:5], v[4:5], v[8:9]
	ds_bpermute_b32 v8, v19, v4
	s_waitcnt lgkmcnt(1)
	v_pk_add_f32 v[10:11], v[6:7], v[10:11]
	ds_bpermute_b32 v9, v19, v5
	ds_bpermute_b32 v18, v19, v10
	;; [unrolled: 1-line block ×3, first 2 shown]
	s_cmp_eq_u32 s7, 0
	s_cselect_b64 s[2:3], -1, 0
	s_and_b64 s[0:1], s[2:3], s[0:1]
	s_waitcnt lgkmcnt(2)
	v_pk_add_f32 v[6:7], v[4:5], v[8:9]
	s_waitcnt lgkmcnt(0)
	v_pk_add_f32 v[4:5], v[10:11], v[18:19]
	s_and_b64 vcc, exec, s[0:1]
	s_cbranch_vccz .LBB21_12
; %bb.11:
	s_ashr_i32 s65, s64, 31
	s_lshl_b64 s[0:1], s[64:65], 2
	s_add_u32 s0, s52, s0
	s_addc_u32 s1, s53, s1
	v_mov_b32_e32 v8, 0
	global_load_dwordx4 v[8:11], v8, s[0:1]
	v_max_f32_e32 v18, v1, v1
	v_max_f32_e32 v20, v0, v0
	;; [unrolled: 1-line block ×4, first 2 shown]
	s_mov_b32 s2, 0x3fb8aa3b
	s_mov_b32 s0, 0xc2ce8ed0
	;; [unrolled: 1-line block ×3, first 2 shown]
	v_mov_b32_e32 v22, 0x7f800000
	s_waitcnt vmcnt(0)
	v_max_f32_e32 v19, v9, v9
	v_max_f32_e32 v24, v8, v8
	;; [unrolled: 1-line block ×6, first 2 shown]
	v_pk_add_f32 v[0:1], v[0:1], v[18:19] neg_lo:[0,1] neg_hi:[0,1]
	v_max_f32_e32 v21, v21, v25
	v_max_f32_e32 v20, v23, v26
	v_mul_f32_e32 v23, 0x3fb8aa3b, v1
	v_pk_add_f32 v[2:3], v[2:3], v[20:21] neg_lo:[0,1] neg_hi:[0,1]
	v_mul_f32_e32 v24, 0x3fb8aa3b, v0
	v_fma_f32 v29, v1, s2, -v23
	v_rndne_f32_e32 v30, v23
	v_mul_f32_e32 v25, 0x3fb8aa3b, v3
	v_fma_f32 v31, v0, s2, -v24
	v_rndne_f32_e32 v32, v24
	v_fmac_f32_e32 v29, 0x32a5705f, v1
	v_sub_f32_e32 v23, v23, v30
	v_mul_f32_e32 v26, 0x3fb8aa3b, v2
	v_fma_f32 v33, v3, s2, -v25
	v_rndne_f32_e32 v34, v25
	v_fmac_f32_e32 v31, 0x32a5705f, v0
	v_sub_f32_e32 v24, v24, v32
	v_add_f32_e32 v23, v23, v29
	v_fma_f32 v35, v2, s2, -v26
	v_rndne_f32_e32 v38, v26
	v_cvt_i32_f32_e32 v30, v30
	v_fmac_f32_e32 v33, 0x32a5705f, v3
	v_sub_f32_e32 v25, v25, v34
	v_add_f32_e32 v24, v24, v31
	v_exp_f32_e32 v23, v23
	v_cvt_i32_f32_e32 v32, v32
	v_fmac_f32_e32 v35, 0x32a5705f, v2
	v_sub_f32_e32 v26, v26, v38
	v_add_f32_e32 v25, v25, v33
	v_exp_f32_e32 v24, v24
	v_cvt_i32_f32_e32 v34, v34
	v_add_f32_e32 v26, v26, v35
	v_exp_f32_e32 v25, v25
	v_cvt_i32_f32_e32 v38, v38
	v_exp_f32_e32 v26, v26
	v_ldexp_f32 v23, v23, v30
	v_cmp_ngt_f32_e32 vcc, s0, v1
	v_ldexp_f32 v24, v24, v32
	v_cndmask_b32_e32 v23, 0, v23, vcc
	v_cmp_ngt_f32_e32 vcc, s0, v0
	v_ldexp_f32 v25, v25, v34
	v_cndmask_b32_e32 v24, 0, v24, vcc
	;; [unrolled: 3-line block ×3, first 2 shown]
	v_cmp_ngt_f32_e32 vcc, s0, v2
	v_cndmask_b32_e32 v26, 0, v26, vcc
	v_cmp_nlt_f32_e32 vcc, s1, v1
	v_cndmask_b32_e32 v1, v22, v23, vcc
	v_cmp_nlt_f32_e32 vcc, s1, v0
	v_cndmask_b32_e32 v0, v22, v24, vcc
	v_pk_add_f32 v[10:11], v[10:11], v[20:21] neg_lo:[0,1] neg_hi:[0,1]
	v_cvt_f16_f32_e32 v23, v0
	v_mul_f32_e32 v27, 0x3fb8aa3b, v11
	v_mul_f32_e32 v28, 0x3fb8aa3b, v10
	v_fma_f32 v39, v11, s2, -v27
	v_rndne_f32_e32 v40, v27
	v_cvt_f16_f32_e32 v24, v1
	v_fma_f32 v41, v10, s2, -v28
	v_rndne_f32_e32 v42, v28
	v_fmac_f32_e32 v39, 0x32a5705f, v11
	v_sub_f32_e32 v27, v27, v40
	v_cmp_nlt_f32_e32 vcc, s1, v3
	v_fmac_f32_e32 v41, 0x32a5705f, v10
	v_add_f32_e32 v27, v27, v39
	v_cndmask_b32_e32 v3, v22, v25, vcc
	v_cmp_nlt_f32_e32 vcc, s1, v2
	v_pk_mul_f16 v37, v23, v37 op_sel_hi:[0,1]
	v_pk_mul_f16 v16, v23, v16 op_sel_hi:[0,1]
	v_sub_f32_e32 v23, v28, v42
	v_cvt_i32_f32_e32 v40, v40
	v_exp_f32_e32 v27, v27
	v_cndmask_b32_e32 v2, v22, v26, vcc
	v_add_f32_e32 v23, v23, v41
	v_cvt_f16_f32_e32 v25, v2
	v_pk_mul_f16 v36, v24, v36 op_sel_hi:[0,1]
	v_pk_mul_f16 v14, v24, v14 op_sel_hi:[0,1]
	v_exp_f32_e32 v23, v23
	v_cvt_i32_f32_e32 v24, v42
	v_cvt_f16_f32_e32 v26, v3
	v_pk_add_f32 v[8:9], v[8:9], v[18:19] neg_lo:[0,1] neg_hi:[0,1]
	v_ldexp_f32 v27, v27, v40
	v_cmp_ngt_f32_e32 vcc, s0, v11
	v_pk_mul_f16 v17, v25, v17 op_sel_hi:[0,1]
	v_pk_mul_f16 v12, v25, v12 op_sel_hi:[0,1]
	v_cndmask_b32_e32 v25, 0, v27, vcc
	v_cmp_nlt_f32_e32 vcc, s1, v11
	v_ldexp_f32 v23, v23, v24
	v_mul_f32_e32 v24, 0x3fb8aa3b, v9
	v_pk_mul_f16 v15, v26, v15 op_sel_hi:[0,1]
	v_pk_mul_f16 v13, v26, v13 op_sel_hi:[0,1]
	v_cndmask_b32_e32 v11, v22, v25, vcc
	v_fma_f32 v25, v9, s2, -v24
	v_rndne_f32_e32 v26, v24
	v_fmac_f32_e32 v25, 0x32a5705f, v9
	v_sub_f32_e32 v24, v24, v26
	v_add_f32_e32 v24, v24, v25
	v_exp_f32_e32 v24, v24
	v_cvt_i32_f32_e32 v25, v26
	v_cmp_ngt_f32_e32 vcc, s0, v10
	v_cndmask_b32_e32 v23, 0, v23, vcc
	v_cmp_nlt_f32_e32 vcc, s1, v10
	v_cndmask_b32_e32 v10, v22, v23, vcc
	v_ldexp_f32 v23, v24, v25
	v_mul_f32_e32 v24, 0x3fb8aa3b, v8
	v_fma_f32 v25, v8, s2, -v24
	v_rndne_f32_e32 v26, v24
	v_fmac_f32_e32 v25, 0x32a5705f, v8
	v_sub_f32_e32 v24, v24, v26
	v_add_f32_e32 v24, v24, v25
	v_exp_f32_e32 v24, v24
	v_cvt_i32_f32_e32 v25, v26
	v_cmp_ngt_f32_e32 vcc, s0, v9
	v_cndmask_b32_e32 v23, 0, v23, vcc
	v_cmp_nlt_f32_e32 vcc, s1, v9
	v_cndmask_b32_e32 v9, v22, v23, vcc
	v_ldexp_f32 v23, v24, v25
	v_cmp_ngt_f32_e32 vcc, s0, v8
	v_cndmask_b32_e32 v23, 0, v23, vcc
	v_cmp_nlt_f32_e32 vcc, s1, v8
	v_cndmask_b32_e32 v8, v22, v23, vcc
	v_pk_fma_f32 v[4:5], v[4:5], v[2:3], v[10:11]
	v_pk_fma_f32 v[6:7], v[6:7], v[0:1], v[8:9]
	v_pk_mov_b32 v[0:1], v[18:19], v[18:19] op_sel:[0,1]
	v_pk_mov_b32 v[2:3], v[20:21], v[20:21] op_sel:[0,1]
.LBB21_12:
	v_cmp_gt_i32_e32 vcc, s62, v128
	s_and_saveexec_b64 s[0:1], vcc
	s_cbranch_execz .LBB21_29
; %bb.13:
	s_load_dword s6, s[4:5], 0xd4
	v_mov_b32_e32 v10, 1.0
	s_waitcnt lgkmcnt(0)
	s_cmp_lg_u32 s6, 1
	s_cselect_b64 s[0:1], -1, 0
	s_cmp_eq_u32 s6, 1
	s_cselect_b64 s[4:5], -1, 0
	s_and_b64 vcc, exec, s[0:1]
	s_cbranch_vccnz .LBB21_15
; %bb.14:
	v_div_scale_f32 v8, s[2:3], v6, v6, 1.0
	v_rcp_f32_e32 v9, v8
	v_div_scale_f32 v10, vcc, 1.0, v6, 1.0
	v_fma_f32 v11, -v8, v9, 1.0
	v_fmac_f32_e32 v9, v11, v9
	v_mul_f32_e32 v11, v10, v9
	v_fma_f32 v18, -v8, v11, v10
	v_fmac_f32_e32 v11, v18, v9
	v_fma_f32 v8, -v8, v11, v10
	v_div_fmas_f32 v8, v8, v9, v11
	v_div_fixup_f32 v10, v8, v6, 1.0
.LBB21_15:
	s_mul_i32 s33, s33, s62
	v_add_u32_e32 v8, s33, v128
	v_mul_lo_u32 v8, v8, s63
	v_add_u32_e32 v8, s64, v8
	v_mul_lo_u32 v8, s6, v8
	v_add_u32_e32 v8, s7, v8
	v_cvt_f32_f16_sdwa v21, v37 dst_sel:DWORD dst_unused:UNUSED_PAD src0_sel:WORD_1
	v_cvt_f32_f16_e32 v20, v37
	v_cvt_f32_f16_sdwa v23, v16 dst_sel:DWORD dst_unused:UNUSED_PAD src0_sel:WORD_1
	v_cvt_f32_f16_e32 v22, v16
	v_lshl_add_u32 v18, v8, 7, v113
	v_mov_b32_e32 v19, 0
	v_cmp_eq_u32_e32 vcc, 0, v112
	v_lshlrev_b64 v[18:19], 2, v[18:19]
	s_and_b64 s[2:3], vcc, s[0:1]
	v_mov_b32_e32 v9, s57
	v_add_co_u32_e32 v24, vcc, s56, v18
	v_addc_co_u32_e32 v25, vcc, v9, v19, vcc
	v_pk_mul_f32 v[18:19], v[10:11], v[20:21] op_sel_hi:[0,1]
	v_pk_mul_f32 v[20:21], v[10:11], v[22:23] op_sel_hi:[0,1]
	global_store_dwordx4 v[24:25], v[18:21], off
	s_and_saveexec_b64 s[0:1], s[2:3]
	s_cbranch_execz .LBB21_17
; %bb.16:
	v_ashrrev_i32_e32 v9, 31, v8
	v_lshlrev_b64 v[10:11], 3, v[8:9]
	v_mov_b32_e32 v9, s59
	v_add_co_u32_e32 v10, vcc, s58, v10
	v_addc_co_u32_e32 v11, vcc, v9, v11, vcc
	v_mov_b32_e32 v18, v0
	v_mov_b32_e32 v19, v6
	global_store_dwordx2 v[10:11], v[18:19], off
.LBB21_17:
	s_or_b64 exec, exec, s[0:1]
	v_cndmask_b32_e64 v0, 0, 1, s[4:5]
	v_cmp_ne_u32_e64 s[0:1], 1, v0
	s_andn2_b64 vcc, exec, s[4:5]
	v_mov_b32_e32 v0, 1.0
	s_cbranch_vccnz .LBB21_19
; %bb.18:
	v_div_scale_f32 v0, s[4:5], v7, v7, 1.0
	v_rcp_f32_e32 v6, v0
	v_div_scale_f32 v9, vcc, 1.0, v7, 1.0
	v_fma_f32 v10, -v0, v6, 1.0
	v_fmac_f32_e32 v6, v10, v6
	v_mul_f32_e32 v10, v9, v6
	v_fma_f32 v11, -v0, v10, v9
	v_fmac_f32_e32 v10, v11, v6
	v_fma_f32 v0, -v0, v10, v9
	v_div_fmas_f32 v0, v0, v6, v10
	v_div_fixup_f32 v0, v0, v7, 1.0
.LBB21_19:
	v_add_u32_e32 v8, s6, v8
	v_cvt_f32_f16_sdwa v19, v36 dst_sel:DWORD dst_unused:UNUSED_PAD src0_sel:WORD_1
	v_cvt_f32_f16_e32 v18, v36
	v_cvt_f32_f16_sdwa v21, v14 dst_sel:DWORD dst_unused:UNUSED_PAD src0_sel:WORD_1
	v_cvt_f32_f16_e32 v20, v14
	v_lshl_add_u32 v10, v8, 7, v113
	v_mov_b32_e32 v11, 0
	v_lshlrev_b64 v[10:11], 2, v[10:11]
	v_mov_b32_e32 v6, s57
	v_add_co_u32_e32 v10, vcc, s56, v10
	v_addc_co_u32_e32 v11, vcc, v6, v11, vcc
	v_pk_mul_f32 v[18:19], v[0:1], v[18:19] op_sel_hi:[0,1]
	v_pk_mul_f32 v[20:21], v[0:1], v[20:21] op_sel_hi:[0,1]
	global_store_dwordx4 v[10:11], v[18:21], off
	s_and_saveexec_b64 s[4:5], s[2:3]
	s_cbranch_execz .LBB21_21
; %bb.20:
	v_ashrrev_i32_e32 v9, 31, v8
	v_lshlrev_b64 v[10:11], 3, v[8:9]
	v_mov_b32_e32 v0, s59
	v_add_co_u32_e32 v10, vcc, s58, v10
	v_addc_co_u32_e32 v11, vcc, v0, v11, vcc
	v_mov_b32_e32 v6, v1
	global_store_dwordx2 v[10:11], v[6:7], off
.LBB21_21:
	s_or_b64 exec, exec, s[4:5]
	s_and_b64 vcc, exec, s[0:1]
	v_mov_b32_e32 v6, 1.0
	s_cbranch_vccnz .LBB21_23
; %bb.22:
	v_div_scale_f32 v0, s[4:5], v4, v4, 1.0
	v_rcp_f32_e32 v1, v0
	v_div_scale_f32 v6, vcc, 1.0, v4, 1.0
	v_fma_f32 v7, -v0, v1, 1.0
	v_fmac_f32_e32 v1, v7, v1
	v_mul_f32_e32 v7, v6, v1
	v_fma_f32 v9, -v0, v7, v6
	v_fmac_f32_e32 v7, v9, v1
	v_fma_f32 v0, -v0, v7, v6
	v_div_fmas_f32 v0, v0, v1, v7
	v_div_fixup_f32 v6, v0, v4, 1.0
.LBB21_23:
	v_add_u32_e32 v0, s6, v8
	v_cvt_f32_f16_sdwa v11, v17 dst_sel:DWORD dst_unused:UNUSED_PAD src0_sel:WORD_1
	v_cvt_f32_f16_e32 v10, v17
	v_cvt_f32_f16_sdwa v17, v12 dst_sel:DWORD dst_unused:UNUSED_PAD src0_sel:WORD_1
	v_cvt_f32_f16_e32 v16, v12
	v_lshl_add_u32 v8, v0, 7, v113
	v_mov_b32_e32 v9, 0
	v_lshlrev_b64 v[8:9], 2, v[8:9]
	v_mov_b32_e32 v1, s57
	v_add_co_u32_e32 v18, vcc, s56, v8
	v_addc_co_u32_e32 v19, vcc, v1, v9, vcc
	v_pk_mul_f32 v[8:9], v[6:7], v[10:11] op_sel_hi:[0,1]
	v_pk_mul_f32 v[10:11], v[6:7], v[16:17] op_sel_hi:[0,1]
	global_store_dwordx4 v[18:19], v[8:11], off
	s_and_saveexec_b64 s[4:5], s[2:3]
	s_cbranch_execz .LBB21_25
; %bb.24:
	v_ashrrev_i32_e32 v1, 31, v0
	v_lshlrev_b64 v[6:7], 3, v[0:1]
	v_mov_b32_e32 v1, s59
	v_add_co_u32_e32 v6, vcc, s58, v6
	v_addc_co_u32_e32 v7, vcc, v1, v7, vcc
	v_mov_b32_e32 v8, v2
	v_mov_b32_e32 v9, v4
	global_store_dwordx2 v[6:7], v[8:9], off
.LBB21_25:
	s_or_b64 exec, exec, s[4:5]
	s_and_b64 vcc, exec, s[0:1]
	v_mov_b32_e32 v2, 1.0
	s_cbranch_vccnz .LBB21_27
; %bb.26:
	v_div_scale_f32 v1, s[0:1], v5, v5, 1.0
	v_rcp_f32_e32 v2, v1
	v_div_scale_f32 v4, vcc, 1.0, v5, 1.0
	v_fma_f32 v6, -v1, v2, 1.0
	v_fmac_f32_e32 v2, v6, v2
	v_mul_f32_e32 v6, v4, v2
	v_fma_f32 v7, -v1, v6, v4
	v_fmac_f32_e32 v6, v7, v2
	v_fma_f32 v1, -v1, v6, v4
	v_div_fmas_f32 v1, v1, v2, v6
	v_div_fixup_f32 v2, v1, v5, 1.0
.LBB21_27:
	v_add_u32_e32 v0, s6, v0
	v_cvt_f32_f16_sdwa v9, v15 dst_sel:DWORD dst_unused:UNUSED_PAD src0_sel:WORD_1
	v_cvt_f32_f16_e32 v8, v15
	v_cvt_f32_f16_sdwa v11, v13 dst_sel:DWORD dst_unused:UNUSED_PAD src0_sel:WORD_1
	v_cvt_f32_f16_e32 v10, v13
	v_lshl_add_u32 v6, v0, 7, v113
	v_mov_b32_e32 v7, 0
	v_lshlrev_b64 v[6:7], 2, v[6:7]
	v_mov_b32_e32 v1, s57
	v_add_co_u32_e32 v12, vcc, s56, v6
	v_addc_co_u32_e32 v13, vcc, v1, v7, vcc
	v_pk_mul_f32 v[6:7], v[2:3], v[8:9] op_sel_hi:[0,1]
	v_pk_mul_f32 v[8:9], v[2:3], v[10:11] op_sel_hi:[0,1]
	global_store_dwordx4 v[12:13], v[6:9], off
	s_and_b64 exec, exec, s[2:3]
	s_cbranch_execz .LBB21_29
; %bb.28:
	v_ashrrev_i32_e32 v1, 31, v0
	v_lshlrev_b64 v[0:1], 3, v[0:1]
	v_mov_b32_e32 v2, s59
	v_add_co_u32_e32 v0, vcc, s58, v0
	v_addc_co_u32_e32 v1, vcc, v2, v1, vcc
	v_mov_b32_e32 v4, v3
	global_store_dwordx2 v[0:1], v[4:5], off
.LBB21_29:
	s_endpgm
	.section	.rodata,"a",@progbits
	.p2align	6, 0x0
	.amdhsa_kernel _ZL15flash_attn_tileILi128ELi128ELi8ELi4ELb0EEvPKcS1_S1_S1_S1_PKiPfP15HIP_vector_typeIfLj2EEffffjfiS5_IjLj3EEiiiiiiiiiiiliiliiiiil
		.amdhsa_group_segment_fixed_size 21504
		.amdhsa_private_segment_fixed_size 0
		.amdhsa_kernarg_size 464
		.amdhsa_user_sgpr_count 6
		.amdhsa_user_sgpr_private_segment_buffer 1
		.amdhsa_user_sgpr_dispatch_ptr 0
		.amdhsa_user_sgpr_queue_ptr 0
		.amdhsa_user_sgpr_kernarg_segment_ptr 1
		.amdhsa_user_sgpr_dispatch_id 0
		.amdhsa_user_sgpr_flat_scratch_init 0
		.amdhsa_user_sgpr_kernarg_preload_length 0
		.amdhsa_user_sgpr_kernarg_preload_offset 0
		.amdhsa_user_sgpr_private_segment_size 0
		.amdhsa_uses_dynamic_stack 0
		.amdhsa_system_sgpr_private_segment_wavefront_offset 0
		.amdhsa_system_sgpr_workgroup_id_x 1
		.amdhsa_system_sgpr_workgroup_id_y 1
		.amdhsa_system_sgpr_workgroup_id_z 1
		.amdhsa_system_sgpr_workgroup_info 0
		.amdhsa_system_vgpr_workitem_id 1
		.amdhsa_next_free_vgpr 164
		.amdhsa_next_free_sgpr 75
		.amdhsa_accum_offset 164
		.amdhsa_reserve_vcc 1
		.amdhsa_reserve_flat_scratch 0
		.amdhsa_float_round_mode_32 0
		.amdhsa_float_round_mode_16_64 0
		.amdhsa_float_denorm_mode_32 3
		.amdhsa_float_denorm_mode_16_64 3
		.amdhsa_dx10_clamp 1
		.amdhsa_ieee_mode 1
		.amdhsa_fp16_overflow 0
		.amdhsa_tg_split 0
		.amdhsa_exception_fp_ieee_invalid_op 0
		.amdhsa_exception_fp_denorm_src 0
		.amdhsa_exception_fp_ieee_div_zero 0
		.amdhsa_exception_fp_ieee_overflow 0
		.amdhsa_exception_fp_ieee_underflow 0
		.amdhsa_exception_fp_ieee_inexact 0
		.amdhsa_exception_int_div_zero 0
	.end_amdhsa_kernel
	.section	.text._ZL15flash_attn_tileILi128ELi128ELi8ELi4ELb0EEvPKcS1_S1_S1_S1_PKiPfP15HIP_vector_typeIfLj2EEffffjfiS5_IjLj3EEiiiiiiiiiiiliiliiiiil,"axG",@progbits,_ZL15flash_attn_tileILi128ELi128ELi8ELi4ELb0EEvPKcS1_S1_S1_S1_PKiPfP15HIP_vector_typeIfLj2EEffffjfiS5_IjLj3EEiiiiiiiiiiiliiliiiiil,comdat
.Lfunc_end21:
	.size	_ZL15flash_attn_tileILi128ELi128ELi8ELi4ELb0EEvPKcS1_S1_S1_S1_PKiPfP15HIP_vector_typeIfLj2EEffffjfiS5_IjLj3EEiiiiiiiiiiiliiliiiiil, .Lfunc_end21-_ZL15flash_attn_tileILi128ELi128ELi8ELi4ELb0EEvPKcS1_S1_S1_S1_PKiPfP15HIP_vector_typeIfLj2EEffffjfiS5_IjLj3EEiiiiiiiiiiiliiliiiiil
                                        ; -- End function
	.section	.AMDGPU.csdata,"",@progbits
; Kernel info:
; codeLenInByte = 16172
; NumSgprs: 79
; NumVgprs: 164
; NumAgprs: 0
; TotalNumVgprs: 164
; ScratchSize: 0
; MemoryBound: 0
; FloatMode: 240
; IeeeMode: 1
; LDSByteSize: 21504 bytes/workgroup (compile time only)
; SGPRBlocks: 9
; VGPRBlocks: 20
; NumSGPRsForWavesPerEU: 79
; NumVGPRsForWavesPerEU: 164
; AccumOffset: 164
; Occupancy: 3
; WaveLimiterHint : 1
; COMPUTE_PGM_RSRC2:SCRATCH_EN: 0
; COMPUTE_PGM_RSRC2:USER_SGPR: 6
; COMPUTE_PGM_RSRC2:TRAP_HANDLER: 0
; COMPUTE_PGM_RSRC2:TGID_X_EN: 1
; COMPUTE_PGM_RSRC2:TGID_Y_EN: 1
; COMPUTE_PGM_RSRC2:TGID_Z_EN: 1
; COMPUTE_PGM_RSRC2:TIDIG_COMP_CNT: 1
; COMPUTE_PGM_RSRC3_GFX90A:ACCUM_OFFSET: 40
; COMPUTE_PGM_RSRC3_GFX90A:TG_SPLIT: 0
	.section	.text._ZL33flash_attn_stream_k_fixup_uniformILi128ELi8ELi4EEvPfPK15HIP_vector_typeIfLj2EEiiiiiiS1_IjLj3EES5_S5_,"axG",@progbits,_ZL33flash_attn_stream_k_fixup_uniformILi128ELi8ELi4EEvPfPK15HIP_vector_typeIfLj2EEiiiiiiS1_IjLj3EES5_S5_,comdat
	.globl	_ZL33flash_attn_stream_k_fixup_uniformILi128ELi8ELi4EEvPfPK15HIP_vector_typeIfLj2EEiiiiiiS1_IjLj3EES5_S5_ ; -- Begin function _ZL33flash_attn_stream_k_fixup_uniformILi128ELi8ELi4EEvPfPK15HIP_vector_typeIfLj2EEiiiiiiS1_IjLj3EES5_S5_
	.p2align	8
	.type	_ZL33flash_attn_stream_k_fixup_uniformILi128ELi8ELi4EEvPfPK15HIP_vector_typeIfLj2EEiiiiiiS1_IjLj3EES5_S5_,@function
_ZL33flash_attn_stream_k_fixup_uniformILi128ELi8ELi4EEvPfPK15HIP_vector_typeIfLj2EEiiiiiiS1_IjLj3EES5_S5_: ; @_ZL33flash_attn_stream_k_fixup_uniformILi128ELi8ELi4EEvPfPK15HIP_vector_typeIfLj2EEiiiiiiS1_IjLj3EES5_S5_
; %bb.0:
	s_load_dwordx8 s[12:19], s[4:5], 0x1c
	s_load_dwordx2 s[10:11], s[4:5], 0x10
	s_load_dwordx4 s[0:3], s[4:5], 0x3c
	s_waitcnt lgkmcnt(0)
	s_mul_hi_u32 s9, s15, s6
	s_add_i32 s9, s6, s9
	s_lshr_b32 s9, s9, s16
	s_mul_i32 s15, s9, s17
	s_sub_i32 s15, s6, s15
	s_mul_hi_u32 s16, s15, s18
	s_add_i32 s16, s15, s16
	s_lshr_b32 s16, s16, s19
	s_mul_i32 s0, s16, s0
	s_sub_i32 s0, s15, s0
	;; [unrolled: 5-line block ×3, first 2 shown]
	s_lshl_b32 s0, s17, 3
	s_lshl_b32 s15, s1, 2
	s_add_i32 s0, s0, s7
	s_cmp_lt_i32 s0, s10
	s_cselect_b64 s[0:1], -1, 0
	s_add_i32 s2, s15, s8
	s_cmp_lt_i32 s2, s13
	s_cselect_b64 s[2:3], -1, 0
	s_and_b64 s[0:1], s[0:1], s[2:3]
	s_andn2_b64 vcc, exec, s[0:1]
	s_cbranch_vccnz .LBB22_6
; %bb.1:
	s_load_dwordx4 s[0:3], s[4:5], 0x0
	s_mul_i32 s4, s9, s10
	s_add_i32 s4, s4, s7
	s_mul_i32 s4, s4, s11
	s_mul_i32 s16, s16, s13
	s_add_i32 s4, s4, s8
	s_add_i32 s4, s4, s16
	s_mul_i32 s5, s11, s17
	s_add_i32 s4, s4, s15
	s_lshl_b32 s5, s5, 10
	s_lshl_b32 s4, s4, 7
	s_add_i32 s5, s5, s4
	v_or_b32_e32 v2, s5, v0
	v_ashrrev_i32_e32 v3, 31, v2
	v_lshlrev_b64 v[2:3], 2, v[2:3]
	s_waitcnt lgkmcnt(0)
	v_mov_b32_e32 v1, s1
	v_add_co_u32_e32 v2, vcc, s0, v2
	v_addc_co_u32_e32 v3, vcc, v1, v3, vcc
	global_load_dword v8, v[2:3], off
	s_mul_i32 s9, s6, s14
	s_lshl_b32 s4, s7, 2
	s_add_i32 s11, s9, s14
	s_add_i32 s0, s4, s8
	s_lshl_b32 s1, s11, 5
	s_add_i32 s0, s0, s1
	s_sub_i32 s0, s0, 32
	s_ashr_i32 s1, s0, 31
	s_lshl_b64 s[0:1], s[0:1], 3
	s_add_u32 s0, s2, s0
	s_addc_u32 s1, s3, s1
	s_load_dword s5, s[0:1], 0x4
	s_add_i32 s10, s11, -2
	s_cmp_lt_i32 s10, s9
	s_cbranch_scc1 .LBB22_4
; %bb.2:
	s_lshl_b32 s16, s12, 7
	s_ashr_i32 s17, s16, 31
	s_lshl_b64 s[16:17], s[16:17], 2
	s_add_u32 s10, s2, s16
	s_addc_u32 s13, s3, s17
	s_add_i32 s6, s6, 1
	s_load_dword s0, s[0:1], 0x0
	s_mul_i32 s1, s14, s6
	s_lshl_b32 s7, s7, 9
	s_lshl_b32 s14, s8, 7
	s_lshl_b32 s6, s1, 12
	s_add_i32 s7, s14, s7
	s_lshl_b32 s1, s1, 5
	s_add_i32 s7, s7, s6
	s_add_i32 s1, s8, s1
	s_lshl_b32 s6, s12, 5
	s_add_i32 s1, s1, s6
	v_or_b32_e32 v0, s7, v0
	s_add_i32 s1, s1, s4
	s_add_i32 s11, s11, -1
	v_add_u32_e32 v0, 0xffffe000, v0
	s_sub_i32 s4, s1, 64
	s_waitcnt lgkmcnt(0)
	v_mov_b32_e32 v7, s5
	v_mov_b32_e32 v6, s0
	v_mov_b32_e32 v4, s13
	s_mov_b32 s6, 0x3fb8aa3b
	s_mov_b32 s7, 0xc2ce8ed0
	;; [unrolled: 1-line block ×3, first 2 shown]
	v_mov_b32_e32 v5, 0x7f800000
	s_mov_b32 s12, 0xc1a00000
.LBB22_3:                               ; =>This Inner Loop Header: Depth=1
	v_ashrrev_i32_e32 v1, 31, v0
	v_lshlrev_b64 v[10:11], 2, v[0:1]
	v_add_co_u32_e32 v10, vcc, s10, v10
	v_addc_co_u32_e32 v11, vcc, v4, v11, vcc
	global_load_dword v1, v[10:11], off
	s_ashr_i32 s5, s4, 31
	s_lshl_b64 s[0:1], s[4:5], 3
	s_add_u32 s0, s2, s0
	s_addc_u32 s1, s3, s1
	s_load_dwordx2 s[14:15], s[0:1], 0x0
	s_waitcnt vmcnt(1)
	v_mov_b32_e32 v9, v8
	v_max_f32_e32 v8, v6, v6
	v_mov_b32_e32 v10, v7
	s_add_i32 s11, s11, -1
	s_waitcnt lgkmcnt(0)
	v_max_f32_e64 v7, s14, s14
	v_max_f32_e32 v7, v8, v7
	v_sub_f32_e32 v11, s14, v7
	v_sub_f32_e32 v8, v6, v7
	v_mul_f32_e32 v12, 0x3fb8aa3b, v11
	v_mov_b32_e32 v6, v7
	v_mul_f32_e32 v7, 0x3fb8aa3b, v8
	v_fma_f32 v15, v11, s6, -v12
	v_rndne_f32_e32 v16, v12
	v_fma_f32 v13, v8, s6, -v7
	v_rndne_f32_e32 v14, v7
	v_fmac_f32_e32 v15, 0x32a5705f, v11
	v_sub_f32_e32 v12, v12, v16
	v_fmac_f32_e32 v13, 0x32a5705f, v8
	v_sub_f32_e32 v7, v7, v14
	v_add_f32_e32 v12, v12, v15
	v_cvt_i32_f32_e32 v16, v16
	v_add_f32_e32 v7, v7, v13
	v_exp_f32_e32 v12, v12
	v_cvt_i32_f32_e32 v14, v14
	v_exp_f32_e32 v7, v7
	v_cmp_ngt_f32_e32 vcc, s7, v11
	v_ldexp_f32 v12, v12, v16
	v_cmp_ngt_f32_e64 s[0:1], s7, v8
	v_ldexp_f32 v7, v7, v14
	v_cndmask_b32_e32 v12, 0, v12, vcc
	v_cmp_nlt_f32_e32 vcc, s8, v11
	v_cndmask_b32_e64 v7, 0, v7, s[0:1]
	v_cmp_nlt_f32_e64 s[0:1], s8, v8
	v_cndmask_b32_e32 v12, v5, v12, vcc
	v_cmp_le_f32_e32 vcc, s12, v11
	v_cndmask_b32_e64 v7, v5, v7, s[0:1]
	v_cmp_le_f32_e64 s[0:1], s12, v8
	v_cndmask_b32_e32 v8, 0, v12, vcc
	s_sub_i32 s4, s4, 32
	v_cndmask_b32_e64 v11, 0, v7, s[0:1]
	v_mul_f32_e32 v7, s15, v8
	v_add_u32_e32 v0, 0xfffff000, v0
	s_cmp_le_i32 s11, s9
	v_fmac_f32_e32 v7, v10, v11
	s_waitcnt vmcnt(0)
	v_mul_f32_e32 v8, v1, v8
	v_fmac_f32_e32 v8, v9, v11
	s_cbranch_scc0 .LBB22_3
	s_branch .LBB22_5
.LBB22_4:
	s_waitcnt lgkmcnt(0)
	v_mov_b32_e32 v7, s5
.LBB22_5:
	s_waitcnt vmcnt(0)
	v_div_scale_f32 v0, s[0:1], v7, v7, v8
	v_rcp_f32_e32 v1, v0
	v_div_scale_f32 v4, vcc, v8, v7, v8
	v_fma_f32 v5, -v0, v1, 1.0
	v_fmac_f32_e32 v1, v5, v1
	v_mul_f32_e32 v5, v4, v1
	v_fma_f32 v6, -v0, v5, v4
	v_fmac_f32_e32 v5, v6, v1
	v_fma_f32 v0, -v0, v5, v4
	v_div_fmas_f32 v0, v0, v1, v5
	v_div_fixup_f32 v0, v0, v7, v8
	global_store_dword v[2:3], v0, off
.LBB22_6:
	s_endpgm
	.section	.rodata,"a",@progbits
	.p2align	6, 0x0
	.amdhsa_kernel _ZL33flash_attn_stream_k_fixup_uniformILi128ELi8ELi4EEvPfPK15HIP_vector_typeIfLj2EEiiiiiiS1_IjLj3EES5_S5_
		.amdhsa_group_segment_fixed_size 0
		.amdhsa_private_segment_fixed_size 0
		.amdhsa_kernarg_size 76
		.amdhsa_user_sgpr_count 6
		.amdhsa_user_sgpr_private_segment_buffer 1
		.amdhsa_user_sgpr_dispatch_ptr 0
		.amdhsa_user_sgpr_queue_ptr 0
		.amdhsa_user_sgpr_kernarg_segment_ptr 1
		.amdhsa_user_sgpr_dispatch_id 0
		.amdhsa_user_sgpr_flat_scratch_init 0
		.amdhsa_user_sgpr_kernarg_preload_length 0
		.amdhsa_user_sgpr_kernarg_preload_offset 0
		.amdhsa_user_sgpr_private_segment_size 0
		.amdhsa_uses_dynamic_stack 0
		.amdhsa_system_sgpr_private_segment_wavefront_offset 0
		.amdhsa_system_sgpr_workgroup_id_x 1
		.amdhsa_system_sgpr_workgroup_id_y 1
		.amdhsa_system_sgpr_workgroup_id_z 1
		.amdhsa_system_sgpr_workgroup_info 0
		.amdhsa_system_vgpr_workitem_id 0
		.amdhsa_next_free_vgpr 17
		.amdhsa_next_free_sgpr 20
		.amdhsa_accum_offset 20
		.amdhsa_reserve_vcc 1
		.amdhsa_reserve_flat_scratch 0
		.amdhsa_float_round_mode_32 0
		.amdhsa_float_round_mode_16_64 0
		.amdhsa_float_denorm_mode_32 3
		.amdhsa_float_denorm_mode_16_64 3
		.amdhsa_dx10_clamp 1
		.amdhsa_ieee_mode 1
		.amdhsa_fp16_overflow 0
		.amdhsa_tg_split 0
		.amdhsa_exception_fp_ieee_invalid_op 0
		.amdhsa_exception_fp_denorm_src 0
		.amdhsa_exception_fp_ieee_div_zero 0
		.amdhsa_exception_fp_ieee_overflow 0
		.amdhsa_exception_fp_ieee_underflow 0
		.amdhsa_exception_fp_ieee_inexact 0
		.amdhsa_exception_int_div_zero 0
	.end_amdhsa_kernel
	.section	.text._ZL33flash_attn_stream_k_fixup_uniformILi128ELi8ELi4EEvPfPK15HIP_vector_typeIfLj2EEiiiiiiS1_IjLj3EES5_S5_,"axG",@progbits,_ZL33flash_attn_stream_k_fixup_uniformILi128ELi8ELi4EEvPfPK15HIP_vector_typeIfLj2EEiiiiiiS1_IjLj3EES5_S5_,comdat
.Lfunc_end22:
	.size	_ZL33flash_attn_stream_k_fixup_uniformILi128ELi8ELi4EEvPfPK15HIP_vector_typeIfLj2EEiiiiiiS1_IjLj3EES5_S5_, .Lfunc_end22-_ZL33flash_attn_stream_k_fixup_uniformILi128ELi8ELi4EEvPfPK15HIP_vector_typeIfLj2EEiiiiiiS1_IjLj3EES5_S5_
                                        ; -- End function
	.section	.AMDGPU.csdata,"",@progbits
; Kernel info:
; codeLenInByte = 856
; NumSgprs: 24
; NumVgprs: 17
; NumAgprs: 0
; TotalNumVgprs: 17
; ScratchSize: 0
; MemoryBound: 0
; FloatMode: 240
; IeeeMode: 1
; LDSByteSize: 0 bytes/workgroup (compile time only)
; SGPRBlocks: 2
; VGPRBlocks: 2
; NumSGPRsForWavesPerEU: 24
; NumVGPRsForWavesPerEU: 17
; AccumOffset: 20
; Occupancy: 8
; WaveLimiterHint : 0
; COMPUTE_PGM_RSRC2:SCRATCH_EN: 0
; COMPUTE_PGM_RSRC2:USER_SGPR: 6
; COMPUTE_PGM_RSRC2:TRAP_HANDLER: 0
; COMPUTE_PGM_RSRC2:TGID_X_EN: 1
; COMPUTE_PGM_RSRC2:TGID_Y_EN: 1
; COMPUTE_PGM_RSRC2:TGID_Z_EN: 1
; COMPUTE_PGM_RSRC2:TIDIG_COMP_CNT: 0
; COMPUTE_PGM_RSRC3_GFX90A:ACCUM_OFFSET: 4
; COMPUTE_PGM_RSRC3_GFX90A:TG_SPLIT: 0
	.section	.text._ZL33flash_attn_stream_k_fixup_generalILi128ELi8ELi4EEvPfPK15HIP_vector_typeIfLj2EEiiiiS1_IjLj3EES5_S5_S5_,"axG",@progbits,_ZL33flash_attn_stream_k_fixup_generalILi128ELi8ELi4EEvPfPK15HIP_vector_typeIfLj2EEiiiiS1_IjLj3EES5_S5_S5_,comdat
	.globl	_ZL33flash_attn_stream_k_fixup_generalILi128ELi8ELi4EEvPfPK15HIP_vector_typeIfLj2EEiiiiS1_IjLj3EES5_S5_S5_ ; -- Begin function _ZL33flash_attn_stream_k_fixup_generalILi128ELi8ELi4EEvPfPK15HIP_vector_typeIfLj2EEiiiiS1_IjLj3EES5_S5_S5_
	.p2align	8
	.type	_ZL33flash_attn_stream_k_fixup_generalILi128ELi8ELi4EEvPfPK15HIP_vector_typeIfLj2EEiiiiS1_IjLj3EES5_S5_S5_,@function
_ZL33flash_attn_stream_k_fixup_generalILi128ELi8ELi4EEvPfPK15HIP_vector_typeIfLj2EEiiiiS1_IjLj3EES5_S5_S5_: ; @_ZL33flash_attn_stream_k_fixup_generalILi128ELi8ELi4EEvPfPK15HIP_vector_typeIfLj2EEiiiiS1_IjLj3EES5_S5_S5_
; %bb.0:
	s_load_dwordx4 s[12:15], s[4:5], 0x10
	s_load_dword s9, s[4:5], 0x50
	s_mov_b32 s2, 0
	s_waitcnt lgkmcnt(0)
	s_mul_hi_i32 s3, s15, s6
	s_cmp_lg_u64 s[2:3], 0
	s_mul_i32 s2, s15, s6
	s_cbranch_scc0 .LBB23_21
; %bb.1:
	v_cvt_f32_u32_e32 v1, s9
	v_cvt_f32_ubyte0_e32 v2, 0
	s_sub_u32 s10, 0, s9
	s_subb_u32 s11, 0, 0
	v_madmk_f32 v1, v2, 0x4f800000, v1
	v_rcp_f32_e32 v1, v1
	v_mul_f32_e32 v1, 0x5f7ffffc, v1
	v_mul_f32_e32 v2, 0x2f800000, v1
	v_trunc_f32_e32 v2, v2
	v_madmk_f32 v1, v2, 0xcf800000, v1
	v_cvt_u32_f32_e32 v2, v2
	v_cvt_u32_f32_e32 v1, v1
	v_readfirstlane_b32 s16, v2
	v_readfirstlane_b32 s17, v1
	s_mul_i32 s18, s10, s16
	s_mul_hi_u32 s20, s10, s17
	s_mul_i32 s19, s11, s17
	s_add_i32 s18, s20, s18
	s_add_i32 s18, s18, s19
	s_mul_i32 s21, s10, s17
	s_mul_hi_u32 s19, s17, s18
	s_mul_i32 s20, s17, s18
	s_mul_hi_u32 s17, s17, s21
	s_add_u32 s17, s17, s20
	s_addc_u32 s19, 0, s19
	s_mul_hi_u32 s22, s16, s21
	s_mul_i32 s21, s16, s21
	s_add_u32 s17, s17, s21
	s_mul_hi_u32 s20, s16, s18
	s_addc_u32 s17, s19, s22
	s_addc_u32 s19, s20, 0
	s_mul_i32 s18, s16, s18
	s_add_u32 s17, s17, s18
	s_addc_u32 s18, 0, s19
	v_add_co_u32_e32 v1, vcc, s17, v1
	s_cmp_lg_u64 vcc, 0
	s_addc_u32 s16, s16, s18
	v_readfirstlane_b32 s18, v1
	s_mul_i32 s17, s10, s16
	s_mul_hi_u32 s19, s10, s18
	s_add_i32 s17, s19, s17
	s_mul_i32 s11, s11, s18
	s_add_i32 s17, s17, s11
	s_mul_i32 s10, s10, s18
	s_mul_hi_u32 s19, s16, s10
	s_mul_i32 s20, s16, s10
	s_mul_i32 s22, s18, s17
	s_mul_hi_u32 s10, s18, s10
	s_mul_hi_u32 s21, s18, s17
	s_add_u32 s10, s10, s22
	s_addc_u32 s18, 0, s21
	s_add_u32 s10, s10, s20
	s_mul_hi_u32 s11, s16, s17
	s_addc_u32 s10, s18, s19
	s_addc_u32 s11, s11, 0
	s_mul_i32 s17, s16, s17
	s_add_u32 s10, s10, s17
	s_addc_u32 s11, 0, s11
	v_add_co_u32_e32 v1, vcc, s10, v1
	s_cmp_lg_u64 vcc, 0
	s_addc_u32 s18, s16, s11
	s_ashr_i32 s10, s3, 31
	s_add_u32 s16, s2, s10
	s_mov_b32 s11, s10
	s_addc_u32 s17, s3, s10
	s_xor_b64 s[16:17], s[16:17], s[10:11]
	v_readfirstlane_b32 s20, v1
	s_mul_i32 s19, s16, s18
	s_mul_hi_u32 s21, s16, s20
	s_mul_hi_u32 s3, s16, s18
	s_add_u32 s19, s21, s19
	s_addc_u32 s3, 0, s3
	s_mul_hi_u32 s22, s17, s20
	s_mul_i32 s20, s17, s20
	s_add_u32 s19, s19, s20
	s_mul_hi_u32 s21, s17, s18
	s_addc_u32 s3, s3, s22
	s_addc_u32 s19, s21, 0
	s_mul_i32 s18, s17, s18
	s_add_u32 s3, s3, s18
	s_addc_u32 s18, 0, s19
	s_add_u32 s19, s3, 1
	s_addc_u32 s20, s18, 0
	s_add_u32 s21, s3, 2
	s_mul_i32 s23, s9, s18
	s_mul_hi_u32 s24, s9, s3
	s_addc_u32 s22, s18, 0
	s_add_i32 s24, s24, s23
	s_mul_i32 s23, s9, s3
	v_mov_b32_e32 v1, s23
	v_sub_co_u32_e32 v1, vcc, s16, v1
	s_cmp_lg_u64 vcc, 0
	s_subb_u32 s16, s17, s24
	v_subrev_co_u32_e32 v2, vcc, s9, v1
	s_cmp_lg_u64 vcc, 0
	s_subb_u32 s17, s16, 0
	v_readfirstlane_b32 s23, v2
	s_cmp_ge_u32 s23, s9
	s_cselect_b32 s23, -1, 0
	s_cmp_eq_u32 s17, 0
	s_cselect_b32 s17, s23, -1
	s_cmp_lg_u32 s17, 0
	s_cselect_b32 s17, s22, s20
	v_readfirstlane_b32 s20, v1
	s_cselect_b32 s19, s21, s19
	s_cmp_ge_u32 s20, s9
	s_cselect_b32 s20, -1, 0
	s_cmp_eq_u32 s16, 0
	s_cselect_b32 s16, s20, -1
	s_cmp_lg_u32 s16, 0
	s_cselect_b32 s17, s17, s18
	s_cselect_b32 s16, s19, s3
	s_xor_b64 s[16:17], s[16:17], s[10:11]
	s_sub_u32 s20, s16, s10
	s_load_dwordx4 s[16:19], s[4:5], 0x44
	s_cbranch_execnz .LBB23_3
.LBB23_2:
	v_cvt_f32_u32_e32 v1, s9
	s_sub_i32 s0, 0, s9
	v_rcp_iflag_f32_e32 v1, v1
	v_mul_f32_e32 v1, 0x4f7ffffe, v1
	v_cvt_u32_f32_e32 v1, v1
	v_readfirstlane_b32 s1, v1
	s_mul_i32 s0, s0, s1
	s_mul_hi_u32 s0, s1, s0
	s_add_i32 s1, s1, s0
	s_mul_hi_u32 s0, s2, s1
	s_mul_i32 s3, s0, s9
	s_sub_i32 s2, s2, s3
	s_add_i32 s1, s0, 1
	s_sub_i32 s3, s2, s9
	s_cmp_ge_u32 s2, s9
	s_cselect_b32 s0, s1, s0
	s_cselect_b32 s2, s3, s2
	s_add_i32 s1, s0, 1
	s_cmp_ge_u32 s2, s9
	s_cselect_b32 s20, s1, s0
.LBB23_3:
	s_add_i32 s0, s6, 1
	s_mul_hi_i32 s3, s15, s0
	s_mov_b32 s2, 0
	s_cmp_lg_u64 s[2:3], 0
	s_mul_i32 s2, s15, s0
	s_cbranch_scc0 .LBB23_22
; %bb.4:
	v_cvt_f32_u32_e32 v1, s9
	v_cvt_f32_ubyte0_e32 v2, 0
	s_sub_u32 s10, 0, s9
	s_subb_u32 s11, 0, 0
	v_madmk_f32 v1, v2, 0x4f800000, v1
	v_rcp_f32_e32 v1, v1
	v_mul_f32_e32 v1, 0x5f7ffffc, v1
	v_mul_f32_e32 v2, 0x2f800000, v1
	v_trunc_f32_e32 v2, v2
	v_madmk_f32 v1, v2, 0xcf800000, v1
	v_cvt_u32_f32_e32 v2, v2
	v_cvt_u32_f32_e32 v1, v1
	s_waitcnt lgkmcnt(0)
	v_readfirstlane_b32 s19, v2
	v_readfirstlane_b32 s21, v1
	s_mul_i32 s22, s10, s19
	s_mul_hi_u32 s24, s10, s21
	s_mul_i32 s23, s11, s21
	s_add_i32 s22, s24, s22
	s_add_i32 s22, s22, s23
	s_mul_i32 s25, s10, s21
	s_mul_hi_u32 s23, s21, s22
	s_mul_i32 s24, s21, s22
	s_mul_hi_u32 s21, s21, s25
	s_add_u32 s21, s21, s24
	s_addc_u32 s23, 0, s23
	s_mul_hi_u32 s26, s19, s25
	s_mul_i32 s25, s19, s25
	s_add_u32 s21, s21, s25
	s_mul_hi_u32 s24, s19, s22
	s_addc_u32 s21, s23, s26
	s_addc_u32 s23, s24, 0
	s_mul_i32 s22, s19, s22
	s_add_u32 s21, s21, s22
	s_addc_u32 s22, 0, s23
	v_add_co_u32_e32 v1, vcc, s21, v1
	s_cmp_lg_u64 vcc, 0
	s_addc_u32 s19, s19, s22
	v_readfirstlane_b32 s22, v1
	s_mul_i32 s21, s10, s19
	s_mul_hi_u32 s23, s10, s22
	s_add_i32 s21, s23, s21
	s_mul_i32 s11, s11, s22
	s_add_i32 s21, s21, s11
	s_mul_i32 s10, s10, s22
	s_mul_hi_u32 s23, s19, s10
	s_mul_i32 s24, s19, s10
	s_mul_i32 s26, s22, s21
	s_mul_hi_u32 s10, s22, s10
	s_mul_hi_u32 s25, s22, s21
	s_add_u32 s10, s10, s26
	s_addc_u32 s22, 0, s25
	s_add_u32 s10, s10, s24
	s_mul_hi_u32 s11, s19, s21
	s_addc_u32 s10, s22, s23
	s_addc_u32 s11, s11, 0
	s_mul_i32 s21, s19, s21
	s_add_u32 s10, s10, s21
	s_addc_u32 s11, 0, s11
	v_add_co_u32_e32 v1, vcc, s10, v1
	s_cmp_lg_u64 vcc, 0
	s_addc_u32 s19, s19, s11
	s_ashr_i32 s10, s3, 31
	s_add_u32 s22, s2, s10
	s_mov_b32 s11, s10
	s_addc_u32 s23, s3, s10
	s_xor_b64 s[22:23], s[22:23], s[10:11]
	v_readfirstlane_b32 s21, v1
	s_mul_i32 s11, s22, s19
	s_mul_hi_u32 s24, s22, s21
	s_mul_hi_u32 s3, s22, s19
	s_add_u32 s11, s24, s11
	s_addc_u32 s3, 0, s3
	s_mul_hi_u32 s25, s23, s21
	s_mul_i32 s21, s23, s21
	s_add_u32 s11, s11, s21
	s_mul_hi_u32 s24, s23, s19
	s_addc_u32 s3, s3, s25
	s_addc_u32 s11, s24, 0
	s_mul_i32 s19, s23, s19
	s_add_u32 s3, s3, s19
	s_addc_u32 s11, 0, s11
	s_mul_i32 s11, s9, s11
	s_mul_hi_u32 s24, s9, s3
	s_add_i32 s24, s24, s11
	s_mul_i32 s11, s9, s3
	v_mov_b32_e32 v1, s11
	s_add_u32 s19, s3, 1
	s_add_u32 s21, s3, 2
	v_sub_co_u32_e32 v1, vcc, s22, v1
	s_cmp_lg_u64 vcc, 0
	s_subb_u32 s11, s23, s24
	v_subrev_co_u32_e32 v2, vcc, s9, v1
	s_cmp_lg_u64 vcc, 0
	s_subb_u32 s22, s11, 0
	v_cmp_le_u32_e32 vcc, s9, v2
	s_cmp_eq_u32 s22, 0
	v_cndmask_b32_e64 v2, 0, -1, vcc
	s_cselect_b64 vcc, -1, 0
	v_cndmask_b32_e32 v2, -1, v2, vcc
	v_mov_b32_e32 v3, s19
	v_mov_b32_e32 v4, s21
	v_cmp_ne_u32_e32 vcc, 0, v2
	v_cndmask_b32_e32 v2, v3, v4, vcc
	v_cmp_le_u32_e32 vcc, s9, v1
	s_cmp_eq_u32 s11, 0
	v_cndmask_b32_e64 v1, 0, -1, vcc
	s_cselect_b64 vcc, -1, 0
	v_cndmask_b32_e32 v1, -1, v1, vcc
	v_mov_b32_e32 v3, s3
	v_cmp_ne_u32_e32 vcc, 0, v1
	v_cndmask_b32_e32 v1, v3, v2, vcc
	v_xor_b32_e32 v1, s10, v1
	v_subrev_co_u32_e32 v2, vcc, s10, v1
	s_cbranch_execnz .LBB23_6
.LBB23_5:
	v_cvt_f32_u32_e32 v1, s9
	s_sub_i32 s0, 0, s9
	s_mov_b32 s1, 0
	v_rcp_iflag_f32_e32 v1, v1
	v_mul_f32_e32 v1, 0x4f7ffffe, v1
	v_cvt_u32_f32_e32 v1, v1
	v_readfirstlane_b32 s3, v1
	s_mul_i32 s0, s0, s3
	s_mul_hi_u32 s0, s3, s0
	s_add_i32 s3, s3, s0
	s_mul_hi_u32 s0, s2, s3
	s_mul_i32 s10, s0, s9
	s_sub_i32 s2, s2, s10
	s_add_i32 s3, s0, 1
	s_sub_i32 s10, s2, s9
	s_cmp_ge_u32 s2, s9
	s_cselect_b32 s0, s3, s0
	s_cselect_b32 s2, s10, s2
	s_add_i32 s3, s0, 1
	s_cmp_ge_u32 s2, s9
	s_cselect_b32 s0, s3, s0
	v_pk_mov_b32 v[2:3], s[0:1], s[0:1] op_sel:[0,1]
.LBB23_6:
	s_waitcnt lgkmcnt(0)
	s_mul_hi_u32 s0, s20, s16
	s_add_i32 s0, s0, s20
	v_mul_hi_u32 v1, v2, s16
	s_lshr_b32 s19, s0, s17
	v_add_u32_e32 v1, v1, v2
	s_mul_i32 s0, s19, s18
	v_lshrrev_b32_e32 v1, s17, v1
	s_cmp_eq_u32 s0, s20
	v_cmp_eq_u32_e64 s[0:1], s19, v1
	v_mul_lo_u32 v1, v1, s18
	v_cmp_eq_u32_e32 vcc, s20, v2
	s_cselect_b64 s[10:11], -1, 0
	v_cmp_ne_u32_e64 s[2:3], v1, v2
	s_and_b64 s[0:1], s[0:1], s[2:3]
	s_or_b64 s[2:3], vcc, s[10:11]
	s_or_b64 s[0:1], s[2:3], s[0:1]
	s_and_b64 vcc, exec, s[0:1]
	s_cbranch_vccnz .LBB23_24
; %bb.7:
	s_load_dwordx8 s[24:31], s[4:5], 0x20
	s_load_dword s0, s[4:5], 0x40
	s_mov_b32 s10, 0
	s_waitcnt lgkmcnt(0)
	s_mul_hi_u32 s1, s20, s24
	s_add_i32 s1, s1, s20
	s_lshr_b32 s11, s1, s25
	s_mul_i32 s1, s11, s26
	s_sub_i32 s1, s20, s1
	s_mul_hi_u32 s2, s1, s27
	s_add_i32 s2, s1, s2
	s_lshr_b32 s24, s2, s28
	s_mul_i32 s2, s24, s29
	s_sub_i32 s1, s1, s2
	;; [unrolled: 5-line block ×3, first 2 shown]
	s_mul_hi_u32 s1, s0, s16
	s_add_i32 s0, s0, s1
	s_lshr_b32 s26, s0, s17
	s_lshl_b32 s0, s26, 3
	s_lshl_b32 s25, s2, 2
	s_add_i32 s0, s0, s7
	s_cmp_lt_i32 s0, s12
	s_cselect_b64 s[0:1], -1, 0
	s_add_i32 s2, s25, s8
	s_cmp_lt_i32 s2, s14
	s_cselect_b64 s[2:3], -1, 0
	s_and_b64 s[0:1], s[0:1], s[2:3]
	s_andn2_b64 vcc, exec, s[0:1]
	s_cbranch_vccnz .LBB23_24
; %bb.8:
	s_load_dwordx4 s[0:3], s[4:5], 0x0
	s_lshl_b32 s21, s7, 2
	s_lshl_b32 s4, s9, 7
	s_mov_b32 s5, s10
	s_add_i32 s21, s21, s8
	s_lshl_b64 s[4:5], s[4:5], 2
	s_waitcnt lgkmcnt(0)
	s_add_u32 s22, s2, s4
	s_mul_i32 s4, s11, s12
	s_addc_u32 s23, s3, s5
	s_add_i32 s4, s4, s7
	s_mul_i32 s4, s4, s13
	s_mul_i32 s24, s24, s14
	s_add_i32 s4, s4, s8
	s_add_i32 s4, s4, s24
	s_mul_i32 s5, s13, s26
	s_add_i32 s4, s4, s25
	s_lshl_b32 s5, s5, 10
	s_lshl_b32 s4, s4, 7
	s_add_i32 s5, s5, s4
	v_or_b32_e32 v2, s5, v0
	v_ashrrev_i32_e32 v3, 31, v2
	v_lshlrev_b64 v[2:3], 2, v[2:3]
	v_mov_b32_e32 v1, s1
	v_add_co_u32_e32 v2, vcc, s0, v2
	v_addc_co_u32_e32 v3, vcc, v1, v3, vcc
	global_load_dword v5, v[2:3], off
	v_lshl_or_b32 v4, s21, 7, v0
	v_cvt_f32_u32_e32 v0, s9
	v_cvt_f32_ubyte0_e32 v1, 0
	s_lshl_b32 s0, s6, 5
	s_add_i32 s0, s21, s0
	v_mac_f32_e32 v0, 0x4f800000, v1
	v_rcp_f32_e32 v0, v0
	v_cvt_f32_u32_e32 v1, s9
	s_ashr_i32 s1, s0, 31
	s_lshl_b64 s[0:1], s[0:1], 3
	v_mul_f32_e32 v0, 0x5f7ffffc, v0
	v_rcp_iflag_f32_e32 v1, v1
	s_add_u32 s0, s2, s0
	v_mul_f32_e32 v9, 0x2f800000, v0
	s_addc_u32 s1, s3, s1
	v_trunc_f32_e32 v10, v9
	s_load_dwordx2 s[0:1], s[0:1], 0x0
	v_mac_f32_e32 v0, 0xcf800000, v10
	v_cvt_u32_f32_e32 v9, v0
	v_mul_f32_e32 v0, 0x4f7ffffe, v1
	v_cvt_u32_f32_e32 v10, v10
	v_cvt_u32_f32_e32 v11, v0
	s_add_i32 s8, s6, -1
	s_waitcnt lgkmcnt(0)
	v_mov_b32_e32 v6, s1
	v_mov_b32_e32 v7, s0
	;; [unrolled: 1-line block ×3, first 2 shown]
	s_mov_b32 s6, 0x3fb8aa3b
	s_mov_b32 s7, 0xc2ce8ed0
	;; [unrolled: 1-line block ×4, first 2 shown]
	v_mov_b32_e32 v12, 0x7f800000
	s_mul_hi_i32 s11, s8, s15
	s_cmp_lg_u64 s[10:11], 0
	s_mul_i32 s4, s8, s15
	s_cbranch_scc0 .LBB23_15
.LBB23_9:
	s_sub_u32 s0, 0, s9
	v_readfirstlane_b32 s5, v9
	v_readfirstlane_b32 s24, v10
	s_subb_u32 s1, 0, 0
	s_mul_hi_u32 s20, s0, s5
	s_mul_i32 s25, s0, s24
	s_mul_i32 s14, s1, s5
	s_add_i32 s20, s20, s25
	s_add_i32 s20, s20, s14
	s_mul_i32 s26, s0, s5
	s_mul_hi_u32 s14, s5, s20
	s_mul_i32 s25, s5, s20
	s_mul_hi_u32 s5, s5, s26
	s_add_u32 s5, s5, s25
	s_addc_u32 s14, 0, s14
	s_mul_hi_u32 s27, s24, s26
	s_mul_i32 s26, s24, s26
	s_add_u32 s5, s5, s26
	s_mul_hi_u32 s25, s24, s20
	s_addc_u32 s5, s14, s27
	s_addc_u32 s14, s25, 0
	s_mul_i32 s20, s24, s20
	s_add_u32 s5, s5, s20
	s_addc_u32 s14, 0, s14
	v_add_co_u32_e32 v0, vcc, s5, v9
	s_cmp_lg_u64 vcc, 0
	s_addc_u32 s5, s24, s14
	v_readfirstlane_b32 s20, v0
	s_mul_i32 s14, s0, s5
	s_mul_hi_u32 s24, s0, s20
	s_add_i32 s14, s24, s14
	s_mul_i32 s1, s1, s20
	s_add_i32 s14, s14, s1
	s_mul_i32 s0, s0, s20
	s_mul_hi_u32 s24, s5, s0
	s_mul_i32 s25, s5, s0
	s_mul_i32 s27, s20, s14
	s_mul_hi_u32 s0, s20, s0
	s_mul_hi_u32 s26, s20, s14
	s_add_u32 s0, s0, s27
	s_addc_u32 s20, 0, s26
	s_add_u32 s0, s0, s25
	s_mul_hi_u32 s1, s5, s14
	s_addc_u32 s0, s20, s24
	s_addc_u32 s1, s1, 0
	s_mul_i32 s14, s5, s14
	s_add_u32 s0, s0, s14
	s_addc_u32 s1, 0, s1
	v_add_co_u32_e32 v0, vcc, s0, v0
	s_cmp_lg_u64 vcc, 0
	s_addc_u32 s5, s5, s1
	s_ashr_i32 s0, s11, 31
	s_add_u32 s24, s4, s0
	s_mov_b32 s1, s0
	s_addc_u32 s25, s11, s0
	s_xor_b64 s[24:25], s[24:25], s[0:1]
	v_readfirstlane_b32 s14, v0
	s_mul_i32 s11, s24, s5
	s_mul_hi_u32 s20, s24, s14
	s_mul_hi_u32 s1, s24, s5
	s_add_u32 s11, s20, s11
	s_addc_u32 s1, 0, s1
	s_mul_hi_u32 s26, s25, s14
	s_mul_i32 s14, s25, s14
	s_add_u32 s11, s11, s14
	s_mul_hi_u32 s20, s25, s5
	s_addc_u32 s1, s1, s26
	s_addc_u32 s11, s20, 0
	s_mul_i32 s5, s25, s5
	s_add_u32 s1, s1, s5
	s_addc_u32 s5, 0, s11
	s_mul_i32 s5, s9, s5
	s_mul_hi_u32 s20, s9, s1
	s_add_i32 s20, s20, s5
	s_mul_i32 s5, s9, s1
	v_mov_b32_e32 v0, s5
	s_add_u32 s11, s1, 1
	s_add_u32 s14, s1, 2
	v_sub_co_u32_e32 v0, vcc, s24, v0
	s_cmp_lg_u64 vcc, 0
	s_subb_u32 s5, s25, s20
	v_subrev_co_u32_e32 v1, vcc, s9, v0
	s_cmp_lg_u64 vcc, 0
	s_subb_u32 s20, s5, 0
	v_cmp_le_u32_e32 vcc, s9, v1
	s_cmp_eq_u32 s20, 0
	v_cndmask_b32_e64 v1, 0, -1, vcc
	s_cselect_b64 vcc, -1, 0
	v_cndmask_b32_e32 v1, -1, v1, vcc
	v_mov_b32_e32 v13, s11
	v_mov_b32_e32 v14, s14
	v_cmp_ne_u32_e32 vcc, 0, v1
	v_cndmask_b32_e32 v1, v13, v14, vcc
	v_cmp_le_u32_e32 vcc, s9, v0
	s_cmp_eq_u32 s5, 0
	v_cndmask_b32_e64 v0, 0, -1, vcc
	s_cselect_b64 vcc, -1, 0
	v_cndmask_b32_e32 v0, -1, v0, vcc
	v_mov_b32_e32 v13, s1
	v_cmp_ne_u32_e32 vcc, 0, v0
	v_cndmask_b32_e32 v0, v13, v1, vcc
	v_xor_b32_e32 v0, s0, v0
	v_subrev_co_u32_e32 v0, vcc, s0, v0
	s_cbranch_execnz .LBB23_11
.LBB23_10:
	s_sub_i32 s0, 0, s9
	v_mul_lo_u32 v0, s0, v11
	v_mul_hi_u32 v0, v11, v0
	v_add_u32_e32 v0, v11, v0
	v_mul_hi_u32 v0, s4, v0
	v_mul_lo_u32 v13, v0, s9
	v_sub_u32_e32 v13, s4, v13
	v_add_u32_e32 v1, 1, v0
	v_subrev_u32_e32 v14, s9, v13
	v_cmp_le_u32_e32 vcc, s9, v13
	v_cndmask_b32_e32 v13, v13, v14, vcc
	v_cndmask_b32_e32 v0, v0, v1, vcc
	v_add_u32_e32 v1, 1, v0
	v_cmp_le_u32_e32 vcc, s9, v13
	v_cndmask_b32_e32 v0, v0, v1, vcc
.LBB23_11:
	v_cmp_ne_u32_e32 vcc, v8, v0
	s_cbranch_vccz .LBB23_14
; %bb.12:
	s_add_i32 s0, s8, s9
	s_lshl_b32 s0, s0, 5
	v_mul_hi_u32 v1, v0, s16
	s_add_i32 s0, s0, s21
	s_mov_b32 s1, s10
	v_add_u32_e32 v1, v1, v0
	s_lshl_b64 s[0:1], s[0:1], 3
	v_lshrrev_b32_e32 v1, s17, v1
	s_add_u32 s4, s2, s0
	v_mul_lo_u32 v13, v1, s18
	s_addc_u32 s5, s3, s1
	v_cmp_eq_u32_e32 vcc, v13, v0
	v_cmp_gt_u32_e64 s[0:1], s19, v1
	s_or_b64 s[0:1], s[0:1], vcc
	s_and_b64 vcc, exec, s[0:1]
	s_cbranch_vccnz .LBB23_16
; %bb.13:
	s_add_i32 s11, s8, -1
	s_mov_b64 s[0:1], 0
	s_branch .LBB23_17
.LBB23_14:
                                        ; implicit-def: $sgpr0_sgpr1
                                        ; implicit-def: $vgpr14
                                        ; implicit-def: $vgpr1
                                        ; implicit-def: $vgpr13
                                        ; implicit-def: $sgpr11
                                        ; implicit-def: $vgpr0
	s_branch .LBB23_18
.LBB23_15:
                                        ; implicit-def: $vgpr0_vgpr1
	s_branch .LBB23_10
.LBB23_16:
	s_mov_b64 s[0:1], -1
	s_mov_b32 s11, s8
	v_mov_b32_e32 v0, v8
.LBB23_17:
	v_lshl_add_u32 v14, s8, 12, v4
	v_ashrrev_i32_e32 v15, 31, v14
	v_lshlrev_b64 v[14:15], 2, v[14:15]
	v_mov_b32_e32 v1, s23
	v_add_co_u32_e32 v14, vcc, s22, v14
	v_addc_co_u32_e32 v15, vcc, v1, v15, vcc
	global_load_dword v14, v[14:15], off
	s_load_dwordx2 s[4:5], s[4:5], 0x0
	v_max_f32_e32 v1, v7, v7
	s_waitcnt lgkmcnt(0)
	v_max_f32_e64 v13, s4, s4
	v_max_f32_e32 v1, v1, v13
	v_sub_f32_e32 v13, v7, v1
	v_sub_f32_e32 v15, s4, v1
	v_mul_f32_e32 v16, 0x3fb8aa3b, v13
	v_mul_f32_e32 v17, 0x3fb8aa3b, v15
	v_fma_f32 v18, v13, s6, -v16
	v_rndne_f32_e32 v19, v16
	v_fma_f32 v20, v15, s6, -v17
	v_rndne_f32_e32 v21, v17
	v_fmac_f32_e32 v18, 0x32a5705f, v13
	v_sub_f32_e32 v16, v16, v19
	v_fmac_f32_e32 v20, 0x32a5705f, v15
	v_sub_f32_e32 v17, v17, v21
	v_add_f32_e32 v16, v16, v18
	v_cvt_i32_f32_e32 v19, v19
	v_add_f32_e32 v17, v17, v20
	v_exp_f32_e32 v16, v16
	v_cvt_i32_f32_e32 v21, v21
	v_exp_f32_e32 v17, v17
	v_cmp_ngt_f32_e32 vcc, s7, v13
	v_ldexp_f32 v16, v16, v19
	v_cndmask_b32_e32 v16, 0, v16, vcc
	v_ldexp_f32 v17, v17, v21
	v_cmp_ngt_f32_e32 vcc, s7, v15
	v_cndmask_b32_e32 v17, 0, v17, vcc
	v_cmp_nlt_f32_e32 vcc, s12, v13
	v_cndmask_b32_e32 v16, v12, v16, vcc
	v_cmp_nlt_f32_e32 vcc, s12, v15
	v_cndmask_b32_e32 v17, v12, v17, vcc
	v_cmp_le_f32_e32 vcc, s13, v13
	v_cndmask_b32_e32 v16, 0, v16, vcc
	v_cmp_le_f32_e32 vcc, s13, v15
	v_cndmask_b32_e32 v15, 0, v17, vcc
	v_mul_f32_e32 v13, s5, v15
	v_fmac_f32_e32 v13, v6, v16
	s_waitcnt vmcnt(0)
	v_mul_f32_e32 v14, v14, v15
	v_fmac_f32_e32 v14, v5, v16
	s_cbranch_execnz .LBB23_19
.LBB23_18:
	s_add_i32 s11, s8, -1
	s_mov_b64 s[0:1], 0
	v_mov_b32_e32 v0, v8
	v_mov_b32_e32 v13, v6
	;; [unrolled: 1-line block ×3, first 2 shown]
	s_waitcnt vmcnt(0)
	v_mov_b32_e32 v14, v5
.LBB23_19:
	s_andn2_b64 vcc, exec, s[0:1]
	s_cbranch_vccz .LBB23_23
; %bb.20:
	v_mov_b32_e32 v8, v0
	s_mov_b32 s8, s11
	v_mov_b32_e32 v6, v13
	v_mov_b32_e32 v7, v1
	s_waitcnt vmcnt(0)
	v_mov_b32_e32 v5, v14
	s_mul_hi_i32 s11, s8, s15
	s_cmp_lg_u64 s[10:11], 0
	s_mul_i32 s4, s8, s15
	s_cbranch_scc1 .LBB23_9
	s_branch .LBB23_15
.LBB23_21:
                                        ; implicit-def: $sgpr20_sgpr21
	s_load_dwordx4 s[16:19], s[4:5], 0x44
	s_branch .LBB23_2
.LBB23_22:
                                        ; implicit-def: $vgpr2_vgpr3
	s_branch .LBB23_5
.LBB23_23:
	v_div_scale_f32 v0, s[0:1], v13, v13, v14
	v_rcp_f32_e32 v1, v0
	v_div_scale_f32 v4, vcc, v14, v13, v14
	s_waitcnt vmcnt(0)
	v_fma_f32 v5, -v0, v1, 1.0
	v_fmac_f32_e32 v1, v5, v1
	v_mul_f32_e32 v5, v4, v1
	v_fma_f32 v6, -v0, v5, v4
	v_fmac_f32_e32 v5, v6, v1
	v_fma_f32 v0, -v0, v5, v4
	v_div_fmas_f32 v0, v0, v1, v5
	v_div_fixup_f32 v0, v0, v13, v14
	global_store_dword v[2:3], v0, off
.LBB23_24:
	s_endpgm
	.section	.rodata,"a",@progbits
	.p2align	6, 0x0
	.amdhsa_kernel _ZL33flash_attn_stream_k_fixup_generalILi128ELi8ELi4EEvPfPK15HIP_vector_typeIfLj2EEiiiiS1_IjLj3EES5_S5_S5_
		.amdhsa_group_segment_fixed_size 0
		.amdhsa_private_segment_fixed_size 0
		.amdhsa_kernarg_size 336
		.amdhsa_user_sgpr_count 6
		.amdhsa_user_sgpr_private_segment_buffer 1
		.amdhsa_user_sgpr_dispatch_ptr 0
		.amdhsa_user_sgpr_queue_ptr 0
		.amdhsa_user_sgpr_kernarg_segment_ptr 1
		.amdhsa_user_sgpr_dispatch_id 0
		.amdhsa_user_sgpr_flat_scratch_init 0
		.amdhsa_user_sgpr_kernarg_preload_length 0
		.amdhsa_user_sgpr_kernarg_preload_offset 0
		.amdhsa_user_sgpr_private_segment_size 0
		.amdhsa_uses_dynamic_stack 0
		.amdhsa_system_sgpr_private_segment_wavefront_offset 0
		.amdhsa_system_sgpr_workgroup_id_x 1
		.amdhsa_system_sgpr_workgroup_id_y 1
		.amdhsa_system_sgpr_workgroup_id_z 1
		.amdhsa_system_sgpr_workgroup_info 0
		.amdhsa_system_vgpr_workitem_id 0
		.amdhsa_next_free_vgpr 22
		.amdhsa_next_free_sgpr 32
		.amdhsa_accum_offset 24
		.amdhsa_reserve_vcc 1
		.amdhsa_reserve_flat_scratch 0
		.amdhsa_float_round_mode_32 0
		.amdhsa_float_round_mode_16_64 0
		.amdhsa_float_denorm_mode_32 3
		.amdhsa_float_denorm_mode_16_64 3
		.amdhsa_dx10_clamp 1
		.amdhsa_ieee_mode 1
		.amdhsa_fp16_overflow 0
		.amdhsa_tg_split 0
		.amdhsa_exception_fp_ieee_invalid_op 0
		.amdhsa_exception_fp_denorm_src 0
		.amdhsa_exception_fp_ieee_div_zero 0
		.amdhsa_exception_fp_ieee_overflow 0
		.amdhsa_exception_fp_ieee_underflow 0
		.amdhsa_exception_fp_ieee_inexact 0
		.amdhsa_exception_int_div_zero 0
	.end_amdhsa_kernel
	.section	.text._ZL33flash_attn_stream_k_fixup_generalILi128ELi8ELi4EEvPfPK15HIP_vector_typeIfLj2EEiiiiS1_IjLj3EES5_S5_S5_,"axG",@progbits,_ZL33flash_attn_stream_k_fixup_generalILi128ELi8ELi4EEvPfPK15HIP_vector_typeIfLj2EEiiiiS1_IjLj3EES5_S5_S5_,comdat
.Lfunc_end23:
	.size	_ZL33flash_attn_stream_k_fixup_generalILi128ELi8ELi4EEvPfPK15HIP_vector_typeIfLj2EEiiiiS1_IjLj3EES5_S5_S5_, .Lfunc_end23-_ZL33flash_attn_stream_k_fixup_generalILi128ELi8ELi4EEvPfPK15HIP_vector_typeIfLj2EEiiiiS1_IjLj3EES5_S5_S5_
                                        ; -- End function
	.section	.AMDGPU.csdata,"",@progbits
; Kernel info:
; codeLenInByte = 2824
; NumSgprs: 36
; NumVgprs: 22
; NumAgprs: 0
; TotalNumVgprs: 22
; ScratchSize: 0
; MemoryBound: 0
; FloatMode: 240
; IeeeMode: 1
; LDSByteSize: 0 bytes/workgroup (compile time only)
; SGPRBlocks: 4
; VGPRBlocks: 2
; NumSGPRsForWavesPerEU: 36
; NumVGPRsForWavesPerEU: 22
; AccumOffset: 24
; Occupancy: 8
; WaveLimiterHint : 0
; COMPUTE_PGM_RSRC2:SCRATCH_EN: 0
; COMPUTE_PGM_RSRC2:USER_SGPR: 6
; COMPUTE_PGM_RSRC2:TRAP_HANDLER: 0
; COMPUTE_PGM_RSRC2:TGID_X_EN: 1
; COMPUTE_PGM_RSRC2:TGID_Y_EN: 1
; COMPUTE_PGM_RSRC2:TGID_Z_EN: 1
; COMPUTE_PGM_RSRC2:TIDIG_COMP_CNT: 0
; COMPUTE_PGM_RSRC3_GFX90A:ACCUM_OFFSET: 5
; COMPUTE_PGM_RSRC3_GFX90A:TG_SPLIT: 0
	.section	.text._ZL15flash_attn_tileILi128ELi128ELi4ELi4ELb0EEvPKcS1_S1_S1_S1_PKiPfP15HIP_vector_typeIfLj2EEffffjfiS5_IjLj3EEiiiiiiiiiiiliiliiiiil,"axG",@progbits,_ZL15flash_attn_tileILi128ELi128ELi4ELi4ELb0EEvPKcS1_S1_S1_S1_PKiPfP15HIP_vector_typeIfLj2EEffffjfiS5_IjLj3EEiiiiiiiiiiiliiliiiiil,comdat
	.globl	_ZL15flash_attn_tileILi128ELi128ELi4ELi4ELb0EEvPKcS1_S1_S1_S1_PKiPfP15HIP_vector_typeIfLj2EEffffjfiS5_IjLj3EEiiiiiiiiiiiliiliiiiil ; -- Begin function _ZL15flash_attn_tileILi128ELi128ELi4ELi4ELb0EEvPKcS1_S1_S1_S1_PKiPfP15HIP_vector_typeIfLj2EEffffjfiS5_IjLj3EEiiiiiiiiiiiliiliiiiil
	.p2align	8
	.type	_ZL15flash_attn_tileILi128ELi128ELi4ELi4ELb0EEvPKcS1_S1_S1_S1_PKiPfP15HIP_vector_typeIfLj2EEffffjfiS5_IjLj3EEiiiiiiiiiiiliiliiiiil,@function
_ZL15flash_attn_tileILi128ELi128ELi4ELi4ELb0EEvPKcS1_S1_S1_S1_PKiPfP15HIP_vector_typeIfLj2EEffffjfiS5_IjLj3EEiiiiiiiiiiiliiliiiiil: ; @_ZL15flash_attn_tileILi128ELi128ELi4ELi4ELb0EEvPKcS1_S1_S1_S1_PKiPfP15HIP_vector_typeIfLj2EEffffjfiS5_IjLj3EEiiiiiiiiiiiliiliiiiil
; %bb.0:
	s_load_dwordx4 s[24:27], s[4:5], 0x5c
	s_load_dwordx2 s[28:29], s[4:5], 0x80
	s_load_dwordx16 s[36:51], s[4:5], 0x0
	s_mov_b64 s[30:31], 0
	s_waitcnt lgkmcnt(0)
	s_ashr_i32 s0, s27, 31
	s_lshr_b32 s0, s0, 30
	s_add_i32 s0, s27, s0
	s_ashr_i32 s0, s0, 2
	v_cvt_f32_u32_e32 v1, s0
	s_sub_i32 s1, 0, s0
	v_rcp_iflag_f32_e32 v1, v1
	v_mul_f32_e32 v1, 0x4f7ffffe, v1
	v_cvt_u32_f32_e32 v1, v1
	v_readfirstlane_b32 s2, v1
	s_mul_i32 s1, s1, s2
	s_mul_hi_u32 s1, s2, s1
	s_add_i32 s2, s2, s1
	s_mul_hi_u32 s1, s8, s2
	s_mul_i32 s2, s1, s0
	s_sub_i32 s2, s8, s2
	s_add_i32 s3, s1, 1
	s_sub_i32 s9, s2, s0
	s_cmp_ge_u32 s2, s0
	s_cselect_b32 s1, s3, s1
	s_cselect_b32 s2, s9, s2
	s_add_i32 s3, s1, 1
	s_cmp_ge_u32 s2, s0
	s_cselect_b32 s33, s3, s1
	s_abs_i32 s0, s29
	v_cvt_f32_u32_e32 v1, s0
	s_lshl_b32 s1, s8, 2
	s_mul_i32 s8, s33, s27
	s_xor_b32 s2, s27, s29
	v_rcp_iflag_f32_e32 v1, v1
	s_sub_i32 s9, 0, s0
	s_sub_i32 s29, s1, s8
	s_abs_i32 s3, s27
	v_mul_f32_e32 v1, 0x4f7ffffe, v1
	v_cvt_u32_f32_e32 v1, v1
	s_ashr_i32 s2, s2, 31
	v_readfirstlane_b32 s1, v1
	s_mul_i32 s9, s9, s1
	s_mul_hi_u32 s8, s1, s9
	s_add_i32 s1, s1, s8
	s_mul_hi_u32 s1, s3, s1
	s_mul_i32 s8, s1, s0
	s_sub_i32 s3, s3, s8
	s_add_i32 s9, s1, 1
	s_sub_i32 s8, s3, s0
	s_cmp_ge_u32 s3, s0
	s_cselect_b32 s1, s9, s1
	s_cselect_b32 s3, s8, s3
	s_add_i32 s8, s1, 1
	s_cmp_ge_u32 s3, s0
	s_cselect_b32 s0, s8, s1
	s_xor_b32 s0, s0, s2
	s_sub_i32 s11, s0, s2
	s_abs_i32 s10, s11
	v_cvt_f32_u32_e32 v1, s10
	s_load_dwordx2 s[8:9], s[4:5], 0xb8
	s_cmp_eq_u64 s[42:43], 0
	v_rcp_iflag_f32_e32 v1, v1
	v_mul_f32_e32 v1, 0x4f7ffffe, v1
	v_cvt_u32_f32_e32 v1, v1
	v_readfirstlane_b32 s12, v1
	s_cbranch_scc1 .LBB24_2
; %bb.1:
	s_waitcnt lgkmcnt(0)
	s_abs_i32 s2, s8
	v_cvt_f32_u32_e32 v1, s2
	s_sub_i32 s13, 0, s2
	s_abs_i32 s8, s33
	s_ashr_i32 s3, s33, 31
	v_rcp_iflag_f32_e32 v1, v1
	s_load_dwordx2 s[0:1], s[4:5], 0xc8
	v_mul_f32_e32 v1, 0x4f7ffffe, v1
	v_cvt_u32_f32_e32 v1, v1
	v_readfirstlane_b32 s14, v1
	s_mul_i32 s13, s13, s14
	s_mul_hi_u32 s13, s14, s13
	s_add_i32 s14, s14, s13
	s_mul_hi_u32 s13, s8, s14
	s_mul_i32 s13, s13, s2
	s_sub_i32 s8, s8, s13
	s_sub_i32 s13, s8, s2
	s_cmp_ge_u32 s8, s2
	s_cselect_b32 s8, s13, s8
	s_sub_i32 s13, s8, s2
	s_cmp_ge_u32 s8, s2
	s_cselect_b32 s2, s13, s8
	s_xor_b32 s2, s2, s3
	s_sub_i32 s2, s2, s3
	s_ashr_i32 s3, s2, 31
	s_waitcnt lgkmcnt(0)
	s_mul_i32 s1, s2, s1
	s_mul_hi_u32 s8, s2, s0
	s_add_i32 s1, s8, s1
	s_mul_i32 s3, s3, s0
	s_add_i32 s1, s1, s3
	s_mul_i32 s2, s2, s0
	s_add_u32 s30, s42, s2
	s_addc_u32 s31, s43, s1
.LBB24_2:
	s_load_dwordx4 s[0:3], s[4:5], 0x70
	v_bfe_u32 v1, v0, 10, 10
	v_lshrrev_b32_e32 v2, 1, v1
	v_lshl_add_u32 v21, s6, 2, v2
	v_mul_hi_u32 v2, s24, v21
	s_waitcnt lgkmcnt(0)
	s_mul_i32 s2, s33, s2
	s_ashr_i32 s8, s2, 31
	s_mul_i32 s3, s29, s1
	s_add_u32 s2, s36, s2
	s_addc_u32 s8, s37, s8
	s_ashr_i32 s13, s3, 31
	v_add_u32_e32 v2, v21, v2
	s_add_u32 s14, s2, s3
	v_lshrrev_b32_e32 v2, s25, v2
	s_addc_u32 s8, s8, s13
	v_mul_lo_u32 v2, v2, s26
	s_ashr_i32 s15, s0, 31
	v_mov_b32_e32 v4, s0
	v_sub_u32_e32 v2, v21, v2
	v_alignbit_b32 v4, s15, v4, 2
	v_mad_u64_u32 v[4:5], s[2:3], v4, v2, 0
	v_mov_b32_e32 v6, v5
	s_lshr_b32 s0, s15, 2
	v_mad_u64_u32 v[6:7], s[2:3], s0, v2, v[6:7]
	v_mov_b32_e32 v5, v6
	v_lshlrev_b64 v[4:5], 2, v[4:5]
	v_and_b32_e32 v20, 0x3ff, v0
	v_mov_b32_e32 v0, s8
	v_add_co_u32_e32 v4, vcc, s14, v4
	v_lshlrev_b32_e32 v3, 1, v1
	v_addc_co_u32_e32 v0, vcc, v0, v5, vcc
	v_lshlrev_b32_e32 v5, 4, v20
	s_ashr_i32 s13, s1, 31
	v_add_co_u32_e32 v12, vcc, v4, v5
	v_mov_b32_e32 v4, s1
	v_or_b32_e32 v14, 1, v3
	v_and_b32_e32 v54, 2, v3
	s_lshr_b32 s2, s13, 2
	v_alignbit_b32 v8, s13, v4, 2
	v_and_b32_e32 v10, 3, v14
	v_addc_co_u32_e32 v13, vcc, 0, v0, vcc
	v_mul_lo_u32 v0, s2, v54
	v_mad_u64_u32 v[4:5], s[0:1], v8, v54, 0
	v_mad_u64_u32 v[8:9], s[0:1], v8, v10, 0
	v_or_b32_e32 v5, v5, v0
	v_mov_b32_e32 v0, v9
	v_lshlrev_b64 v[4:5], 2, v[4:5]
	v_mad_u64_u32 v[10:11], s[0:1], s2, v10, v[0:1]
	v_add_co_u32_e32 v4, vcc, v12, v4
	v_mov_b32_e32 v9, v10
	v_addc_co_u32_e32 v5, vcc, v13, v5, vcc
	v_lshlrev_b64 v[8:9], 2, v[8:9]
	v_add_co_u32_e32 v8, vcc, v12, v8
	global_load_dwordx4 v[4:7], v[4:5], off
	v_addc_co_u32_e32 v9, vcc, v13, v9, vcc
	global_load_dwordx4 v[8:11], v[8:9], off
	s_load_dword s0, s[4:5], 0x40
	v_lshlrev_b32_e32 v0, 1, v20
	v_lshlrev_b32_e32 v12, 7, v1
	;; [unrolled: 1-line block ×3, first 2 shown]
	v_add_lshl_u32 v12, v12, v0, 2
	v_add_lshl_u32 v0, v13, v0, 2
	s_cmp_eq_u64 s[46:47], 0
	s_waitcnt vmcnt(1) lgkmcnt(0)
	v_pk_mul_f32 v[4:5], v[4:5], s[0:1] op_sel_hi:[1,0]
	v_pk_mul_f32 v[6:7], v[6:7], s[0:1] op_sel_hi:[1,0]
	v_cvt_f16_f32_e32 v13, v5
	s_waitcnt vmcnt(0)
	v_pk_mul_f32 v[8:9], v[8:9], s[0:1] op_sel_hi:[1,0]
	v_pk_mul_f32 v[10:11], v[10:11], s[0:1] op_sel_hi:[1,0]
	v_cvt_f16_f32_e32 v4, v4
	v_cvt_f16_f32_e32 v5, v7
	;; [unrolled: 1-line block ×7, first 2 shown]
	v_pack_b32_f16 v5, v6, v5
	v_pack_b32_f16 v4, v4, v13
	;; [unrolled: 1-line block ×4, first 2 shown]
	ds_write_b64 v12, v[4:5] offset:17408
	ds_write_b64 v0, v[6:7] offset:17408
	s_waitcnt lgkmcnt(0)
	s_barrier
	s_cbranch_scc1 .LBB24_4
; %bb.3:
	s_load_dword s0, s[4:5], 0xd0
	s_mov_b32 s1, 0
	s_waitcnt lgkmcnt(0)
	s_mul_i32 s0, s0, s33
	s_add_i32 s0, s0, s6
	s_lshl_b64 s[0:1], s[0:1], 2
	s_add_u32 s0, s46, s0
	s_addc_u32 s1, s47, s1
	s_load_dword s28, s[0:1], 0x0
.LBB24_4:
	s_lshl_b32 s36, s7, 6
	s_waitcnt lgkmcnt(0)
	s_cmp_lt_i32 s36, s28
	v_mbcnt_lo_u32_b32 v0, -1, 0
	s_cbranch_scc1 .LBB24_6
; %bb.5:
	v_mbcnt_hi_u32_b32 v25, -1, v0
	v_and_b32_e32 v4, 0x60, v25
	s_mov_b32 s0, 0xfeffffff
	s_mov_b32 s6, 0
	v_add_u32_e32 v56, 32, v4
	v_xor_b32_e32 v62, 16, v25
	v_xor_b32_e32 v61, 8, v25
	;; [unrolled: 1-line block ×5, first 2 shown]
	s_mov_b32 s1, s0
	s_mov_b64 s[2:3], 0
	s_branch .LBB24_7
.LBB24_6:
	s_mov_b64 s[2:3], -1
                                        ; implicit-def: $sgpr6
                                        ; implicit-def: $sgpr0_sgpr1
                                        ; implicit-def: $vgpr25
                                        ; implicit-def: $vgpr56
                                        ; implicit-def: $vgpr62
                                        ; implicit-def: $vgpr61
                                        ; implicit-def: $vgpr60
                                        ; implicit-def: $vgpr59
                                        ; implicit-def: $vgpr58
.LBB24_7:
	v_lshlrev_b32_e32 v55, 2, v20
	s_andn2_b64 vcc, exec, s[2:3]
	v_mov_b32_e32 v23, s6
	v_mov_b32_e32 v57, s6
	v_pk_mov_b32 v[44:45], s[0:1], s[0:1] op_sel:[0,1]
	v_mov_b32_e32 v65, s6
	v_mov_b32_e32 v22, s6
	;; [unrolled: 1-line block ×4, first 2 shown]
	s_cbranch_vccnz .LBB24_10
; %bb.8:
	s_sub_i32 s0, 0, s10
	s_mul_i32 s0, s0, s12
	s_mul_hi_u32 s0, s12, s0
	s_add_i32 s8, s12, s0
	s_load_dwordx2 s[12:13], s[4:5], 0x8c
	s_load_dwordx4 s[0:3], s[4:5], 0x98
	s_abs_i32 s6, s29
	s_mul_hi_u32 s8, s6, s8
	s_ashr_i32 s16, s29, 31
	s_waitcnt lgkmcnt(0)
	s_ashr_i32 s42, s12, 2
	s_ashr_i32 s37, s2, 2
	;; [unrolled: 1-line block ×4, first 2 shown]
	s_mul_i32 s1, s33, s1
	s_mul_hi_u32 s12, s33, s0
	s_add_i32 s1, s12, s1
	s_mul_i32 s12, s9, s0
	s_ashr_i32 s11, s11, 31
	s_add_i32 s1, s1, s12
	s_mul_i32 s0, s33, s0
	s_add_u32 s0, s38, s0
	s_mul_i32 s12, s8, s10
	s_addc_u32 s1, s39, s1
	s_sub_i32 s6, s6, s12
	s_xor_b32 s11, s16, s11
	s_add_i32 s12, s8, 1
	s_sub_i32 s16, s6, s10
	s_cmp_ge_u32 s6, s10
	s_cselect_b32 s8, s12, s8
	s_cselect_b32 s6, s16, s6
	s_add_i32 s12, s8, 1
	s_cmp_ge_u32 s6, s10
	s_cselect_b32 s6, s12, s8
	s_load_dwordx2 s[14:15], s[4:5], 0xa8
	s_xor_b32 s6, s6, s11
	s_sub_i32 s6, s6, s11
	s_mul_i32 s8, s6, s13
	s_ashr_i32 s10, s8, 31
	s_add_u32 s38, s0, s8
	s_addc_u32 s39, s1, s10
	s_waitcnt lgkmcnt(0)
	s_mul_i32 s0, s33, s15
	s_mul_hi_u32 s1, s33, s14
	s_add_i32 s0, s1, s0
	s_mul_i32 s9, s9, s14
	s_add_i32 s0, s0, s9
	s_mul_i32 s1, s33, s14
	s_add_u32 s1, s40, s1
	s_mul_i32 s6, s6, s3
	s_addc_u32 s0, s41, s0
	s_ashr_i32 s3, s6, 31
	v_lshrrev_b32_e32 v4, 4, v20
	s_add_u32 s40, s1, s6
	v_add_u32_e32 v3, v4, v3
	v_and_b32_e32 v4, 60, v55
	s_addc_u32 s41, s0, s3
	v_lshlrev_b32_e32 v5, 2, v4
	s_movk_i32 s0, 0x110
	v_mad_u32_u24 v63, v3, s0, v5
	v_mul_lo_u32 v6, s42, v3
	s_lshl_b32 s0, s42, 4
	v_add_u32_e32 v8, s0, v6
	v_add_u32_e32 v10, s0, v8
	;; [unrolled: 1-line block ×3, first 2 shown]
	v_mad_u64_u32 v[24:25], s[0:1], v2, s2, v[20:21]
	v_mov_b32_e32 v2, 0x5400
	v_mov_b32_e32 v14, 0x4400
	v_lshl_add_u32 v70, v1, 8, v2
	v_mul_lo_u32 v2, s37, v3
	s_lshl_b32 s0, s37, 4
	v_lshl_add_u32 v69, v1, 9, v14
	v_add_u32_e32 v14, s0, v2
	v_add_u32_e32 v18, s0, v14
	;; [unrolled: 1-line block ×3, first 2 shown]
	v_mbcnt_hi_u32_b32 v25, -1, v0
	v_mov_b32_e32 v17, 0
	v_ashrrev_i32_e32 v7, 31, v6
	v_ashrrev_i32_e32 v9, 31, v8
	;; [unrolled: 1-line block ×4, first 2 shown]
	v_lshl_or_b32 v71, v3, 8, v5
	v_ashrrev_i32_e32 v3, 31, v2
	v_ashrrev_i32_e32 v15, 31, v14
	;; [unrolled: 1-line block ×4, first 2 shown]
	v_lshlrev_b32_e32 v75, 3, v20
	s_add_u32 s34, s4, 0xd0
	v_mov_b32_e32 v42, 0xfeffffff
	v_and_b32_e32 v0, 0x60, v25
	v_add_u32_e32 v64, 0x1100, v63
	v_add_u32_e32 v66, 0x2200, v63
	;; [unrolled: 1-line block ×3, first 2 shown]
	v_mul_u32_u24_e32 v68, 0x110, v20
	v_add_u32_e32 v72, 0x1000, v71
	v_add_u32_e32 v73, 0x2000, v71
	;; [unrolled: 1-line block ×3, first 2 shown]
	s_addc_u32 s35, s5, 0
	v_lshlrev_b64 v[26:27], 2, v[6:7]
	v_lshlrev_b32_e32 v76, 2, v4
	v_lshlrev_b64 v[28:29], 2, v[8:9]
	v_lshlrev_b64 v[30:31], 2, v[10:11]
	;; [unrolled: 1-line block ×3, first 2 shown]
	v_add_u32_e32 v56, 32, v0
	v_xor_b32_e32 v62, 16, v25
	v_xor_b32_e32 v61, 8, v25
	;; [unrolled: 1-line block ×5, first 2 shown]
	v_mov_b32_e32 v77, s31
	s_mov_b32 s6, 0x40051340
	s_mov_b32 s31, 0x3fb8aa3b
	;; [unrolled: 1-line block ×4, first 2 shown]
	v_mov_b32_e32 v78, 0x7f800000
	v_add_u32_e32 v79, v70, v55
	v_lshlrev_b64 v[34:35], 2, v[2:3]
	v_lshlrev_b64 v[36:37], 2, v[14:15]
	;; [unrolled: 1-line block ×4, first 2 shown]
	v_add_u32_e32 v80, 0x800, v75
	v_add_u32_e32 v81, 0x1000, v75
	v_add_u32_e32 v82, 0x1800, v75
	v_add_u32_e32 v83, 0x2000, v75
	v_add_u32_e32 v84, 0x2800, v75
	v_add_u32_e32 v85, 0x3000, v75
	v_add_u32_e32 v86, 0x3800, v75
	v_mov_b32_e32 v65, 0
	v_mov_b32_e32 v16, 0
	;; [unrolled: 1-line block ×6, first 2 shown]
.LBB24_9:                               ; =>This Inner Loop Header: Depth=1
	s_mul_hi_i32 s13, s36, s42
	s_mul_i32 s12, s36, s42
	v_add_u32_e32 v0, s36, v24
	v_cmp_lt_i32_e64 s[0:1], v61, v56
	v_cmp_lt_i32_e64 s[10:11], v59, v56
	v_cndmask_b32_e64 v3, v25, v61, s[0:1]
	s_lshl_b64 s[0:1], s[12:13], 2
	v_ashrrev_i32_e32 v1, 31, v0
	v_cmp_lt_i32_e32 vcc, v62, v56
	v_cmp_lt_i32_e64 s[2:3], v60, v56
	v_cmp_lt_i32_e64 s[8:9], v58, v56
	v_cndmask_b32_e64 v5, v25, v59, s[10:11]
	s_add_u32 s10, s38, s0
	v_lshlrev_b64 v[0:1], 1, v[0:1]
	s_mul_hi_i32 s15, s36, s37
	s_mul_i32 s14, s36, s37
	v_cndmask_b32_e32 v2, v25, v62, vcc
	v_cndmask_b32_e64 v4, v25, v60, s[2:3]
	v_cndmask_b32_e64 v6, v25, v58, s[8:9]
	s_addc_u32 s12, s39, s1
	v_add_co_u32_e32 v0, vcc, s30, v0
	v_lshlrev_b32_e32 v87, 2, v2
	v_lshlrev_b32_e32 v98, 2, v3
	;; [unrolled: 1-line block ×5, first 2 shown]
	s_lshl_b64 s[18:19], s[14:15], 2
	v_add_co_u32_e64 v2, s[0:1], s10, v28
	v_add_co_u32_e64 v3, s[2:3], s10, v30
	;; [unrolled: 1-line block ×4, first 2 shown]
	v_addc_co_u32_e32 v1, vcc, v77, v1, vcc
	v_mov_b32_e32 v6, s12
	v_mov_b32_e32 v7, s12
	;; [unrolled: 1-line block ×4, first 2 shown]
	s_add_u32 s18, s40, s18
	v_add_co_u32_e32 v14, vcc, v2, v76
	v_add_co_u32_e64 v92, s[12:13], v3, v76
	v_add_co_u32_e64 v94, s[14:15], v4, v76
	;; [unrolled: 1-line block ×3, first 2 shown]
	v_addc_co_u32_e64 v2, s[10:11], v6, v27, s[10:11]
	v_addc_co_u32_e64 v3, s[0:1], v7, v29, s[0:1]
	;; [unrolled: 1-line block ×4, first 2 shown]
	v_add_co_u32_e64 v6, s[0:1], s18, v34
	v_add_co_u32_e64 v7, s[2:3], s18, v36
	;; [unrolled: 1-line block ×4, first 2 shown]
	v_addc_co_u32_e64 v97, s[16:17], 0, v2, s[16:17]
	v_addc_co_u32_e32 v15, vcc, 0, v3, vcc
	v_addc_co_u32_e64 v93, vcc, 0, v4, s[12:13]
	v_addc_co_u32_e64 v95, vcc, 0, v5, s[14:15]
	v_add_co_u32_e32 v46, vcc, v7, v76
	v_add_co_u32_e64 v48, s[12:13], v8, v76
	v_add_co_u32_e64 v50, s[14:15], v9, v76
	;; [unrolled: 1-line block ×3, first 2 shown]
	global_load_dwordx4 v[2:5], v[96:97], off
	global_load_dwordx4 v[6:9], v[14:15], off
	global_load_dwordx4 v[10:13], v[92:93], off
	global_load_dwordx4 v[88:91], v[94:95], off
	v_mov_b32_e32 v18, 0
	v_mov_b32_e32 v44, 0
	;; [unrolled: 1-line block ×3, first 2 shown]
	s_waitcnt vmcnt(3)
	ds_write_b128 v63, v[2:5]
	s_waitcnt vmcnt(2)
	ds_write_b128 v64, v[6:9]
	;; [unrolled: 2-line block ×4, first 2 shown]
	s_waitcnt lgkmcnt(0)
	s_barrier
	ds_read_b128 v[2:5], v69
	ds_read_b128 v[6:9], v68
	ds_read_b128 v[10:13], v68 offset:8704
	ds_read_b128 v[88:91], v69 offset:256
	s_waitcnt lgkmcnt(2)
	;;#ASMSTART
	v_dot2_f32_f16 v18, v6, v2, v18
	;;#ASMEND
	;;#ASMSTART
	v_dot2_f32_f16 v18, v7, v3, v18
	;;#ASMEND
	;; [unrolled: 3-line block ×4, first 2 shown]
	s_waitcnt lgkmcnt(0)
	;;#ASMSTART
	v_dot2_f32_f16 v44, v6, v88, v44
	;;#ASMEND
	;;#ASMSTART
	v_dot2_f32_f16 v44, v7, v89, v44
	;;#ASMEND
	;; [unrolled: 3-line block ×6, first 2 shown]
	v_mov_b32_e32 v45, 0
	;;#ASMSTART
	v_dot2_f32_f16 v19, v12, v4, v19
	;;#ASMEND
	;;#ASMSTART
	v_dot2_f32_f16 v19, v13, v5, v19
	;;#ASMEND
	;;#ASMSTART
	v_dot2_f32_f16 v45, v10, v88, v45
	;;#ASMEND
	;;#ASMSTART
	v_dot2_f32_f16 v45, v11, v89, v45
	;;#ASMEND
	;;#ASMSTART
	v_dot2_f32_f16 v45, v12, v90, v45
	;;#ASMEND
	;;#ASMSTART
	v_dot2_f32_f16 v45, v13, v91, v45
	;;#ASMEND
	ds_read_b128 v[2:5], v69 offset:16
	ds_read_b128 v[6:9], v68 offset:16
	ds_read_b128 v[10:13], v68 offset:8720
	ds_read_b128 v[88:91], v69 offset:272
	s_waitcnt lgkmcnt(2)
	;;#ASMSTART
	v_dot2_f32_f16 v18, v6, v2, v18
	;;#ASMEND
	;;#ASMSTART
	v_dot2_f32_f16 v18, v7, v3, v18
	;;#ASMEND
	;;#ASMSTART
	v_dot2_f32_f16 v18, v8, v4, v18
	;;#ASMEND
	;;#ASMSTART
	v_dot2_f32_f16 v18, v9, v5, v18
	;;#ASMEND
	s_waitcnt lgkmcnt(0)
	;;#ASMSTART
	v_dot2_f32_f16 v44, v6, v88, v44
	;;#ASMEND
	;;#ASMSTART
	v_dot2_f32_f16 v44, v7, v89, v44
	;;#ASMEND
	;;#ASMSTART
	v_dot2_f32_f16 v44, v8, v90, v44
	;;#ASMEND
	;;#ASMSTART
	v_dot2_f32_f16 v44, v9, v91, v44
	;;#ASMEND
	;;#ASMSTART
	v_dot2_f32_f16 v19, v10, v2, v19
	;;#ASMEND
	;;#ASMSTART
	v_dot2_f32_f16 v19, v11, v3, v19
	;;#ASMEND
	;;#ASMSTART
	v_dot2_f32_f16 v19, v12, v4, v19
	;;#ASMEND
	;;#ASMSTART
	v_dot2_f32_f16 v19, v13, v5, v19
	;;#ASMEND
	;;#ASMSTART
	v_dot2_f32_f16 v45, v10, v88, v45
	;;#ASMEND
	;;#ASMSTART
	v_dot2_f32_f16 v45, v11, v89, v45
	;;#ASMEND
	;;#ASMSTART
	v_dot2_f32_f16 v45, v12, v90, v45
	;;#ASMEND
	;;#ASMSTART
	v_dot2_f32_f16 v45, v13, v91, v45
	;;#ASMEND
	ds_read_b128 v[2:5], v69 offset:32
	ds_read_b128 v[6:9], v68 offset:32
	ds_read_b128 v[10:13], v68 offset:8736
	ds_read_b128 v[88:91], v69 offset:288
	s_waitcnt lgkmcnt(2)
	;;#ASMSTART
	v_dot2_f32_f16 v18, v6, v2, v18
	;;#ASMEND
	;;#ASMSTART
	v_dot2_f32_f16 v18, v7, v3, v18
	;;#ASMEND
	;;#ASMSTART
	v_dot2_f32_f16 v18, v8, v4, v18
	;;#ASMEND
	;;#ASMSTART
	v_dot2_f32_f16 v18, v9, v5, v18
	;;#ASMEND
	s_waitcnt lgkmcnt(0)
	;;#ASMSTART
	v_dot2_f32_f16 v44, v6, v88, v44
	;;#ASMEND
	;;#ASMSTART
	v_dot2_f32_f16 v44, v7, v89, v44
	;;#ASMEND
	;;#ASMSTART
	v_dot2_f32_f16 v44, v8, v90, v44
	;;#ASMEND
	;;#ASMSTART
	v_dot2_f32_f16 v44, v9, v91, v44
	;;#ASMEND
	;;#ASMSTART
	v_dot2_f32_f16 v19, v10, v2, v19
	;;#ASMEND
	;;#ASMSTART
	v_dot2_f32_f16 v19, v11, v3, v19
	;;#ASMEND
	;; [unrolled: 54-line block ×15, first 2 shown]
	;;#ASMSTART
	v_dot2_f32_f16 v19, v12, v4, v19
	;;#ASMEND
	;;#ASMSTART
	v_dot2_f32_f16 v19, v13, v5, v19
	;;#ASMEND
	;; [unrolled: 3-line block ×6, first 2 shown]
	flat_load_ushort v88, v[0:1] offset:64
	flat_load_ushort v89, v[0:1]
	s_addc_u32 s19, s41, s19
	v_mov_b32_e32 v47, s19
	v_mov_b32_e32 v49, s19
	;; [unrolled: 1-line block ×4, first 2 shown]
	v_addc_co_u32_e64 v14, s[0:1], v47, v35, s[0:1]
	v_addc_co_u32_e64 v15, s[0:1], v49, v37, s[2:3]
	;; [unrolled: 1-line block ×5, first 2 shown]
	v_addc_co_u32_e32 v47, vcc, 0, v15, vcc
	v_addc_co_u32_e64 v49, vcc, 0, v49, s[12:13]
	v_addc_co_u32_e64 v51, vcc, 0, v51, s[14:15]
	s_waitcnt lgkmcnt(0)
	s_barrier
	global_load_dwordx4 v[0:3], v[52:53], off
	global_load_dwordx4 v[4:7], v[46:47], off
	;; [unrolled: 1-line block ×4, first 2 shown]
	s_waitcnt vmcnt(0)
	v_cvt_f32_f16_e32 v47, v88
	v_cvt_f32_f16_e32 v46, v89
	v_pk_add_f32 v[48:49], v[44:45], v[46:47]
	v_pk_add_f32 v[18:19], v[18:19], v[46:47]
	v_mov_b32_e32 v44, v18
	v_mov_b32_e32 v45, v48
	;; [unrolled: 1-line block ×4, first 2 shown]
	v_pk_add_f32 v[44:45], v[44:45], s[6:7] op_sel_hi:[1,0]
	v_pk_add_f32 v[46:47], v[46:47], s[6:7] op_sel_hi:[1,0]
	v_max3_f32 v44, v42, v44, v46
	v_max3_f32 v45, v43, v45, v47
	ds_bpermute_b32 v46, v87, v44
	ds_bpermute_b32 v47, v87, v45
	s_waitcnt lgkmcnt(1)
	v_max_f32_e32 v46, v46, v46
	s_waitcnt lgkmcnt(0)
	v_max_f32_e32 v47, v47, v47
	v_max_f32_e32 v44, v44, v46
	v_max_f32_e32 v45, v45, v47
	ds_bpermute_b32 v46, v98, v44
	ds_bpermute_b32 v47, v98, v45
	s_waitcnt lgkmcnt(1)
	v_max_f32_e32 v46, v46, v46
	s_waitcnt lgkmcnt(0)
	v_max_f32_e32 v47, v47, v47
	v_max_f32_e32 v44, v44, v46
	v_max_f32_e32 v45, v45, v47
	;; [unrolled: 8-line block ×5, first 2 shown]
	v_pk_add_f32 v[46:47], v[18:19], v[44:45] op_sel_hi:[1,0] neg_lo:[0,1] neg_hi:[0,1]
	v_mov_b32_e32 v50, v45
	v_mul_f32_e32 v51, 0x3fb8aa3b, v47
	v_pk_add_f32 v[18:19], v[42:43], v[44:45] neg_lo:[0,1] neg_hi:[0,1]
	v_mul_f32_e32 v52, 0x3fb8aa3b, v46
	v_pk_add_f32 v[48:49], v[48:49], v[50:51] op_sel_hi:[1,0] neg_lo:[0,1] neg_hi:[0,1]
	v_mul_f32_e32 v50, 0x3fb8aa3b, v19
	v_mul_f32_e32 v53, 0x3fb8aa3b, v18
	v_fma_f32 v87, v47, s31, -v51
	v_rndne_f32_e32 v88, v51
	v_fma_f32 v89, v46, s31, -v52
	v_rndne_f32_e32 v90, v52
	v_mul_f32_e32 v91, 0x3fb8aa3b, v49
	v_mul_f32_e32 v92, 0x3fb8aa3b, v48
	v_cmp_ngt_f32_e32 vcc, s43, v46
	v_cmp_ngt_f32_e64 s[8:9], s43, v47
	v_cmp_nlt_f32_e64 s[10:11], s46, v46
	v_cmp_nlt_f32_e64 s[16:17], s46, v47
	v_fma_f32 v93, v19, s31, -v50
	v_rndne_f32_e32 v94, v50
	v_fma_f32 v95, v18, s31, -v53
	v_rndne_f32_e32 v96, v53
	v_fmac_f32_e32 v87, 0x32a5705f, v47
	v_sub_f32_e32 v47, v51, v88
	v_cvt_i32_f32_e32 v51, v88
	v_fmac_f32_e32 v89, 0x32a5705f, v46
	v_sub_f32_e32 v46, v52, v90
	v_cvt_i32_f32_e32 v52, v90
	v_fma_f32 v88, v49, s31, -v91
	v_rndne_f32_e32 v90, v91
	v_fma_f32 v97, v48, s31, -v92
	v_rndne_f32_e32 v98, v92
	v_cmp_ngt_f32_e64 s[0:1], s43, v19
	v_cmp_ngt_f32_e64 s[2:3], s43, v18
	v_cmp_nlt_f32_e64 s[12:13], s46, v19
	v_cmp_nlt_f32_e64 s[14:15], s46, v18
	v_cmp_ngt_f32_e64 s[18:19], s43, v49
	v_cmp_ngt_f32_e64 s[20:21], s43, v48
	v_cmp_nlt_f32_e64 s[22:23], s46, v48
	v_cmp_nlt_f32_e64 s[24:25], s46, v49
	v_fmac_f32_e32 v93, 0x32a5705f, v19
	v_sub_f32_e32 v19, v50, v94
	v_fmac_f32_e32 v95, 0x32a5705f, v18
	v_sub_f32_e32 v18, v53, v96
	v_add_f32_e32 v47, v47, v87
	v_fmac_f32_e32 v88, 0x32a5705f, v49
	v_sub_f32_e32 v49, v91, v90
	v_fmac_f32_e32 v97, 0x32a5705f, v48
	v_sub_f32_e32 v48, v92, v98
	v_add_f32_e32 v46, v46, v89
	v_add_f32_e32 v19, v19, v93
	;; [unrolled: 1-line block ×3, first 2 shown]
	v_exp_f32_e32 v47, v47
	v_add_f32_e32 v49, v49, v88
	v_add_f32_e32 v48, v48, v97
	v_cvt_i32_f32_e32 v50, v94
	v_cvt_i32_f32_e32 v53, v96
	;; [unrolled: 1-line block ×4, first 2 shown]
	v_exp_f32_e32 v46, v46
	v_exp_f32_e32 v19, v19
	;; [unrolled: 1-line block ×5, first 2 shown]
	v_ldexp_f32 v47, v47, v51
	v_ldexp_f32 v46, v46, v52
	;; [unrolled: 1-line block ×4, first 2 shown]
	v_cndmask_b32_e64 v47, 0, v47, s[8:9]
	v_ldexp_f32 v49, v49, v87
	v_ldexp_f32 v48, v48, v89
	v_cndmask_b32_e32 v46, 0, v46, vcc
	v_cndmask_b32_e64 v19, 0, v19, s[0:1]
	v_cndmask_b32_e64 v50, 0, v18, s[2:3]
	v_cndmask_b32_e64 v18, v78, v47, s[16:17]
	v_cndmask_b32_e64 v47, 0, v49, s[18:19]
	v_cndmask_b32_e64 v51, 0, v48, s[20:21]
	v_cndmask_b32_e64 v46, v78, v46, s[10:11]
	v_cndmask_b32_e64 v49, v78, v19, s[12:13]
	v_cndmask_b32_e64 v19, v78, v47, s[24:25]
	v_cndmask_b32_e64 v47, v78, v51, s[22:23]
	v_cndmask_b32_e64 v48, v78, v50, s[14:15]
	v_cvt_f16_f32_e32 v52, v46
	v_cvt_f16_f32_e32 v53, v18
	v_pk_add_f32 v[50:51], v[46:47], v[18:19]
	v_cvt_f16_f32_e32 v18, v47
	v_cvt_f16_f32_e32 v19, v19
	;; [unrolled: 1-line block ×4, first 2 shown]
	v_pack_b32_f16 v18, v52, v18
	v_pack_b32_f16 v19, v53, v19
	v_pk_fma_f32 v[22:23], v[22:23], v[48:49], v[50:51]
	v_pk_mul_f16 v17, v248, v17 op_sel_hi:[0,1]
	ds_write2_b32 v79, v18, v19 offset1:32
	ds_write_b128 v71, v[0:3]
	ds_write_b128 v72, v[4:7]
	ds_write_b128 v73, v[8:11]
	ds_write_b128 v74, v[12:15]
	s_waitcnt lgkmcnt(0)
	s_barrier
	ds_read2_b64 v[46:49], v75 offset1:32
	ds_read_b128 v[50:53], v70
	ds_read_b128 v[88:91], v70 offset:16
	ds_read_b128 v[92:95], v70 offset:32
	;; [unrolled: 1-line block ×3, first 2 shown]
	ds_read2_b64 v[100:103], v75 offset0:64 offset1:96
	ds_read2_b64 v[104:107], v75 offset0:128 offset1:160
	;; [unrolled: 1-line block ×3, first 2 shown]
	ds_read2_b64 v[112:115], v80 offset1:32
	ds_read2_b64 v[116:119], v80 offset0:64 offset1:96
	ds_read2_b64 v[120:123], v80 offset0:128 offset1:160
	;; [unrolled: 1-line block ×3, first 2 shown]
	ds_read2_b64 v[128:131], v81 offset1:32
	ds_read2_b64 v[132:135], v81 offset0:64 offset1:96
	ds_read2_b64 v[136:139], v81 offset0:128 offset1:160
	ds_read_b128 v[140:143], v70 offset:64
	ds_read_b128 v[144:147], v70 offset:80
	ds_read2_b64 v[148:151], v81 offset0:192 offset1:224
	ds_read2_b64 v[152:155], v82 offset1:32
	ds_read2_b64 v[156:159], v82 offset0:64 offset1:96
	ds_read2_b64 v[160:163], v82 offset0:128 offset1:160
	ds_read_b128 v[164:167], v70 offset:96
	ds_read_b128 v[168:171], v70 offset:112
	ds_read2_b64 v[172:175], v82 offset0:192 offset1:224
	;; [unrolled: 6-line block ×5, first 2 shown]
	ds_read2_b64 v[8:11], v86 offset1:32
	ds_read2_b64 v[4:7], v86 offset0:64 offset1:96
	ds_read2_b64 v[0:3], v86 offset0:128 offset1:160
	s_waitcnt lgkmcnt(14)
	v_pk_mul_f16 v12, v47, v50 op_sel_hi:[1,0]
	v_pk_mul_f16 v18, v46, v50 op_sel_hi:[1,0]
	v_pk_mul_f16 v19, v46, v50 op_sel:[0,1]
	v_pk_fma_f16 v16, v87, v16, v12 op_sel_hi:[0,1,1]
	v_pk_fma_f16 v18, v87, v65, v18 op_sel_hi:[0,1,1]
	v_pk_fma_f16 v17, v47, v50, v17 op_sel:[0,1,0]
	v_pk_fma_f16 v19, v248, v57, v19 op_sel_hi:[0,1,1]
	v_pk_fma_f16 v46, v49, v51, v17 op_sel:[0,1,0]
	;; [unrolled: 2-line block ×79, first 2 shown]
	v_pk_fma_f16 v53, v199, v195, v53 op_sel_hi:[1,0,1]
	s_waitcnt lgkmcnt(11)
	v_pk_fma_f16 v50, v201, v212, v50 op_sel:[0,1,0]
	v_pk_fma_f16 v51, v200, v212, v51 op_sel_hi:[1,0,1]
	v_pk_fma_f16 v52, v200, v212, v52 op_sel:[0,1,0]
	v_pk_fma_f16 v53, v201, v212, v53 op_sel_hi:[1,0,1]
	;; [unrolled: 2-line block ×8, first 2 shown]
	s_waitcnt lgkmcnt(10)
	v_pk_fma_f16 v50, v209, v216, v50 op_sel:[0,1,0]
	v_pk_fma_f16 v51, v208, v216, v51 op_sel_hi:[1,0,1]
	v_pk_fma_f16 v52, v208, v216, v52 op_sel:[0,1,0]
	v_pk_fma_f16 v53, v209, v216, v53 op_sel_hi:[1,0,1]
	v_pk_fma_f16 v50, v211, v217, v50 op_sel:[0,1,0]
	v_pk_fma_f16 v51, v210, v217, v51 op_sel_hi:[1,0,1]
	v_pk_fma_f16 v52, v210, v217, v52 op_sel:[0,1,0]
	v_pk_fma_f16 v53, v211, v217, v53 op_sel_hi:[1,0,1]
	s_waitcnt lgkmcnt(9)
	v_pk_fma_f16 v50, v221, v218, v50 op_sel:[0,1,0]
	v_pk_fma_f16 v51, v220, v218, v51 op_sel_hi:[1,0,1]
	v_pk_fma_f16 v52, v220, v218, v52 op_sel:[0,1,0]
	v_pk_fma_f16 v53, v221, v218, v53 op_sel_hi:[1,0,1]
	v_pk_fma_f16 v50, v223, v219, v50 op_sel:[0,1,0]
	v_pk_fma_f16 v51, v222, v219, v51 op_sel_hi:[1,0,1]
	v_pk_fma_f16 v52, v222, v219, v52 op_sel:[0,1,0]
	v_pk_fma_f16 v53, v223, v219, v53 op_sel_hi:[1,0,1]
	;; [unrolled: 9-line block ×3, first 2 shown]
	v_pk_fma_f16 v50, v229, v238, v50 op_sel:[0,1,0]
	v_pk_fma_f16 v51, v228, v238, v51 op_sel_hi:[1,0,1]
	v_pk_fma_f16 v52, v228, v238, v52 op_sel:[0,1,0]
	v_pk_fma_f16 v53, v229, v238, v53 op_sel_hi:[1,0,1]
	ds_read_b128 v[12:15], v70 offset:224
	ds_read_b128 v[16:19], v70 offset:240
	v_pk_fma_f16 v50, v231, v239, v50 op_sel:[0,1,0]
	v_pk_fma_f16 v51, v230, v239, v51 op_sel_hi:[1,0,1]
	v_pk_fma_f16 v52, v230, v239, v52 op_sel:[0,1,0]
	v_pk_fma_f16 v53, v231, v239, v53 op_sel_hi:[1,0,1]
	s_waitcnt lgkmcnt(6)
	v_pk_fma_f16 v50, v233, v240, v50 op_sel:[0,1,0]
	v_pk_fma_f16 v51, v232, v240, v51 op_sel_hi:[1,0,1]
	v_pk_fma_f16 v52, v232, v240, v52 op_sel:[0,1,0]
	v_pk_fma_f16 v53, v233, v240, v53 op_sel_hi:[1,0,1]
	;; [unrolled: 2-line block ×4, first 2 shown]
	s_waitcnt lgkmcnt(5)
	v_pk_fma_f16 v50, v245, v242, v50 op_sel:[0,1,0]
	v_pk_fma_f16 v51, v244, v242, v51 op_sel_hi:[1,0,1]
	v_pk_fma_f16 v52, v244, v242, v52 op_sel:[0,1,0]
	v_pk_fma_f16 v53, v245, v242, v53 op_sel_hi:[1,0,1]
	;; [unrolled: 2-line block ×4, first 2 shown]
	ds_read2_b64 v[46:49], v86 offset0:192 offset1:224
	s_waitcnt lgkmcnt(0)
	s_barrier
	s_load_dword s0, s[34:35], 0x4
	v_pk_fma_f16 v50, v9, v12, v50 op_sel:[0,1,0]
	v_pk_fma_f16 v51, v8, v12, v51 op_sel_hi:[1,0,1]
	v_pk_fma_f16 v8, v8, v12, v52 op_sel:[0,1,0]
	v_pk_fma_f16 v9, v9, v12, v53 op_sel_hi:[1,0,1]
	;; [unrolled: 2-line block ×10, first 2 shown]
	s_waitcnt lgkmcnt(0)
	s_lshl_b32 s0, s0, 6
	v_pk_fma_f16 v4, v3, v17, v6 op_sel:[0,1,0]
	v_pk_fma_f16 v5, v2, v17, v7 op_sel_hi:[1,0,1]
	v_pk_fma_f16 v0, v2, v17, v0 op_sel:[0,1,0]
	v_pk_fma_f16 v1, v3, v17, v1 op_sel_hi:[1,0,1]
	s_add_i32 s36, s0, s36
	v_pk_fma_f16 v2, v47, v18, v4 op_sel:[0,1,0]
	v_pk_fma_f16 v3, v46, v18, v5 op_sel_hi:[1,0,1]
	v_pk_fma_f16 v0, v46, v18, v0 op_sel:[0,1,0]
	v_pk_fma_f16 v1, v47, v18, v1 op_sel_hi:[1,0,1]
	v_mov_b32_e32 v42, v44
	v_mov_b32_e32 v43, v45
	s_cmp_ge_i32 s36, s28
	v_pk_fma_f16 v17, v49, v19, v2 op_sel:[0,1,0]
	v_pk_fma_f16 v65, v48, v19, v3 op_sel_hi:[1,0,1]
	v_pk_fma_f16 v57, v48, v19, v0 op_sel:[0,1,0]
	v_pk_fma_f16 v16, v49, v19, v1 op_sel_hi:[1,0,1]
	s_cbranch_scc0 .LBB24_9
.LBB24_10:
	v_cmp_lt_i32_e32 vcc, v62, v56
	v_cndmask_b32_e32 v0, v25, v62, vcc
	v_lshlrev_b32_e32 v1, 2, v0
	ds_bpermute_b32 v0, v1, v22
	ds_bpermute_b32 v1, v1, v23
	v_cmp_lt_i32_e32 vcc, v61, v56
	v_cndmask_b32_e32 v2, v25, v61, vcc
	v_lshlrev_b32_e32 v3, 2, v2
	v_cmp_lt_i32_e32 vcc, v60, v56
	s_waitcnt lgkmcnt(0)
	v_pk_add_f32 v[0:1], v[22:23], v[0:1]
	ds_bpermute_b32 v2, v3, v0
	ds_bpermute_b32 v3, v3, v1
	v_cndmask_b32_e32 v4, v25, v60, vcc
	v_lshlrev_b32_e32 v4, 2, v4
	v_cmp_lt_i32_e32 vcc, v59, v56
	s_cmp_lg_u64 s[44:45], 0
	s_waitcnt lgkmcnt(0)
	v_pk_add_f32 v[0:1], v[0:1], v[2:3]
	ds_bpermute_b32 v2, v4, v0
	ds_bpermute_b32 v3, v4, v1
	v_cndmask_b32_e32 v4, v25, v59, vcc
	v_lshlrev_b32_e32 v4, 2, v4
	v_cmp_lt_i32_e32 vcc, v58, v56
	s_cselect_b64 s[0:1], -1, 0
	s_waitcnt lgkmcnt(0)
	v_pk_add_f32 v[0:1], v[0:1], v[2:3]
	ds_bpermute_b32 v2, v4, v0
	ds_bpermute_b32 v3, v4, v1
	v_cndmask_b32_e32 v4, v25, v58, vcc
	v_lshlrev_b32_e32 v4, 2, v4
	s_cmp_eq_u32 s7, 0
	s_cselect_b64 s[2:3], -1, 0
	s_waitcnt lgkmcnt(0)
	v_pk_add_f32 v[0:1], v[0:1], v[2:3]
	ds_bpermute_b32 v2, v4, v0
	ds_bpermute_b32 v3, v4, v1
	s_and_b64 s[0:1], s[2:3], s[0:1]
	s_and_b64 vcc, exec, s[0:1]
	s_waitcnt lgkmcnt(0)
	v_pk_add_f32 v[0:1], v[0:1], v[2:3]
	s_cbranch_vccz .LBB24_12
; %bb.11:
	v_add_u32_e32 v2, s29, v54
	v_ashrrev_i32_e32 v3, 31, v2
	v_lshlrev_b64 v[2:3], 2, v[2:3]
	v_mov_b32_e32 v4, s45
	v_add_co_u32_e32 v2, vcc, s44, v2
	v_addc_co_u32_e32 v3, vcc, v4, v3, vcc
	global_load_dwordx2 v[2:3], v[2:3], off
	v_max_f32_e32 v4, v45, v45
	v_max_f32_e32 v6, v44, v44
	s_mov_b32 s0, 0x3fb8aa3b
	s_mov_b32 s1, 0xc2ce8ed0
	;; [unrolled: 1-line block ×3, first 2 shown]
	v_mov_b32_e32 v8, 0x7f800000
	s_waitcnt vmcnt(0)
	v_max_f32_e32 v5, v3, v3
	v_max_f32_e32 v7, v2, v2
	;; [unrolled: 1-line block ×4, first 2 shown]
	v_pk_add_f32 v[6:7], v[44:45], v[4:5] neg_lo:[0,1] neg_hi:[0,1]
	v_mul_f32_e32 v9, 0x3fb8aa3b, v7
	v_pk_add_f32 v[2:3], v[2:3], v[4:5] neg_lo:[0,1] neg_hi:[0,1]
	v_mul_f32_e32 v10, 0x3fb8aa3b, v6
	v_fma_f32 v13, v7, s0, -v9
	v_rndne_f32_e32 v14, v9
	v_mul_f32_e32 v11, 0x3fb8aa3b, v3
	v_fma_f32 v15, v6, s0, -v10
	v_rndne_f32_e32 v18, v10
	v_fmac_f32_e32 v13, 0x32a5705f, v7
	v_sub_f32_e32 v9, v9, v14
	v_mul_f32_e32 v12, 0x3fb8aa3b, v2
	v_fma_f32 v19, v3, s0, -v11
	v_rndne_f32_e32 v22, v11
	v_fmac_f32_e32 v15, 0x32a5705f, v6
	v_sub_f32_e32 v10, v10, v18
	v_add_f32_e32 v9, v9, v13
	v_fma_f32 v23, v2, s0, -v12
	v_rndne_f32_e32 v24, v12
	v_cvt_i32_f32_e32 v14, v14
	v_fmac_f32_e32 v19, 0x32a5705f, v3
	v_sub_f32_e32 v11, v11, v22
	v_add_f32_e32 v10, v10, v15
	v_exp_f32_e32 v9, v9
	v_cvt_i32_f32_e32 v18, v18
	v_fmac_f32_e32 v23, 0x32a5705f, v2
	v_sub_f32_e32 v12, v12, v24
	v_add_f32_e32 v11, v11, v19
	v_exp_f32_e32 v10, v10
	v_cvt_i32_f32_e32 v22, v22
	v_add_f32_e32 v12, v12, v23
	v_exp_f32_e32 v11, v11
	v_cvt_i32_f32_e32 v24, v24
	v_exp_f32_e32 v12, v12
	v_ldexp_f32 v9, v9, v14
	v_cmp_ngt_f32_e32 vcc, s1, v7
	v_ldexp_f32 v10, v10, v18
	v_cndmask_b32_e32 v9, 0, v9, vcc
	v_cmp_ngt_f32_e32 vcc, s1, v6
	v_ldexp_f32 v11, v11, v22
	v_cndmask_b32_e32 v10, 0, v10, vcc
	;; [unrolled: 3-line block ×3, first 2 shown]
	v_cmp_ngt_f32_e32 vcc, s1, v2
	v_cndmask_b32_e32 v12, 0, v12, vcc
	v_cmp_nlt_f32_e32 vcc, s2, v7
	v_cndmask_b32_e32 v7, v8, v9, vcc
	v_cmp_nlt_f32_e32 vcc, s2, v6
	;; [unrolled: 2-line block ×4, first 2 shown]
	v_cvt_f16_f32_e32 v9, v6
	v_cndmask_b32_e32 v2, v8, v12, vcc
	v_cvt_f16_f32_e32 v8, v7
	v_pk_fma_f32 v[0:1], v[0:1], v[6:7], v[2:3]
	v_pk_mul_f16 v65, v9, v65 op_sel_hi:[0,1]
	v_pk_mul_f16 v16, v9, v16 op_sel_hi:[0,1]
	;; [unrolled: 1-line block ×4, first 2 shown]
	v_pk_mov_b32 v[44:45], v[4:5], v[4:5] op_sel:[0,1]
.LBB24_12:
	v_cmp_gt_i32_e32 vcc, s26, v21
	s_and_saveexec_b64 s[0:1], vcc
	s_cbranch_execz .LBB24_21
; %bb.13:
	s_load_dword s6, s[4:5], 0xd4
	v_mov_b32_e32 v4, 1.0
	s_waitcnt lgkmcnt(0)
	s_cmp_lg_u32 s6, 1
	s_cselect_b64 s[0:1], -1, 0
	s_cmp_eq_u32 s6, 1
	s_cselect_b64 s[2:3], -1, 0
	s_and_b64 vcc, exec, s[0:1]
	s_cbranch_vccnz .LBB24_15
; %bb.14:
	v_div_scale_f32 v2, s[4:5], v0, v0, 1.0
	v_rcp_f32_e32 v3, v2
	v_div_scale_f32 v4, vcc, 1.0, v0, 1.0
	v_fma_f32 v5, -v2, v3, 1.0
	v_fmac_f32_e32 v3, v5, v3
	v_mul_f32_e32 v5, v4, v3
	v_fma_f32 v6, -v2, v5, v4
	v_fmac_f32_e32 v5, v6, v3
	v_fma_f32 v2, -v2, v5, v4
	v_div_fmas_f32 v2, v2, v3, v5
	v_div_fixup_f32 v4, v2, v0, 1.0
.LBB24_15:
	s_mul_i32 s33, s33, s26
	v_add_u32_e32 v2, s33, v21
	v_mul_lo_u32 v2, v2, s27
	v_add3_u32 v2, s29, v54, v2
	v_mul_lo_u32 v2, s6, v2
	v_add_u32_e32 v2, s7, v2
	v_cvt_f32_f16_sdwa v9, v65 dst_sel:DWORD dst_unused:UNUSED_PAD src0_sel:WORD_1
	v_cvt_f32_f16_e32 v8, v65
	v_cvt_f32_f16_sdwa v11, v16 dst_sel:DWORD dst_unused:UNUSED_PAD src0_sel:WORD_1
	v_cvt_f32_f16_e32 v10, v16
	v_lshl_add_u32 v6, v2, 7, v55
	v_mov_b32_e32 v7, 0
	v_cmp_eq_u32_e32 vcc, 0, v20
	v_lshlrev_b64 v[6:7], 2, v[6:7]
	s_and_b64 s[0:1], vcc, s[0:1]
	v_mov_b32_e32 v3, s49
	v_add_co_u32_e32 v12, vcc, s48, v6
	v_addc_co_u32_e32 v13, vcc, v3, v7, vcc
	v_pk_mul_f32 v[6:7], v[4:5], v[8:9] op_sel_hi:[0,1]
	v_pk_mul_f32 v[8:9], v[4:5], v[10:11] op_sel_hi:[0,1]
	global_store_dwordx4 v[12:13], v[6:9], off
	s_and_saveexec_b64 s[4:5], s[0:1]
	s_cbranch_execz .LBB24_17
; %bb.16:
	v_ashrrev_i32_e32 v3, 31, v2
	v_lshlrev_b64 v[4:5], 3, v[2:3]
	v_mov_b32_e32 v3, s51
	v_add_co_u32_e32 v4, vcc, s50, v4
	v_addc_co_u32_e32 v5, vcc, v3, v5, vcc
	v_mov_b32_e32 v6, v44
	v_mov_b32_e32 v7, v0
	global_store_dwordx2 v[4:5], v[6:7], off
.LBB24_17:
	s_or_b64 exec, exec, s[4:5]
	s_andn2_b64 vcc, exec, s[2:3]
	v_mov_b32_e32 v0, 1.0
	s_cbranch_vccnz .LBB24_19
; %bb.18:
	v_div_scale_f32 v0, s[2:3], v1, v1, 1.0
	v_rcp_f32_e32 v3, v0
	v_div_scale_f32 v4, vcc, 1.0, v1, 1.0
	v_fma_f32 v5, -v0, v3, 1.0
	v_fmac_f32_e32 v3, v5, v3
	v_mul_f32_e32 v5, v4, v3
	v_fma_f32 v6, -v0, v5, v4
	v_fmac_f32_e32 v5, v6, v3
	v_fma_f32 v0, -v0, v5, v4
	v_div_fmas_f32 v0, v0, v3, v5
	v_div_fixup_f32 v0, v0, v1, 1.0
.LBB24_19:
	v_add_u32_e32 v2, s6, v2
	v_cvt_f32_f16_sdwa v7, v57 dst_sel:DWORD dst_unused:UNUSED_PAD src0_sel:WORD_1
	v_cvt_f32_f16_e32 v6, v57
	v_cvt_f32_f16_sdwa v9, v17 dst_sel:DWORD dst_unused:UNUSED_PAD src0_sel:WORD_1
	v_cvt_f32_f16_e32 v8, v17
	v_lshl_add_u32 v4, v2, 7, v55
	v_mov_b32_e32 v5, 0
	v_lshlrev_b64 v[4:5], 2, v[4:5]
	v_mov_b32_e32 v3, s49
	v_add_co_u32_e32 v10, vcc, s48, v4
	v_addc_co_u32_e32 v11, vcc, v3, v5, vcc
	v_pk_mul_f32 v[4:5], v[0:1], v[6:7] op_sel_hi:[0,1]
	v_pk_mul_f32 v[6:7], v[0:1], v[8:9] op_sel_hi:[0,1]
	global_store_dwordx4 v[10:11], v[4:7], off
	s_and_b64 exec, exec, s[0:1]
	s_cbranch_execz .LBB24_21
; %bb.20:
	v_ashrrev_i32_e32 v3, 31, v2
	v_lshlrev_b64 v[2:3], 3, v[2:3]
	v_mov_b32_e32 v0, s51
	v_add_co_u32_e32 v2, vcc, s50, v2
	v_addc_co_u32_e32 v3, vcc, v0, v3, vcc
	v_mov_b32_e32 v0, v45
	global_store_dwordx2 v[2:3], v[0:1], off
.LBB24_21:
	s_endpgm
	.section	.rodata,"a",@progbits
	.p2align	6, 0x0
	.amdhsa_kernel _ZL15flash_attn_tileILi128ELi128ELi4ELi4ELb0EEvPKcS1_S1_S1_S1_PKiPfP15HIP_vector_typeIfLj2EEffffjfiS5_IjLj3EEiiiiiiiiiiiliiliiiiil
		.amdhsa_group_segment_fixed_size 23552
		.amdhsa_private_segment_fixed_size 0
		.amdhsa_kernarg_size 464
		.amdhsa_user_sgpr_count 6
		.amdhsa_user_sgpr_private_segment_buffer 1
		.amdhsa_user_sgpr_dispatch_ptr 0
		.amdhsa_user_sgpr_queue_ptr 0
		.amdhsa_user_sgpr_kernarg_segment_ptr 1
		.amdhsa_user_sgpr_dispatch_id 0
		.amdhsa_user_sgpr_flat_scratch_init 0
		.amdhsa_user_sgpr_kernarg_preload_length 0
		.amdhsa_user_sgpr_kernarg_preload_offset 0
		.amdhsa_user_sgpr_private_segment_size 0
		.amdhsa_uses_dynamic_stack 0
		.amdhsa_system_sgpr_private_segment_wavefront_offset 0
		.amdhsa_system_sgpr_workgroup_id_x 1
		.amdhsa_system_sgpr_workgroup_id_y 1
		.amdhsa_system_sgpr_workgroup_id_z 1
		.amdhsa_system_sgpr_workgroup_info 0
		.amdhsa_system_vgpr_workitem_id 1
		.amdhsa_next_free_vgpr 249
		.amdhsa_next_free_sgpr 52
		.amdhsa_accum_offset 252
		.amdhsa_reserve_vcc 1
		.amdhsa_reserve_flat_scratch 0
		.amdhsa_float_round_mode_32 0
		.amdhsa_float_round_mode_16_64 0
		.amdhsa_float_denorm_mode_32 3
		.amdhsa_float_denorm_mode_16_64 3
		.amdhsa_dx10_clamp 1
		.amdhsa_ieee_mode 1
		.amdhsa_fp16_overflow 0
		.amdhsa_tg_split 0
		.amdhsa_exception_fp_ieee_invalid_op 0
		.amdhsa_exception_fp_denorm_src 0
		.amdhsa_exception_fp_ieee_div_zero 0
		.amdhsa_exception_fp_ieee_overflow 0
		.amdhsa_exception_fp_ieee_underflow 0
		.amdhsa_exception_fp_ieee_inexact 0
		.amdhsa_exception_int_div_zero 0
	.end_amdhsa_kernel
	.section	.text._ZL15flash_attn_tileILi128ELi128ELi4ELi4ELb0EEvPKcS1_S1_S1_S1_PKiPfP15HIP_vector_typeIfLj2EEffffjfiS5_IjLj3EEiiiiiiiiiiiliiliiiiil,"axG",@progbits,_ZL15flash_attn_tileILi128ELi128ELi4ELi4ELb0EEvPKcS1_S1_S1_S1_PKiPfP15HIP_vector_typeIfLj2EEffffjfiS5_IjLj3EEiiiiiiiiiiiliiliiiiil,comdat
.Lfunc_end24:
	.size	_ZL15flash_attn_tileILi128ELi128ELi4ELi4ELb0EEvPKcS1_S1_S1_S1_PKiPfP15HIP_vector_typeIfLj2EEffffjfiS5_IjLj3EEiiiiiiiiiiiliiliiiiil, .Lfunc_end24-_ZL15flash_attn_tileILi128ELi128ELi4ELi4ELb0EEvPKcS1_S1_S1_S1_PKiPfP15HIP_vector_typeIfLj2EEffffjfiS5_IjLj3EEiiiiiiiiiiiliiliiiiil
                                        ; -- End function
	.section	.AMDGPU.csdata,"",@progbits
; Kernel info:
; codeLenInByte = 9704
; NumSgprs: 56
; NumVgprs: 249
; NumAgprs: 0
; TotalNumVgprs: 249
; ScratchSize: 0
; MemoryBound: 0
; FloatMode: 240
; IeeeMode: 1
; LDSByteSize: 23552 bytes/workgroup (compile time only)
; SGPRBlocks: 6
; VGPRBlocks: 31
; NumSGPRsForWavesPerEU: 56
; NumVGPRsForWavesPerEU: 249
; AccumOffset: 252
; Occupancy: 2
; WaveLimiterHint : 1
; COMPUTE_PGM_RSRC2:SCRATCH_EN: 0
; COMPUTE_PGM_RSRC2:USER_SGPR: 6
; COMPUTE_PGM_RSRC2:TRAP_HANDLER: 0
; COMPUTE_PGM_RSRC2:TGID_X_EN: 1
; COMPUTE_PGM_RSRC2:TGID_Y_EN: 1
; COMPUTE_PGM_RSRC2:TGID_Z_EN: 1
; COMPUTE_PGM_RSRC2:TIDIG_COMP_CNT: 1
; COMPUTE_PGM_RSRC3_GFX90A:ACCUM_OFFSET: 62
; COMPUTE_PGM_RSRC3_GFX90A:TG_SPLIT: 0
	.section	.text._ZL33flash_attn_stream_k_fixup_uniformILi128ELi4ELi4EEvPfPK15HIP_vector_typeIfLj2EEiiiiiiS1_IjLj3EES5_S5_,"axG",@progbits,_ZL33flash_attn_stream_k_fixup_uniformILi128ELi4ELi4EEvPfPK15HIP_vector_typeIfLj2EEiiiiiiS1_IjLj3EES5_S5_,comdat
	.globl	_ZL33flash_attn_stream_k_fixup_uniformILi128ELi4ELi4EEvPfPK15HIP_vector_typeIfLj2EEiiiiiiS1_IjLj3EES5_S5_ ; -- Begin function _ZL33flash_attn_stream_k_fixup_uniformILi128ELi4ELi4EEvPfPK15HIP_vector_typeIfLj2EEiiiiiiS1_IjLj3EES5_S5_
	.p2align	8
	.type	_ZL33flash_attn_stream_k_fixup_uniformILi128ELi4ELi4EEvPfPK15HIP_vector_typeIfLj2EEiiiiiiS1_IjLj3EES5_S5_,@function
_ZL33flash_attn_stream_k_fixup_uniformILi128ELi4ELi4EEvPfPK15HIP_vector_typeIfLj2EEiiiiiiS1_IjLj3EES5_S5_: ; @_ZL33flash_attn_stream_k_fixup_uniformILi128ELi4ELi4EEvPfPK15HIP_vector_typeIfLj2EEiiiiiiS1_IjLj3EES5_S5_
; %bb.0:
	s_load_dwordx8 s[12:19], s[4:5], 0x1c
	s_load_dwordx2 s[10:11], s[4:5], 0x10
	s_load_dwordx4 s[0:3], s[4:5], 0x3c
	s_waitcnt lgkmcnt(0)
	s_mul_hi_u32 s9, s15, s6
	s_add_i32 s9, s6, s9
	s_lshr_b32 s9, s9, s16
	s_mul_i32 s15, s9, s17
	s_sub_i32 s15, s6, s15
	s_mul_hi_u32 s16, s15, s18
	s_add_i32 s16, s15, s16
	s_lshr_b32 s16, s16, s19
	s_mul_i32 s0, s16, s0
	s_sub_i32 s0, s15, s0
	;; [unrolled: 5-line block ×3, first 2 shown]
	s_lshl_b32 s0, s17, 2
	s_lshl_b32 s15, s1, 2
	s_add_i32 s0, s0, s7
	s_cmp_lt_i32 s0, s10
	s_cselect_b64 s[0:1], -1, 0
	s_add_i32 s2, s15, s8
	s_cmp_lt_i32 s2, s13
	s_cselect_b64 s[2:3], -1, 0
	s_and_b64 s[0:1], s[0:1], s[2:3]
	s_andn2_b64 vcc, exec, s[0:1]
	s_cbranch_vccnz .LBB25_6
; %bb.1:
	s_load_dwordx4 s[0:3], s[4:5], 0x0
	s_mul_i32 s4, s9, s10
	s_add_i32 s4, s4, s7
	s_mul_i32 s4, s4, s11
	s_mul_i32 s16, s16, s13
	s_add_i32 s4, s4, s8
	s_add_i32 s4, s4, s16
	s_mul_i32 s5, s11, s17
	s_add_i32 s4, s4, s15
	s_lshl_b32 s5, s5, 9
	s_lshl_b32 s4, s4, 7
	s_add_i32 s5, s5, s4
	v_or_b32_e32 v2, s5, v0
	v_ashrrev_i32_e32 v3, 31, v2
	v_lshlrev_b64 v[2:3], 2, v[2:3]
	s_waitcnt lgkmcnt(0)
	v_mov_b32_e32 v1, s1
	v_add_co_u32_e32 v2, vcc, s0, v2
	v_addc_co_u32_e32 v3, vcc, v1, v3, vcc
	global_load_dword v8, v[2:3], off
	s_mul_i32 s9, s6, s14
	s_lshl_b32 s4, s7, 2
	s_add_i32 s11, s9, s14
	s_add_i32 s0, s4, s8
	s_lshl_b32 s1, s11, 4
	s_add_i32 s0, s0, s1
	s_add_i32 s0, s0, -16
	s_ashr_i32 s1, s0, 31
	s_lshl_b64 s[0:1], s[0:1], 3
	s_add_u32 s0, s2, s0
	s_addc_u32 s1, s3, s1
	s_load_dword s5, s[0:1], 0x4
	s_add_i32 s10, s11, -2
	s_cmp_lt_i32 s10, s9
	s_cbranch_scc1 .LBB25_4
; %bb.2:
	s_lshl_b32 s16, s12, 6
	s_ashr_i32 s17, s16, 31
	s_lshl_b64 s[16:17], s[16:17], 2
	s_add_u32 s10, s2, s16
	s_addc_u32 s13, s3, s17
	s_add_i32 s6, s6, 1
	s_load_dword s0, s[0:1], 0x0
	s_mul_i32 s1, s14, s6
	s_lshl_b32 s7, s7, 9
	s_lshl_b32 s14, s8, 7
	;; [unrolled: 1-line block ×3, first 2 shown]
	s_add_i32 s7, s14, s7
	s_lshl_b32 s1, s1, 4
	s_add_i32 s7, s7, s6
	s_add_i32 s1, s8, s1
	s_lshl_b32 s6, s12, 4
	s_add_i32 s1, s1, s6
	v_or_b32_e32 v0, s7, v0
	s_add_i32 s1, s1, s4
	s_add_i32 s11, s11, -1
	v_add_u32_e32 v0, 0xfffff000, v0
	s_sub_i32 s4, s1, 32
	s_waitcnt lgkmcnt(0)
	v_mov_b32_e32 v7, s5
	v_mov_b32_e32 v6, s0
	;; [unrolled: 1-line block ×3, first 2 shown]
	s_mov_b32 s6, 0x3fb8aa3b
	s_mov_b32 s7, 0xc2ce8ed0
	;; [unrolled: 1-line block ×3, first 2 shown]
	v_mov_b32_e32 v5, 0x7f800000
	s_mov_b32 s12, 0xc1a00000
.LBB25_3:                               ; =>This Inner Loop Header: Depth=1
	v_ashrrev_i32_e32 v1, 31, v0
	v_lshlrev_b64 v[10:11], 2, v[0:1]
	v_add_co_u32_e32 v10, vcc, s10, v10
	v_addc_co_u32_e32 v11, vcc, v4, v11, vcc
	global_load_dword v1, v[10:11], off
	s_ashr_i32 s5, s4, 31
	s_lshl_b64 s[0:1], s[4:5], 3
	s_add_u32 s0, s2, s0
	s_addc_u32 s1, s3, s1
	s_load_dwordx2 s[14:15], s[0:1], 0x0
	s_waitcnt vmcnt(1)
	v_mov_b32_e32 v9, v8
	v_max_f32_e32 v8, v6, v6
	v_mov_b32_e32 v10, v7
	s_add_i32 s11, s11, -1
	s_waitcnt lgkmcnt(0)
	v_max_f32_e64 v7, s14, s14
	v_max_f32_e32 v7, v8, v7
	v_sub_f32_e32 v11, s14, v7
	v_sub_f32_e32 v8, v6, v7
	v_mul_f32_e32 v12, 0x3fb8aa3b, v11
	v_mov_b32_e32 v6, v7
	v_mul_f32_e32 v7, 0x3fb8aa3b, v8
	v_fma_f32 v15, v11, s6, -v12
	v_rndne_f32_e32 v16, v12
	v_fma_f32 v13, v8, s6, -v7
	v_rndne_f32_e32 v14, v7
	v_fmac_f32_e32 v15, 0x32a5705f, v11
	v_sub_f32_e32 v12, v12, v16
	v_fmac_f32_e32 v13, 0x32a5705f, v8
	v_sub_f32_e32 v7, v7, v14
	v_add_f32_e32 v12, v12, v15
	v_cvt_i32_f32_e32 v16, v16
	v_add_f32_e32 v7, v7, v13
	v_exp_f32_e32 v12, v12
	v_cvt_i32_f32_e32 v14, v14
	v_exp_f32_e32 v7, v7
	v_cmp_ngt_f32_e32 vcc, s7, v11
	v_ldexp_f32 v12, v12, v16
	v_cmp_ngt_f32_e64 s[0:1], s7, v8
	v_ldexp_f32 v7, v7, v14
	v_cndmask_b32_e32 v12, 0, v12, vcc
	v_cmp_nlt_f32_e32 vcc, s8, v11
	v_cndmask_b32_e64 v7, 0, v7, s[0:1]
	v_cmp_nlt_f32_e64 s[0:1], s8, v8
	v_cndmask_b32_e32 v12, v5, v12, vcc
	v_cmp_le_f32_e32 vcc, s12, v11
	v_cndmask_b32_e64 v7, v5, v7, s[0:1]
	v_cmp_le_f32_e64 s[0:1], s12, v8
	v_cndmask_b32_e32 v8, 0, v12, vcc
	s_add_i32 s4, s4, -16
	v_cndmask_b32_e64 v11, 0, v7, s[0:1]
	v_mul_f32_e32 v7, s15, v8
	v_add_u32_e32 v0, 0xfffff800, v0
	s_cmp_le_i32 s11, s9
	v_fmac_f32_e32 v7, v10, v11
	s_waitcnt vmcnt(0)
	v_mul_f32_e32 v8, v1, v8
	v_fmac_f32_e32 v8, v9, v11
	s_cbranch_scc0 .LBB25_3
	s_branch .LBB25_5
.LBB25_4:
	s_waitcnt lgkmcnt(0)
	v_mov_b32_e32 v7, s5
.LBB25_5:
	s_waitcnt vmcnt(0)
	v_div_scale_f32 v0, s[0:1], v7, v7, v8
	v_rcp_f32_e32 v1, v0
	v_div_scale_f32 v4, vcc, v8, v7, v8
	v_fma_f32 v5, -v0, v1, 1.0
	v_fmac_f32_e32 v1, v5, v1
	v_mul_f32_e32 v5, v4, v1
	v_fma_f32 v6, -v0, v5, v4
	v_fmac_f32_e32 v5, v6, v1
	v_fma_f32 v0, -v0, v5, v4
	v_div_fmas_f32 v0, v0, v1, v5
	v_div_fixup_f32 v0, v0, v7, v8
	global_store_dword v[2:3], v0, off
.LBB25_6:
	s_endpgm
	.section	.rodata,"a",@progbits
	.p2align	6, 0x0
	.amdhsa_kernel _ZL33flash_attn_stream_k_fixup_uniformILi128ELi4ELi4EEvPfPK15HIP_vector_typeIfLj2EEiiiiiiS1_IjLj3EES5_S5_
		.amdhsa_group_segment_fixed_size 0
		.amdhsa_private_segment_fixed_size 0
		.amdhsa_kernarg_size 76
		.amdhsa_user_sgpr_count 6
		.amdhsa_user_sgpr_private_segment_buffer 1
		.amdhsa_user_sgpr_dispatch_ptr 0
		.amdhsa_user_sgpr_queue_ptr 0
		.amdhsa_user_sgpr_kernarg_segment_ptr 1
		.amdhsa_user_sgpr_dispatch_id 0
		.amdhsa_user_sgpr_flat_scratch_init 0
		.amdhsa_user_sgpr_kernarg_preload_length 0
		.amdhsa_user_sgpr_kernarg_preload_offset 0
		.amdhsa_user_sgpr_private_segment_size 0
		.amdhsa_uses_dynamic_stack 0
		.amdhsa_system_sgpr_private_segment_wavefront_offset 0
		.amdhsa_system_sgpr_workgroup_id_x 1
		.amdhsa_system_sgpr_workgroup_id_y 1
		.amdhsa_system_sgpr_workgroup_id_z 1
		.amdhsa_system_sgpr_workgroup_info 0
		.amdhsa_system_vgpr_workitem_id 0
		.amdhsa_next_free_vgpr 17
		.amdhsa_next_free_sgpr 20
		.amdhsa_accum_offset 20
		.amdhsa_reserve_vcc 1
		.amdhsa_reserve_flat_scratch 0
		.amdhsa_float_round_mode_32 0
		.amdhsa_float_round_mode_16_64 0
		.amdhsa_float_denorm_mode_32 3
		.amdhsa_float_denorm_mode_16_64 3
		.amdhsa_dx10_clamp 1
		.amdhsa_ieee_mode 1
		.amdhsa_fp16_overflow 0
		.amdhsa_tg_split 0
		.amdhsa_exception_fp_ieee_invalid_op 0
		.amdhsa_exception_fp_denorm_src 0
		.amdhsa_exception_fp_ieee_div_zero 0
		.amdhsa_exception_fp_ieee_overflow 0
		.amdhsa_exception_fp_ieee_underflow 0
		.amdhsa_exception_fp_ieee_inexact 0
		.amdhsa_exception_int_div_zero 0
	.end_amdhsa_kernel
	.section	.text._ZL33flash_attn_stream_k_fixup_uniformILi128ELi4ELi4EEvPfPK15HIP_vector_typeIfLj2EEiiiiiiS1_IjLj3EES5_S5_,"axG",@progbits,_ZL33flash_attn_stream_k_fixup_uniformILi128ELi4ELi4EEvPfPK15HIP_vector_typeIfLj2EEiiiiiiS1_IjLj3EES5_S5_,comdat
.Lfunc_end25:
	.size	_ZL33flash_attn_stream_k_fixup_uniformILi128ELi4ELi4EEvPfPK15HIP_vector_typeIfLj2EEiiiiiiS1_IjLj3EES5_S5_, .Lfunc_end25-_ZL33flash_attn_stream_k_fixup_uniformILi128ELi4ELi4EEvPfPK15HIP_vector_typeIfLj2EEiiiiiiS1_IjLj3EES5_S5_
                                        ; -- End function
	.section	.AMDGPU.csdata,"",@progbits
; Kernel info:
; codeLenInByte = 856
; NumSgprs: 24
; NumVgprs: 17
; NumAgprs: 0
; TotalNumVgprs: 17
; ScratchSize: 0
; MemoryBound: 0
; FloatMode: 240
; IeeeMode: 1
; LDSByteSize: 0 bytes/workgroup (compile time only)
; SGPRBlocks: 2
; VGPRBlocks: 2
; NumSGPRsForWavesPerEU: 24
; NumVGPRsForWavesPerEU: 17
; AccumOffset: 20
; Occupancy: 8
; WaveLimiterHint : 0
; COMPUTE_PGM_RSRC2:SCRATCH_EN: 0
; COMPUTE_PGM_RSRC2:USER_SGPR: 6
; COMPUTE_PGM_RSRC2:TRAP_HANDLER: 0
; COMPUTE_PGM_RSRC2:TGID_X_EN: 1
; COMPUTE_PGM_RSRC2:TGID_Y_EN: 1
; COMPUTE_PGM_RSRC2:TGID_Z_EN: 1
; COMPUTE_PGM_RSRC2:TIDIG_COMP_CNT: 0
; COMPUTE_PGM_RSRC3_GFX90A:ACCUM_OFFSET: 4
; COMPUTE_PGM_RSRC3_GFX90A:TG_SPLIT: 0
	.section	.text._ZL33flash_attn_stream_k_fixup_generalILi128ELi4ELi4EEvPfPK15HIP_vector_typeIfLj2EEiiiiS1_IjLj3EES5_S5_S5_,"axG",@progbits,_ZL33flash_attn_stream_k_fixup_generalILi128ELi4ELi4EEvPfPK15HIP_vector_typeIfLj2EEiiiiS1_IjLj3EES5_S5_S5_,comdat
	.globl	_ZL33flash_attn_stream_k_fixup_generalILi128ELi4ELi4EEvPfPK15HIP_vector_typeIfLj2EEiiiiS1_IjLj3EES5_S5_S5_ ; -- Begin function _ZL33flash_attn_stream_k_fixup_generalILi128ELi4ELi4EEvPfPK15HIP_vector_typeIfLj2EEiiiiS1_IjLj3EES5_S5_S5_
	.p2align	8
	.type	_ZL33flash_attn_stream_k_fixup_generalILi128ELi4ELi4EEvPfPK15HIP_vector_typeIfLj2EEiiiiS1_IjLj3EES5_S5_S5_,@function
_ZL33flash_attn_stream_k_fixup_generalILi128ELi4ELi4EEvPfPK15HIP_vector_typeIfLj2EEiiiiS1_IjLj3EES5_S5_S5_: ; @_ZL33flash_attn_stream_k_fixup_generalILi128ELi4ELi4EEvPfPK15HIP_vector_typeIfLj2EEiiiiS1_IjLj3EES5_S5_S5_
; %bb.0:
	s_load_dwordx4 s[12:15], s[4:5], 0x10
	s_load_dword s9, s[4:5], 0x50
	s_mov_b32 s2, 0
	s_waitcnt lgkmcnt(0)
	s_mul_hi_i32 s3, s15, s6
	s_cmp_lg_u64 s[2:3], 0
	s_mul_i32 s2, s15, s6
	s_cbranch_scc0 .LBB26_21
; %bb.1:
	v_cvt_f32_u32_e32 v1, s9
	v_cvt_f32_ubyte0_e32 v2, 0
	s_sub_u32 s10, 0, s9
	s_subb_u32 s11, 0, 0
	v_madmk_f32 v1, v2, 0x4f800000, v1
	v_rcp_f32_e32 v1, v1
	v_mul_f32_e32 v1, 0x5f7ffffc, v1
	v_mul_f32_e32 v2, 0x2f800000, v1
	v_trunc_f32_e32 v2, v2
	v_madmk_f32 v1, v2, 0xcf800000, v1
	v_cvt_u32_f32_e32 v2, v2
	v_cvt_u32_f32_e32 v1, v1
	v_readfirstlane_b32 s16, v2
	v_readfirstlane_b32 s17, v1
	s_mul_i32 s18, s10, s16
	s_mul_hi_u32 s20, s10, s17
	s_mul_i32 s19, s11, s17
	s_add_i32 s18, s20, s18
	s_add_i32 s18, s18, s19
	s_mul_i32 s21, s10, s17
	s_mul_hi_u32 s19, s17, s18
	s_mul_i32 s20, s17, s18
	s_mul_hi_u32 s17, s17, s21
	s_add_u32 s17, s17, s20
	s_addc_u32 s19, 0, s19
	s_mul_hi_u32 s22, s16, s21
	s_mul_i32 s21, s16, s21
	s_add_u32 s17, s17, s21
	s_mul_hi_u32 s20, s16, s18
	s_addc_u32 s17, s19, s22
	s_addc_u32 s19, s20, 0
	s_mul_i32 s18, s16, s18
	s_add_u32 s17, s17, s18
	s_addc_u32 s18, 0, s19
	v_add_co_u32_e32 v1, vcc, s17, v1
	s_cmp_lg_u64 vcc, 0
	s_addc_u32 s16, s16, s18
	v_readfirstlane_b32 s18, v1
	s_mul_i32 s17, s10, s16
	s_mul_hi_u32 s19, s10, s18
	s_add_i32 s17, s19, s17
	s_mul_i32 s11, s11, s18
	s_add_i32 s17, s17, s11
	s_mul_i32 s10, s10, s18
	s_mul_hi_u32 s19, s16, s10
	s_mul_i32 s20, s16, s10
	s_mul_i32 s22, s18, s17
	s_mul_hi_u32 s10, s18, s10
	s_mul_hi_u32 s21, s18, s17
	s_add_u32 s10, s10, s22
	s_addc_u32 s18, 0, s21
	s_add_u32 s10, s10, s20
	s_mul_hi_u32 s11, s16, s17
	s_addc_u32 s10, s18, s19
	s_addc_u32 s11, s11, 0
	s_mul_i32 s17, s16, s17
	s_add_u32 s10, s10, s17
	s_addc_u32 s11, 0, s11
	v_add_co_u32_e32 v1, vcc, s10, v1
	s_cmp_lg_u64 vcc, 0
	s_addc_u32 s18, s16, s11
	s_ashr_i32 s10, s3, 31
	s_add_u32 s16, s2, s10
	s_mov_b32 s11, s10
	s_addc_u32 s17, s3, s10
	s_xor_b64 s[16:17], s[16:17], s[10:11]
	v_readfirstlane_b32 s20, v1
	s_mul_i32 s19, s16, s18
	s_mul_hi_u32 s21, s16, s20
	s_mul_hi_u32 s3, s16, s18
	s_add_u32 s19, s21, s19
	s_addc_u32 s3, 0, s3
	s_mul_hi_u32 s22, s17, s20
	s_mul_i32 s20, s17, s20
	s_add_u32 s19, s19, s20
	s_mul_hi_u32 s21, s17, s18
	s_addc_u32 s3, s3, s22
	s_addc_u32 s19, s21, 0
	s_mul_i32 s18, s17, s18
	s_add_u32 s3, s3, s18
	s_addc_u32 s18, 0, s19
	s_add_u32 s19, s3, 1
	s_addc_u32 s20, s18, 0
	s_add_u32 s21, s3, 2
	s_mul_i32 s23, s9, s18
	s_mul_hi_u32 s24, s9, s3
	s_addc_u32 s22, s18, 0
	s_add_i32 s24, s24, s23
	s_mul_i32 s23, s9, s3
	v_mov_b32_e32 v1, s23
	v_sub_co_u32_e32 v1, vcc, s16, v1
	s_cmp_lg_u64 vcc, 0
	s_subb_u32 s16, s17, s24
	v_subrev_co_u32_e32 v2, vcc, s9, v1
	s_cmp_lg_u64 vcc, 0
	s_subb_u32 s17, s16, 0
	v_readfirstlane_b32 s23, v2
	s_cmp_ge_u32 s23, s9
	s_cselect_b32 s23, -1, 0
	s_cmp_eq_u32 s17, 0
	s_cselect_b32 s17, s23, -1
	s_cmp_lg_u32 s17, 0
	s_cselect_b32 s17, s22, s20
	v_readfirstlane_b32 s20, v1
	s_cselect_b32 s19, s21, s19
	s_cmp_ge_u32 s20, s9
	s_cselect_b32 s20, -1, 0
	s_cmp_eq_u32 s16, 0
	s_cselect_b32 s16, s20, -1
	s_cmp_lg_u32 s16, 0
	s_cselect_b32 s17, s17, s18
	s_cselect_b32 s16, s19, s3
	s_xor_b64 s[16:17], s[16:17], s[10:11]
	s_sub_u32 s20, s16, s10
	s_load_dwordx4 s[16:19], s[4:5], 0x44
	s_cbranch_execnz .LBB26_3
.LBB26_2:
	v_cvt_f32_u32_e32 v1, s9
	s_sub_i32 s0, 0, s9
	v_rcp_iflag_f32_e32 v1, v1
	v_mul_f32_e32 v1, 0x4f7ffffe, v1
	v_cvt_u32_f32_e32 v1, v1
	v_readfirstlane_b32 s1, v1
	s_mul_i32 s0, s0, s1
	s_mul_hi_u32 s0, s1, s0
	s_add_i32 s1, s1, s0
	s_mul_hi_u32 s0, s2, s1
	s_mul_i32 s3, s0, s9
	s_sub_i32 s2, s2, s3
	s_add_i32 s1, s0, 1
	s_sub_i32 s3, s2, s9
	s_cmp_ge_u32 s2, s9
	s_cselect_b32 s0, s1, s0
	s_cselect_b32 s2, s3, s2
	s_add_i32 s1, s0, 1
	s_cmp_ge_u32 s2, s9
	s_cselect_b32 s20, s1, s0
.LBB26_3:
	s_add_i32 s0, s6, 1
	s_mul_hi_i32 s3, s15, s0
	s_mov_b32 s2, 0
	s_cmp_lg_u64 s[2:3], 0
	s_mul_i32 s2, s15, s0
	s_cbranch_scc0 .LBB26_22
; %bb.4:
	v_cvt_f32_u32_e32 v1, s9
	v_cvt_f32_ubyte0_e32 v2, 0
	s_sub_u32 s10, 0, s9
	s_subb_u32 s11, 0, 0
	v_madmk_f32 v1, v2, 0x4f800000, v1
	v_rcp_f32_e32 v1, v1
	v_mul_f32_e32 v1, 0x5f7ffffc, v1
	v_mul_f32_e32 v2, 0x2f800000, v1
	v_trunc_f32_e32 v2, v2
	v_madmk_f32 v1, v2, 0xcf800000, v1
	v_cvt_u32_f32_e32 v2, v2
	v_cvt_u32_f32_e32 v1, v1
	s_waitcnt lgkmcnt(0)
	v_readfirstlane_b32 s19, v2
	v_readfirstlane_b32 s21, v1
	s_mul_i32 s22, s10, s19
	s_mul_hi_u32 s24, s10, s21
	s_mul_i32 s23, s11, s21
	s_add_i32 s22, s24, s22
	s_add_i32 s22, s22, s23
	s_mul_i32 s25, s10, s21
	s_mul_hi_u32 s23, s21, s22
	s_mul_i32 s24, s21, s22
	s_mul_hi_u32 s21, s21, s25
	s_add_u32 s21, s21, s24
	s_addc_u32 s23, 0, s23
	s_mul_hi_u32 s26, s19, s25
	s_mul_i32 s25, s19, s25
	s_add_u32 s21, s21, s25
	s_mul_hi_u32 s24, s19, s22
	s_addc_u32 s21, s23, s26
	s_addc_u32 s23, s24, 0
	s_mul_i32 s22, s19, s22
	s_add_u32 s21, s21, s22
	s_addc_u32 s22, 0, s23
	v_add_co_u32_e32 v1, vcc, s21, v1
	s_cmp_lg_u64 vcc, 0
	s_addc_u32 s19, s19, s22
	v_readfirstlane_b32 s22, v1
	s_mul_i32 s21, s10, s19
	s_mul_hi_u32 s23, s10, s22
	s_add_i32 s21, s23, s21
	s_mul_i32 s11, s11, s22
	s_add_i32 s21, s21, s11
	s_mul_i32 s10, s10, s22
	s_mul_hi_u32 s23, s19, s10
	s_mul_i32 s24, s19, s10
	s_mul_i32 s26, s22, s21
	s_mul_hi_u32 s10, s22, s10
	s_mul_hi_u32 s25, s22, s21
	s_add_u32 s10, s10, s26
	s_addc_u32 s22, 0, s25
	s_add_u32 s10, s10, s24
	s_mul_hi_u32 s11, s19, s21
	s_addc_u32 s10, s22, s23
	s_addc_u32 s11, s11, 0
	s_mul_i32 s21, s19, s21
	s_add_u32 s10, s10, s21
	s_addc_u32 s11, 0, s11
	v_add_co_u32_e32 v1, vcc, s10, v1
	s_cmp_lg_u64 vcc, 0
	s_addc_u32 s19, s19, s11
	s_ashr_i32 s10, s3, 31
	s_add_u32 s22, s2, s10
	s_mov_b32 s11, s10
	s_addc_u32 s23, s3, s10
	s_xor_b64 s[22:23], s[22:23], s[10:11]
	v_readfirstlane_b32 s21, v1
	s_mul_i32 s11, s22, s19
	s_mul_hi_u32 s24, s22, s21
	s_mul_hi_u32 s3, s22, s19
	s_add_u32 s11, s24, s11
	s_addc_u32 s3, 0, s3
	s_mul_hi_u32 s25, s23, s21
	s_mul_i32 s21, s23, s21
	s_add_u32 s11, s11, s21
	s_mul_hi_u32 s24, s23, s19
	s_addc_u32 s3, s3, s25
	s_addc_u32 s11, s24, 0
	s_mul_i32 s19, s23, s19
	s_add_u32 s3, s3, s19
	s_addc_u32 s11, 0, s11
	s_mul_i32 s11, s9, s11
	s_mul_hi_u32 s24, s9, s3
	s_add_i32 s24, s24, s11
	s_mul_i32 s11, s9, s3
	v_mov_b32_e32 v1, s11
	s_add_u32 s19, s3, 1
	s_add_u32 s21, s3, 2
	v_sub_co_u32_e32 v1, vcc, s22, v1
	s_cmp_lg_u64 vcc, 0
	s_subb_u32 s11, s23, s24
	v_subrev_co_u32_e32 v2, vcc, s9, v1
	s_cmp_lg_u64 vcc, 0
	s_subb_u32 s22, s11, 0
	v_cmp_le_u32_e32 vcc, s9, v2
	s_cmp_eq_u32 s22, 0
	v_cndmask_b32_e64 v2, 0, -1, vcc
	s_cselect_b64 vcc, -1, 0
	v_cndmask_b32_e32 v2, -1, v2, vcc
	v_mov_b32_e32 v3, s19
	v_mov_b32_e32 v4, s21
	v_cmp_ne_u32_e32 vcc, 0, v2
	v_cndmask_b32_e32 v2, v3, v4, vcc
	v_cmp_le_u32_e32 vcc, s9, v1
	s_cmp_eq_u32 s11, 0
	v_cndmask_b32_e64 v1, 0, -1, vcc
	s_cselect_b64 vcc, -1, 0
	v_cndmask_b32_e32 v1, -1, v1, vcc
	v_mov_b32_e32 v3, s3
	v_cmp_ne_u32_e32 vcc, 0, v1
	v_cndmask_b32_e32 v1, v3, v2, vcc
	v_xor_b32_e32 v1, s10, v1
	v_subrev_co_u32_e32 v2, vcc, s10, v1
	s_cbranch_execnz .LBB26_6
.LBB26_5:
	v_cvt_f32_u32_e32 v1, s9
	s_sub_i32 s0, 0, s9
	s_mov_b32 s1, 0
	v_rcp_iflag_f32_e32 v1, v1
	v_mul_f32_e32 v1, 0x4f7ffffe, v1
	v_cvt_u32_f32_e32 v1, v1
	v_readfirstlane_b32 s3, v1
	s_mul_i32 s0, s0, s3
	s_mul_hi_u32 s0, s3, s0
	s_add_i32 s3, s3, s0
	s_mul_hi_u32 s0, s2, s3
	s_mul_i32 s10, s0, s9
	s_sub_i32 s2, s2, s10
	s_add_i32 s3, s0, 1
	s_sub_i32 s10, s2, s9
	s_cmp_ge_u32 s2, s9
	s_cselect_b32 s0, s3, s0
	s_cselect_b32 s2, s10, s2
	s_add_i32 s3, s0, 1
	s_cmp_ge_u32 s2, s9
	s_cselect_b32 s0, s3, s0
	v_pk_mov_b32 v[2:3], s[0:1], s[0:1] op_sel:[0,1]
.LBB26_6:
	s_waitcnt lgkmcnt(0)
	s_mul_hi_u32 s0, s20, s16
	s_add_i32 s0, s0, s20
	v_mul_hi_u32 v1, v2, s16
	s_lshr_b32 s19, s0, s17
	v_add_u32_e32 v1, v1, v2
	s_mul_i32 s0, s19, s18
	v_lshrrev_b32_e32 v1, s17, v1
	s_cmp_eq_u32 s0, s20
	v_cmp_eq_u32_e64 s[0:1], s19, v1
	v_mul_lo_u32 v1, v1, s18
	v_cmp_eq_u32_e32 vcc, s20, v2
	s_cselect_b64 s[10:11], -1, 0
	v_cmp_ne_u32_e64 s[2:3], v1, v2
	s_and_b64 s[0:1], s[0:1], s[2:3]
	s_or_b64 s[2:3], vcc, s[10:11]
	s_or_b64 s[0:1], s[2:3], s[0:1]
	s_and_b64 vcc, exec, s[0:1]
	s_cbranch_vccnz .LBB26_24
; %bb.7:
	s_load_dwordx8 s[24:31], s[4:5], 0x20
	s_load_dword s0, s[4:5], 0x40
	s_mov_b32 s10, 0
	s_waitcnt lgkmcnt(0)
	s_mul_hi_u32 s1, s20, s24
	s_add_i32 s1, s1, s20
	s_lshr_b32 s11, s1, s25
	s_mul_i32 s1, s11, s26
	s_sub_i32 s1, s20, s1
	s_mul_hi_u32 s2, s1, s27
	s_add_i32 s2, s1, s2
	s_lshr_b32 s24, s2, s28
	s_mul_i32 s2, s24, s29
	s_sub_i32 s1, s1, s2
	;; [unrolled: 5-line block ×3, first 2 shown]
	s_mul_hi_u32 s1, s0, s16
	s_add_i32 s0, s0, s1
	s_lshr_b32 s26, s0, s17
	s_lshl_b32 s0, s26, 2
	s_lshl_b32 s25, s2, 2
	s_add_i32 s0, s0, s7
	s_cmp_lt_i32 s0, s12
	s_cselect_b64 s[0:1], -1, 0
	s_add_i32 s2, s25, s8
	s_cmp_lt_i32 s2, s14
	s_cselect_b64 s[2:3], -1, 0
	s_and_b64 s[0:1], s[0:1], s[2:3]
	s_andn2_b64 vcc, exec, s[0:1]
	s_cbranch_vccnz .LBB26_24
; %bb.8:
	s_load_dwordx4 s[0:3], s[4:5], 0x0
	s_lshl_b32 s21, s7, 2
	s_lshl_b32 s4, s9, 6
	s_mov_b32 s5, s10
	s_add_i32 s21, s21, s8
	s_lshl_b64 s[4:5], s[4:5], 2
	s_waitcnt lgkmcnt(0)
	s_add_u32 s22, s2, s4
	s_mul_i32 s4, s11, s12
	s_addc_u32 s23, s3, s5
	s_add_i32 s4, s4, s7
	s_mul_i32 s4, s4, s13
	s_mul_i32 s24, s24, s14
	s_add_i32 s4, s4, s8
	s_add_i32 s4, s4, s24
	s_mul_i32 s5, s13, s26
	s_add_i32 s4, s4, s25
	s_lshl_b32 s5, s5, 9
	s_lshl_b32 s4, s4, 7
	s_add_i32 s5, s5, s4
	v_or_b32_e32 v2, s5, v0
	v_ashrrev_i32_e32 v3, 31, v2
	v_lshlrev_b64 v[2:3], 2, v[2:3]
	v_mov_b32_e32 v1, s1
	v_add_co_u32_e32 v2, vcc, s0, v2
	v_addc_co_u32_e32 v3, vcc, v1, v3, vcc
	global_load_dword v5, v[2:3], off
	v_lshl_or_b32 v4, s21, 7, v0
	v_cvt_f32_u32_e32 v0, s9
	v_cvt_f32_ubyte0_e32 v1, 0
	s_lshl_b32 s0, s6, 4
	s_add_i32 s0, s21, s0
	v_mac_f32_e32 v0, 0x4f800000, v1
	v_rcp_f32_e32 v0, v0
	v_cvt_f32_u32_e32 v1, s9
	s_ashr_i32 s1, s0, 31
	s_lshl_b64 s[0:1], s[0:1], 3
	v_mul_f32_e32 v0, 0x5f7ffffc, v0
	v_rcp_iflag_f32_e32 v1, v1
	s_add_u32 s0, s2, s0
	v_mul_f32_e32 v9, 0x2f800000, v0
	s_addc_u32 s1, s3, s1
	v_trunc_f32_e32 v10, v9
	s_load_dwordx2 s[0:1], s[0:1], 0x0
	v_mac_f32_e32 v0, 0xcf800000, v10
	v_cvt_u32_f32_e32 v9, v0
	v_mul_f32_e32 v0, 0x4f7ffffe, v1
	v_cvt_u32_f32_e32 v10, v10
	v_cvt_u32_f32_e32 v11, v0
	s_add_i32 s8, s6, -1
	s_waitcnt lgkmcnt(0)
	v_mov_b32_e32 v6, s1
	v_mov_b32_e32 v7, s0
	;; [unrolled: 1-line block ×3, first 2 shown]
	s_mov_b32 s6, 0x3fb8aa3b
	s_mov_b32 s7, 0xc2ce8ed0
	;; [unrolled: 1-line block ×4, first 2 shown]
	v_mov_b32_e32 v12, 0x7f800000
	s_mul_hi_i32 s11, s8, s15
	s_cmp_lg_u64 s[10:11], 0
	s_mul_i32 s4, s8, s15
	s_cbranch_scc0 .LBB26_15
.LBB26_9:
	s_sub_u32 s0, 0, s9
	v_readfirstlane_b32 s5, v9
	v_readfirstlane_b32 s24, v10
	s_subb_u32 s1, 0, 0
	s_mul_hi_u32 s20, s0, s5
	s_mul_i32 s25, s0, s24
	s_mul_i32 s14, s1, s5
	s_add_i32 s20, s20, s25
	s_add_i32 s20, s20, s14
	s_mul_i32 s26, s0, s5
	s_mul_hi_u32 s14, s5, s20
	s_mul_i32 s25, s5, s20
	s_mul_hi_u32 s5, s5, s26
	s_add_u32 s5, s5, s25
	s_addc_u32 s14, 0, s14
	s_mul_hi_u32 s27, s24, s26
	s_mul_i32 s26, s24, s26
	s_add_u32 s5, s5, s26
	s_mul_hi_u32 s25, s24, s20
	s_addc_u32 s5, s14, s27
	s_addc_u32 s14, s25, 0
	s_mul_i32 s20, s24, s20
	s_add_u32 s5, s5, s20
	s_addc_u32 s14, 0, s14
	v_add_co_u32_e32 v0, vcc, s5, v9
	s_cmp_lg_u64 vcc, 0
	s_addc_u32 s5, s24, s14
	v_readfirstlane_b32 s20, v0
	s_mul_i32 s14, s0, s5
	s_mul_hi_u32 s24, s0, s20
	s_add_i32 s14, s24, s14
	s_mul_i32 s1, s1, s20
	s_add_i32 s14, s14, s1
	s_mul_i32 s0, s0, s20
	s_mul_hi_u32 s24, s5, s0
	s_mul_i32 s25, s5, s0
	s_mul_i32 s27, s20, s14
	s_mul_hi_u32 s0, s20, s0
	s_mul_hi_u32 s26, s20, s14
	s_add_u32 s0, s0, s27
	s_addc_u32 s20, 0, s26
	s_add_u32 s0, s0, s25
	s_mul_hi_u32 s1, s5, s14
	s_addc_u32 s0, s20, s24
	s_addc_u32 s1, s1, 0
	s_mul_i32 s14, s5, s14
	s_add_u32 s0, s0, s14
	s_addc_u32 s1, 0, s1
	v_add_co_u32_e32 v0, vcc, s0, v0
	s_cmp_lg_u64 vcc, 0
	s_addc_u32 s5, s5, s1
	s_ashr_i32 s0, s11, 31
	s_add_u32 s24, s4, s0
	s_mov_b32 s1, s0
	s_addc_u32 s25, s11, s0
	s_xor_b64 s[24:25], s[24:25], s[0:1]
	v_readfirstlane_b32 s14, v0
	s_mul_i32 s11, s24, s5
	s_mul_hi_u32 s20, s24, s14
	s_mul_hi_u32 s1, s24, s5
	s_add_u32 s11, s20, s11
	s_addc_u32 s1, 0, s1
	s_mul_hi_u32 s26, s25, s14
	s_mul_i32 s14, s25, s14
	s_add_u32 s11, s11, s14
	s_mul_hi_u32 s20, s25, s5
	s_addc_u32 s1, s1, s26
	s_addc_u32 s11, s20, 0
	s_mul_i32 s5, s25, s5
	s_add_u32 s1, s1, s5
	s_addc_u32 s5, 0, s11
	s_mul_i32 s5, s9, s5
	s_mul_hi_u32 s20, s9, s1
	s_add_i32 s20, s20, s5
	s_mul_i32 s5, s9, s1
	v_mov_b32_e32 v0, s5
	s_add_u32 s11, s1, 1
	s_add_u32 s14, s1, 2
	v_sub_co_u32_e32 v0, vcc, s24, v0
	s_cmp_lg_u64 vcc, 0
	s_subb_u32 s5, s25, s20
	v_subrev_co_u32_e32 v1, vcc, s9, v0
	s_cmp_lg_u64 vcc, 0
	s_subb_u32 s20, s5, 0
	v_cmp_le_u32_e32 vcc, s9, v1
	s_cmp_eq_u32 s20, 0
	v_cndmask_b32_e64 v1, 0, -1, vcc
	s_cselect_b64 vcc, -1, 0
	v_cndmask_b32_e32 v1, -1, v1, vcc
	v_mov_b32_e32 v13, s11
	v_mov_b32_e32 v14, s14
	v_cmp_ne_u32_e32 vcc, 0, v1
	v_cndmask_b32_e32 v1, v13, v14, vcc
	v_cmp_le_u32_e32 vcc, s9, v0
	s_cmp_eq_u32 s5, 0
	v_cndmask_b32_e64 v0, 0, -1, vcc
	s_cselect_b64 vcc, -1, 0
	v_cndmask_b32_e32 v0, -1, v0, vcc
	v_mov_b32_e32 v13, s1
	v_cmp_ne_u32_e32 vcc, 0, v0
	v_cndmask_b32_e32 v0, v13, v1, vcc
	v_xor_b32_e32 v0, s0, v0
	v_subrev_co_u32_e32 v0, vcc, s0, v0
	s_cbranch_execnz .LBB26_11
.LBB26_10:
	s_sub_i32 s0, 0, s9
	v_mul_lo_u32 v0, s0, v11
	v_mul_hi_u32 v0, v11, v0
	v_add_u32_e32 v0, v11, v0
	v_mul_hi_u32 v0, s4, v0
	v_mul_lo_u32 v13, v0, s9
	v_sub_u32_e32 v13, s4, v13
	v_add_u32_e32 v1, 1, v0
	v_subrev_u32_e32 v14, s9, v13
	v_cmp_le_u32_e32 vcc, s9, v13
	v_cndmask_b32_e32 v13, v13, v14, vcc
	v_cndmask_b32_e32 v0, v0, v1, vcc
	v_add_u32_e32 v1, 1, v0
	v_cmp_le_u32_e32 vcc, s9, v13
	v_cndmask_b32_e32 v0, v0, v1, vcc
.LBB26_11:
	v_cmp_ne_u32_e32 vcc, v8, v0
	s_cbranch_vccz .LBB26_14
; %bb.12:
	s_add_i32 s0, s8, s9
	s_lshl_b32 s0, s0, 4
	v_mul_hi_u32 v1, v0, s16
	s_add_i32 s0, s0, s21
	s_mov_b32 s1, s10
	v_add_u32_e32 v1, v1, v0
	s_lshl_b64 s[0:1], s[0:1], 3
	v_lshrrev_b32_e32 v1, s17, v1
	s_add_u32 s4, s2, s0
	v_mul_lo_u32 v13, v1, s18
	s_addc_u32 s5, s3, s1
	v_cmp_eq_u32_e32 vcc, v13, v0
	v_cmp_gt_u32_e64 s[0:1], s19, v1
	s_or_b64 s[0:1], s[0:1], vcc
	s_and_b64 vcc, exec, s[0:1]
	s_cbranch_vccnz .LBB26_16
; %bb.13:
	s_add_i32 s11, s8, -1
	s_mov_b64 s[0:1], 0
	s_branch .LBB26_17
.LBB26_14:
                                        ; implicit-def: $sgpr0_sgpr1
                                        ; implicit-def: $vgpr14
                                        ; implicit-def: $vgpr1
                                        ; implicit-def: $vgpr13
                                        ; implicit-def: $sgpr11
                                        ; implicit-def: $vgpr0
	s_branch .LBB26_18
.LBB26_15:
                                        ; implicit-def: $vgpr0_vgpr1
	s_branch .LBB26_10
.LBB26_16:
	s_mov_b64 s[0:1], -1
	s_mov_b32 s11, s8
	v_mov_b32_e32 v0, v8
.LBB26_17:
	v_lshl_add_u32 v14, s8, 11, v4
	v_ashrrev_i32_e32 v15, 31, v14
	v_lshlrev_b64 v[14:15], 2, v[14:15]
	v_mov_b32_e32 v1, s23
	v_add_co_u32_e32 v14, vcc, s22, v14
	v_addc_co_u32_e32 v15, vcc, v1, v15, vcc
	global_load_dword v14, v[14:15], off
	s_load_dwordx2 s[4:5], s[4:5], 0x0
	v_max_f32_e32 v1, v7, v7
	s_waitcnt lgkmcnt(0)
	v_max_f32_e64 v13, s4, s4
	v_max_f32_e32 v1, v1, v13
	v_sub_f32_e32 v13, v7, v1
	v_sub_f32_e32 v15, s4, v1
	v_mul_f32_e32 v16, 0x3fb8aa3b, v13
	v_mul_f32_e32 v17, 0x3fb8aa3b, v15
	v_fma_f32 v18, v13, s6, -v16
	v_rndne_f32_e32 v19, v16
	v_fma_f32 v20, v15, s6, -v17
	v_rndne_f32_e32 v21, v17
	v_fmac_f32_e32 v18, 0x32a5705f, v13
	v_sub_f32_e32 v16, v16, v19
	v_fmac_f32_e32 v20, 0x32a5705f, v15
	v_sub_f32_e32 v17, v17, v21
	v_add_f32_e32 v16, v16, v18
	v_cvt_i32_f32_e32 v19, v19
	v_add_f32_e32 v17, v17, v20
	v_exp_f32_e32 v16, v16
	v_cvt_i32_f32_e32 v21, v21
	v_exp_f32_e32 v17, v17
	v_cmp_ngt_f32_e32 vcc, s7, v13
	v_ldexp_f32 v16, v16, v19
	v_cndmask_b32_e32 v16, 0, v16, vcc
	v_ldexp_f32 v17, v17, v21
	v_cmp_ngt_f32_e32 vcc, s7, v15
	v_cndmask_b32_e32 v17, 0, v17, vcc
	v_cmp_nlt_f32_e32 vcc, s12, v13
	v_cndmask_b32_e32 v16, v12, v16, vcc
	v_cmp_nlt_f32_e32 vcc, s12, v15
	v_cndmask_b32_e32 v17, v12, v17, vcc
	v_cmp_le_f32_e32 vcc, s13, v13
	v_cndmask_b32_e32 v16, 0, v16, vcc
	v_cmp_le_f32_e32 vcc, s13, v15
	v_cndmask_b32_e32 v15, 0, v17, vcc
	v_mul_f32_e32 v13, s5, v15
	v_fmac_f32_e32 v13, v6, v16
	s_waitcnt vmcnt(0)
	v_mul_f32_e32 v14, v14, v15
	v_fmac_f32_e32 v14, v5, v16
	s_cbranch_execnz .LBB26_19
.LBB26_18:
	s_add_i32 s11, s8, -1
	s_mov_b64 s[0:1], 0
	v_mov_b32_e32 v0, v8
	v_mov_b32_e32 v13, v6
	;; [unrolled: 1-line block ×3, first 2 shown]
	s_waitcnt vmcnt(0)
	v_mov_b32_e32 v14, v5
.LBB26_19:
	s_andn2_b64 vcc, exec, s[0:1]
	s_cbranch_vccz .LBB26_23
; %bb.20:
	v_mov_b32_e32 v8, v0
	s_mov_b32 s8, s11
	v_mov_b32_e32 v6, v13
	v_mov_b32_e32 v7, v1
	s_waitcnt vmcnt(0)
	v_mov_b32_e32 v5, v14
	s_mul_hi_i32 s11, s8, s15
	s_cmp_lg_u64 s[10:11], 0
	s_mul_i32 s4, s8, s15
	s_cbranch_scc1 .LBB26_9
	s_branch .LBB26_15
.LBB26_21:
                                        ; implicit-def: $sgpr20_sgpr21
	s_load_dwordx4 s[16:19], s[4:5], 0x44
	s_branch .LBB26_2
.LBB26_22:
                                        ; implicit-def: $vgpr2_vgpr3
	s_branch .LBB26_5
.LBB26_23:
	v_div_scale_f32 v0, s[0:1], v13, v13, v14
	v_rcp_f32_e32 v1, v0
	v_div_scale_f32 v4, vcc, v14, v13, v14
	s_waitcnt vmcnt(0)
	v_fma_f32 v5, -v0, v1, 1.0
	v_fmac_f32_e32 v1, v5, v1
	v_mul_f32_e32 v5, v4, v1
	v_fma_f32 v6, -v0, v5, v4
	v_fmac_f32_e32 v5, v6, v1
	v_fma_f32 v0, -v0, v5, v4
	v_div_fmas_f32 v0, v0, v1, v5
	v_div_fixup_f32 v0, v0, v13, v14
	global_store_dword v[2:3], v0, off
.LBB26_24:
	s_endpgm
	.section	.rodata,"a",@progbits
	.p2align	6, 0x0
	.amdhsa_kernel _ZL33flash_attn_stream_k_fixup_generalILi128ELi4ELi4EEvPfPK15HIP_vector_typeIfLj2EEiiiiS1_IjLj3EES5_S5_S5_
		.amdhsa_group_segment_fixed_size 0
		.amdhsa_private_segment_fixed_size 0
		.amdhsa_kernarg_size 336
		.amdhsa_user_sgpr_count 6
		.amdhsa_user_sgpr_private_segment_buffer 1
		.amdhsa_user_sgpr_dispatch_ptr 0
		.amdhsa_user_sgpr_queue_ptr 0
		.amdhsa_user_sgpr_kernarg_segment_ptr 1
		.amdhsa_user_sgpr_dispatch_id 0
		.amdhsa_user_sgpr_flat_scratch_init 0
		.amdhsa_user_sgpr_kernarg_preload_length 0
		.amdhsa_user_sgpr_kernarg_preload_offset 0
		.amdhsa_user_sgpr_private_segment_size 0
		.amdhsa_uses_dynamic_stack 0
		.amdhsa_system_sgpr_private_segment_wavefront_offset 0
		.amdhsa_system_sgpr_workgroup_id_x 1
		.amdhsa_system_sgpr_workgroup_id_y 1
		.amdhsa_system_sgpr_workgroup_id_z 1
		.amdhsa_system_sgpr_workgroup_info 0
		.amdhsa_system_vgpr_workitem_id 0
		.amdhsa_next_free_vgpr 22
		.amdhsa_next_free_sgpr 32
		.amdhsa_accum_offset 24
		.amdhsa_reserve_vcc 1
		.amdhsa_reserve_flat_scratch 0
		.amdhsa_float_round_mode_32 0
		.amdhsa_float_round_mode_16_64 0
		.amdhsa_float_denorm_mode_32 3
		.amdhsa_float_denorm_mode_16_64 3
		.amdhsa_dx10_clamp 1
		.amdhsa_ieee_mode 1
		.amdhsa_fp16_overflow 0
		.amdhsa_tg_split 0
		.amdhsa_exception_fp_ieee_invalid_op 0
		.amdhsa_exception_fp_denorm_src 0
		.amdhsa_exception_fp_ieee_div_zero 0
		.amdhsa_exception_fp_ieee_overflow 0
		.amdhsa_exception_fp_ieee_underflow 0
		.amdhsa_exception_fp_ieee_inexact 0
		.amdhsa_exception_int_div_zero 0
	.end_amdhsa_kernel
	.section	.text._ZL33flash_attn_stream_k_fixup_generalILi128ELi4ELi4EEvPfPK15HIP_vector_typeIfLj2EEiiiiS1_IjLj3EES5_S5_S5_,"axG",@progbits,_ZL33flash_attn_stream_k_fixup_generalILi128ELi4ELi4EEvPfPK15HIP_vector_typeIfLj2EEiiiiS1_IjLj3EES5_S5_S5_,comdat
.Lfunc_end26:
	.size	_ZL33flash_attn_stream_k_fixup_generalILi128ELi4ELi4EEvPfPK15HIP_vector_typeIfLj2EEiiiiS1_IjLj3EES5_S5_S5_, .Lfunc_end26-_ZL33flash_attn_stream_k_fixup_generalILi128ELi4ELi4EEvPfPK15HIP_vector_typeIfLj2EEiiiiS1_IjLj3EES5_S5_S5_
                                        ; -- End function
	.section	.AMDGPU.csdata,"",@progbits
; Kernel info:
; codeLenInByte = 2824
; NumSgprs: 36
; NumVgprs: 22
; NumAgprs: 0
; TotalNumVgprs: 22
; ScratchSize: 0
; MemoryBound: 0
; FloatMode: 240
; IeeeMode: 1
; LDSByteSize: 0 bytes/workgroup (compile time only)
; SGPRBlocks: 4
; VGPRBlocks: 2
; NumSGPRsForWavesPerEU: 36
; NumVGPRsForWavesPerEU: 22
; AccumOffset: 24
; Occupancy: 8
; WaveLimiterHint : 0
; COMPUTE_PGM_RSRC2:SCRATCH_EN: 0
; COMPUTE_PGM_RSRC2:USER_SGPR: 6
; COMPUTE_PGM_RSRC2:TRAP_HANDLER: 0
; COMPUTE_PGM_RSRC2:TGID_X_EN: 1
; COMPUTE_PGM_RSRC2:TGID_Y_EN: 1
; COMPUTE_PGM_RSRC2:TGID_Z_EN: 1
; COMPUTE_PGM_RSRC2:TIDIG_COMP_CNT: 0
; COMPUTE_PGM_RSRC3_GFX90A:ACCUM_OFFSET: 5
; COMPUTE_PGM_RSRC3_GFX90A:TG_SPLIT: 0
	.section	.text._ZL15flash_attn_tileILi128ELi128ELi2ELi4ELb0EEvPKcS1_S1_S1_S1_PKiPfP15HIP_vector_typeIfLj2EEffffjfiS5_IjLj3EEiiiiiiiiiiiliiliiiiil,"axG",@progbits,_ZL15flash_attn_tileILi128ELi128ELi2ELi4ELb0EEvPKcS1_S1_S1_S1_PKiPfP15HIP_vector_typeIfLj2EEffffjfiS5_IjLj3EEiiiiiiiiiiiliiliiiiil,comdat
	.globl	_ZL15flash_attn_tileILi128ELi128ELi2ELi4ELb0EEvPKcS1_S1_S1_S1_PKiPfP15HIP_vector_typeIfLj2EEffffjfiS5_IjLj3EEiiiiiiiiiiiliiliiiiil ; -- Begin function _ZL15flash_attn_tileILi128ELi128ELi2ELi4ELb0EEvPKcS1_S1_S1_S1_PKiPfP15HIP_vector_typeIfLj2EEffffjfiS5_IjLj3EEiiiiiiiiiiiliiliiiiil
	.p2align	8
	.type	_ZL15flash_attn_tileILi128ELi128ELi2ELi4ELb0EEvPKcS1_S1_S1_S1_PKiPfP15HIP_vector_typeIfLj2EEffffjfiS5_IjLj3EEiiiiiiiiiiiliiliiiiil,@function
_ZL15flash_attn_tileILi128ELi128ELi2ELi4ELb0EEvPKcS1_S1_S1_S1_PKiPfP15HIP_vector_typeIfLj2EEffffjfiS5_IjLj3EEiiiiiiiiiiiliiliiiiil: ; @_ZL15flash_attn_tileILi128ELi128ELi2ELi4ELb0EEvPKcS1_S1_S1_S1_PKiPfP15HIP_vector_typeIfLj2EEffffjfiS5_IjLj3EEiiiiiiiiiiiliiliiiiil
; %bb.0:
	s_load_dwordx4 s[28:31], s[4:5], 0x5c
	s_load_dwordx2 s[34:35], s[4:5], 0x80
	s_load_dwordx16 s[12:27], s[4:5], 0x0
	s_mov_b64 s[36:37], 0
	s_waitcnt lgkmcnt(0)
	s_ashr_i32 s0, s31, 31
	s_lshr_b32 s0, s0, 30
	s_add_i32 s0, s31, s0
	s_ashr_i32 s0, s0, 2
	v_cvt_f32_u32_e32 v1, s0
	s_sub_i32 s1, 0, s0
	v_rcp_iflag_f32_e32 v1, v1
	v_mul_f32_e32 v1, 0x4f7ffffe, v1
	v_cvt_u32_f32_e32 v1, v1
	v_readfirstlane_b32 s2, v1
	s_mul_i32 s1, s1, s2
	s_mul_hi_u32 s1, s2, s1
	s_add_i32 s2, s2, s1
	s_mul_hi_u32 s1, s8, s2
	s_mul_i32 s2, s1, s0
	s_sub_i32 s2, s8, s2
	s_add_i32 s3, s1, 1
	s_sub_i32 s9, s2, s0
	s_cmp_ge_u32 s2, s0
	s_cselect_b32 s1, s3, s1
	s_cselect_b32 s2, s9, s2
	s_add_i32 s3, s1, 1
	s_cmp_ge_u32 s2, s0
	s_cselect_b32 s33, s3, s1
	s_abs_i32 s0, s35
	v_cvt_f32_u32_e32 v1, s0
	s_lshl_b32 s1, s8, 2
	s_mul_i32 s8, s33, s31
	s_xor_b32 s2, s31, s35
	v_rcp_iflag_f32_e32 v1, v1
	s_sub_i32 s9, 0, s0
	s_sub_i32 s35, s1, s8
	s_abs_i32 s3, s31
	v_mul_f32_e32 v1, 0x4f7ffffe, v1
	v_cvt_u32_f32_e32 v1, v1
	s_ashr_i32 s2, s2, 31
	v_readfirstlane_b32 s1, v1
	s_mul_i32 s9, s9, s1
	s_mul_hi_u32 s8, s1, s9
	s_add_i32 s1, s1, s8
	s_mul_hi_u32 s1, s3, s1
	s_mul_i32 s8, s1, s0
	s_sub_i32 s3, s3, s8
	s_add_i32 s9, s1, 1
	s_sub_i32 s8, s3, s0
	s_cmp_ge_u32 s3, s0
	s_cselect_b32 s1, s9, s1
	s_cselect_b32 s3, s8, s3
	s_add_i32 s8, s1, 1
	s_cmp_ge_u32 s3, s0
	s_cselect_b32 s0, s8, s1
	s_xor_b32 s0, s0, s2
	s_sub_i32 s9, s0, s2
	s_abs_i32 s8, s9
	v_cvt_f32_u32_e32 v1, s8
	s_load_dwordx2 s[0:1], s[4:5], 0xb8
	s_cmp_eq_u64 s[18:19], 0
	v_rcp_iflag_f32_e32 v1, v1
	v_mul_f32_e32 v1, 0x4f7ffffe, v1
	v_cvt_u32_f32_e32 v1, v1
	v_readfirstlane_b32 s10, v1
	s_cbranch_scc1 .LBB27_2
; %bb.1:
	s_waitcnt lgkmcnt(0)
	s_abs_i32 s0, s0
	v_cvt_f32_u32_e32 v1, s0
	s_sub_i32 s37, 0, s0
	s_abs_i32 s36, s33
	s_ashr_i32 s11, s33, 31
	v_rcp_iflag_f32_e32 v1, v1
	s_load_dwordx2 s[2:3], s[4:5], 0xc8
	v_mul_f32_e32 v1, 0x4f7ffffe, v1
	v_cvt_u32_f32_e32 v1, v1
	v_readfirstlane_b32 s38, v1
	s_mul_i32 s37, s37, s38
	s_mul_hi_u32 s37, s38, s37
	s_add_i32 s38, s38, s37
	s_mul_hi_u32 s37, s36, s38
	s_mul_i32 s37, s37, s0
	s_sub_i32 s36, s36, s37
	s_sub_i32 s37, s36, s0
	s_cmp_ge_u32 s36, s0
	s_cselect_b32 s36, s37, s36
	s_sub_i32 s37, s36, s0
	s_cmp_ge_u32 s36, s0
	s_cselect_b32 s0, s37, s36
	s_xor_b32 s0, s0, s11
	s_sub_i32 s0, s0, s11
	s_ashr_i32 s11, s0, 31
	s_waitcnt lgkmcnt(0)
	s_mul_i32 s3, s0, s3
	s_mul_hi_u32 s36, s0, s2
	s_add_i32 s3, s36, s3
	s_mul_i32 s11, s11, s2
	s_add_i32 s3, s3, s11
	s_mul_i32 s0, s0, s2
	s_add_u32 s36, s18, s0
	s_addc_u32 s37, s19, s3
.LBB27_2:
	s_load_dwordx4 s[40:43], s[4:5], 0x70
	v_bfe_u32 v1, v0, 10, 10
	v_and_b32_e32 v9, 3, v1
	v_lshrrev_b32_e32 v6, 2, v1
	v_lshl_add_u32 v30, s6, 1, v6
	s_waitcnt lgkmcnt(0)
	s_mul_i32 s0, s33, s42
	s_ashr_i32 s3, s0, 31
	s_mul_i32 s2, s35, s41
	s_add_u32 s0, s12, s0
	s_addc_u32 s3, s13, s3
	s_ashr_i32 s11, s2, 31
	s_add_u32 s0, s0, s2
	s_addc_u32 s11, s3, s11
	s_ashr_i32 s12, s41, 31
	v_mov_b32_e32 v2, s41
	v_alignbit_b32 v2, s12, v2, 2
	v_mad_u64_u32 v[4:5], s[2:3], v2, v9, 0
	v_mov_b32_e32 v2, v5
	s_lshr_b32 s2, s12, 2
	v_mad_u64_u32 v[2:3], s[2:3], s2, v9, v[2:3]
	v_mov_b32_e32 v5, v2
	v_mul_hi_u32 v2, s28, v30
	v_add_u32_e32 v2, v30, v2
	v_lshrrev_b32_e32 v2, s29, v2
	v_mul_lo_u32 v2, v2, s30
	s_ashr_i32 s12, s40, 31
	v_mov_b32_e32 v3, s40
	v_sub_u32_e32 v2, v30, v2
	v_alignbit_b32 v3, s12, v3, 2
	v_mad_u64_u32 v[6:7], s[2:3], v3, v2, 0
	v_mov_b32_e32 v8, v7
	s_lshr_b32 s2, s12, 2
	v_mad_u64_u32 v[10:11], s[2:3], s2, v2, v[8:9]
	v_lshlrev_b64 v[4:5], 2, v[4:5]
	v_mov_b32_e32 v7, v10
	v_and_b32_e32 v8, 0x3ff, v0
	v_mov_b32_e32 v0, s11
	v_add_co_u32_e32 v3, vcc, s0, v4
	v_addc_co_u32_e32 v0, vcc, v0, v5, vcc
	v_lshlrev_b64 v[4:5], 2, v[6:7]
	v_add_co_u32_e32 v3, vcc, v3, v4
	v_addc_co_u32_e32 v0, vcc, v0, v5, vcc
	v_lshlrev_b32_e32 v4, 4, v8
	v_add_co_u32_e32 v4, vcc, v3, v4
	v_addc_co_u32_e32 v5, vcc, 0, v0, vcc
	global_load_dwordx4 v[4:7], v[4:5], off
	s_load_dword s0, s[4:5], 0x40
	v_lshlrev_b32_e32 v0, 6, v1
	v_lshlrev_b32_e32 v3, 1, v8
	v_add_lshl_u32 v0, v0, v3, 2
	s_cmp_eq_u64 s[22:23], 0
	s_waitcnt vmcnt(0) lgkmcnt(0)
	v_pk_mul_f32 v[4:5], v[4:5], s[0:1] op_sel_hi:[1,0]
	v_pk_mul_f32 v[6:7], v[6:7], s[0:1] op_sel_hi:[1,0]
	v_cvt_f16_f32_e32 v10, v5
	v_cvt_f16_f32_e32 v5, v7
	;; [unrolled: 1-line block ×4, first 2 shown]
	v_pack_b32_f16 v5, v6, v5
	v_pack_b32_f16 v4, v4, v10
	ds_write_b64 v0, v[4:5] offset:17408
	s_waitcnt lgkmcnt(0)
	s_barrier
	s_cbranch_scc1 .LBB27_4
; %bb.3:
	s_load_dword s0, s[4:5], 0xd0
	s_mov_b32 s3, 0
	s_waitcnt lgkmcnt(0)
	s_mul_i32 s0, s0, s33
	s_add_i32 s2, s0, s6
	s_lshl_b64 s[2:3], s[2:3], 2
	s_add_u32 s2, s22, s2
	s_addc_u32 s3, s23, s3
	s_load_dword s34, s[2:3], 0x0
.LBB27_4:
	s_lshl_b32 s6, s7, 6
	s_waitcnt lgkmcnt(0)
	s_cmp_lt_i32 s6, s34
	v_mbcnt_lo_u32_b32 v0, -1, 0
	s_cbranch_scc1 .LBB27_6
; %bb.5:
	v_mbcnt_hi_u32_b32 v11, -1, v0
	v_and_b32_e32 v3, 0x60, v11
	s_mov_b32 s0, 0
	v_add_u32_e32 v29, 32, v3
	v_xor_b32_e32 v36, 16, v11
	v_xor_b32_e32 v35, 8, v11
	;; [unrolled: 1-line block ×5, first 2 shown]
	s_mov_b64 s[2:3], 0
	s_mov_b32 s11, 0xfeffffff
	s_branch .LBB27_7
.LBB27_6:
	s_mov_b64 s[2:3], -1
                                        ; implicit-def: $sgpr11
                                        ; implicit-def: $sgpr0
                                        ; implicit-def: $vgpr11
                                        ; implicit-def: $vgpr29
                                        ; implicit-def: $vgpr36
                                        ; implicit-def: $vgpr35
                                        ; implicit-def: $vgpr34
                                        ; implicit-def: $vgpr33
                                        ; implicit-def: $vgpr32
.LBB27_7:
	v_lshlrev_b32_e32 v31, 2, v8
	s_andn2_b64 vcc, exec, s[2:3]
	v_mov_b32_e32 v28, s11
	v_mov_b32_e32 v62, s0
	;; [unrolled: 1-line block ×4, first 2 shown]
	s_cbranch_vccnz .LBB27_10
; %bb.8:
	s_load_dwordx2 s[2:3], s[4:5], 0x8c
	s_load_dwordx4 s[40:43], s[4:5], 0x98
	s_sub_i32 s0, 0, s8
	s_mul_i32 s0, s0, s10
	s_mul_hi_u32 s0, s10, s0
	s_waitcnt lgkmcnt(0)
	s_ashr_i32 s23, s2, 2
	s_ashr_i32 s2, s33, 31
	s_mul_i32 s18, s33, s41
	s_mul_hi_u32 s19, s33, s40
	s_add_i32 s18, s19, s18
	s_mul_i32 s19, s2, s40
	s_abs_i32 s12, s35
	s_add_i32 s10, s10, s0
	s_ashr_i32 s13, s35, 31
	s_ashr_i32 s9, s9, 31
	;; [unrolled: 1-line block ×4, first 2 shown]
	s_add_i32 s18, s18, s19
	s_mul_i32 s19, s33, s40
	s_mul_hi_u32 s0, s12, s10
	s_add_u32 s14, s14, s19
	s_addc_u32 s15, s15, s18
	s_xor_b32 s9, s13, s9
	s_mul_i32 s13, s0, s8
	s_sub_i32 s12, s12, s13
	s_add_i32 s13, s0, 1
	s_sub_i32 s18, s12, s8
	s_cmp_ge_u32 s12, s8
	s_cselect_b32 s0, s13, s0
	s_cselect_b32 s12, s18, s12
	s_add_i32 s13, s0, 1
	s_cmp_ge_u32 s12, s8
	s_cselect_b32 s0, s13, s0
	s_load_dwordx2 s[10:11], s[4:5], 0xa8
	s_xor_b32 s0, s0, s9
	s_sub_i32 s0, s0, s9
	s_mul_i32 s3, s0, s3
	s_ashr_i32 s8, s3, 31
	s_add_u32 s28, s14, s3
	s_addc_u32 s29, s15, s8
	s_waitcnt lgkmcnt(0)
	s_mul_i32 s3, s33, s11
	s_mul_hi_u32 s8, s33, s10
	s_add_i32 s3, s8, s3
	s_mul_i32 s2, s2, s10
	s_add_i32 s3, s3, s2
	s_mul_i32 s2, s33, s10
	s_add_u32 s2, s16, s2
	s_mul_i32 s0, s0, s43
	s_addc_u32 s3, s17, s3
	s_ashr_i32 s8, s0, 31
	v_lshrrev_b32_e32 v3, 4, v8
	v_and_b32_e32 v4, 60, v31
	s_add_u32 s38, s2, s0
	v_lshl_add_u32 v3, v1, 1, v3
	v_lshlrev_b32_e32 v5, 2, v4
	s_movk_i32 s0, 0x110
	s_addc_u32 s39, s3, s8
	v_mad_u32_u24 v37, v3, s0, v5
	v_mul_lo_u32 v6, s23, v3
	s_lshl_b32 s0, s23, 4
	v_add_u32_e32 v14, s0, v6
	v_add_u32_e32 v16, s0, v14
	v_mov_b32_e32 v10, 0x4400
	v_add_u32_e32 v18, s0, v16
	v_lshl_add_u32 v42, v1, 8, v10
	v_mad_u64_u32 v[10:11], s[0:1], v2, s1, v[8:9]
	v_mov_b32_e32 v2, 0x4c00
	v_lshl_add_u32 v44, v1, 7, v2
	v_mul_lo_u32 v2, s22, v3
	s_lshl_b32 s0, s22, 4
	v_add_u32_e32 v22, s0, v2
	v_add_u32_e32 v24, s0, v22
	;; [unrolled: 1-line block ×3, first 2 shown]
	v_mbcnt_hi_u32_b32 v11, -1, v0
	v_ashrrev_i32_e32 v7, 31, v6
	v_ashrrev_i32_e32 v15, 31, v14
	;; [unrolled: 1-line block ×4, first 2 shown]
	v_lshl_or_b32 v46, v3, 8, v5
	v_ashrrev_i32_e32 v3, 31, v2
	v_ashrrev_i32_e32 v23, 31, v22
	;; [unrolled: 1-line block ×4, first 2 shown]
	v_lshlrev_b32_e32 v50, 3, v8
	s_add_u32 s18, s4, 0xd0
	v_and_b32_e32 v0, 0x60, v11
	v_mov_b32_e32 v39, 0
	v_add_u32_e32 v38, 0x1100, v37
	v_add_u32_e32 v40, 0x2200, v37
	;; [unrolled: 1-line block ×3, first 2 shown]
	v_mul_u32_u24_e32 v43, 0x110, v8
	v_lshl_add_u32 v45, v8, 1, v44
	v_add_u32_e32 v47, 0x1000, v46
	v_add_u32_e32 v48, 0x2000, v46
	;; [unrolled: 1-line block ×3, first 2 shown]
	s_addc_u32 s19, s5, 0
	v_mov_b32_e32 v28, 0xfeffffff
	v_lshlrev_b64 v[12:13], 2, v[6:7]
	v_lshlrev_b32_e32 v51, 2, v4
	v_lshlrev_b64 v[14:15], 2, v[14:15]
	v_lshlrev_b64 v[16:17], 2, v[16:17]
	;; [unrolled: 1-line block ×3, first 2 shown]
	v_mov_b32_e32 v52, s37
	v_add_u32_e32 v29, 32, v0
	v_xor_b32_e32 v36, 16, v11
	v_xor_b32_e32 v35, 8, v11
	;; [unrolled: 1-line block ×5, first 2 shown]
	s_mov_b32 s37, 0x3fb8aa3b
	s_mov_b32 s40, 0xc2ce8ed0
	;; [unrolled: 1-line block ×3, first 2 shown]
	v_mov_b32_e32 v53, 0x7f800000
	v_lshlrev_b64 v[20:21], 2, v[2:3]
	v_lshlrev_b64 v[22:23], 2, v[22:23]
	;; [unrolled: 1-line block ×4, first 2 shown]
	v_add_u32_e32 v54, 0x800, v50
	v_add_u32_e32 v55, 0x1000, v50
	;; [unrolled: 1-line block ×7, first 2 shown]
	v_mov_b32_e32 v61, 0
	v_mov_b32_e32 v62, 0
.LBB27_9:                               ; =>This Inner Loop Header: Depth=1
	s_mul_hi_i32 s13, s6, s23
	s_mul_i32 s12, s6, s23
	v_add_u32_e32 v2, s6, v10
	v_cmp_lt_i32_e64 s[0:1], v35, v29
	v_cmp_lt_i32_e64 s[10:11], v32, v29
	v_cndmask_b32_e64 v7, v11, v35, s[0:1]
	s_lshl_b64 s[0:1], s[12:13], 2
	v_ashrrev_i32_e32 v3, 31, v2
	v_cmp_lt_i32_e32 vcc, v36, v29
	v_cmp_lt_i32_e64 s[8:9], v33, v29
	v_cndmask_b32_e64 v63, v11, v32, s[10:11]
	s_add_u32 s10, s28, s0
	v_lshlrev_b64 v[2:3], 1, v[2:3]
	v_cmp_lt_i32_e64 s[2:3], v34, v29
	v_mov_b32_e32 v5, v62
	s_mul_hi_i32 s15, s6, s22
	s_mul_i32 s14, s6, s22
	v_cndmask_b32_e32 v6, v11, v36, vcc
	v_cndmask_b32_e64 v62, v11, v33, s[8:9]
	s_addc_u32 s12, s29, s1
	v_add_co_u32_e32 v2, vcc, s36, v2
	v_mov_b32_e32 v4, v28
	v_cndmask_b32_e64 v28, v11, v34, s[2:3]
	v_lshlrev_b32_e32 v92, 2, v6
	v_lshlrev_b32_e32 v93, 2, v7
	;; [unrolled: 1-line block ×4, first 2 shown]
	s_lshl_b64 s[42:43], s[14:15], 2
	v_add_co_u32_e64 v6, s[0:1], s10, v14
	v_add_co_u32_e64 v7, s[2:3], s10, v16
	v_add_co_u32_e64 v62, s[8:9], s10, v18
	v_add_co_u32_e64 v63, s[10:11], s10, v12
	v_addc_co_u32_e32 v3, vcc, v52, v3, vcc
	v_mov_b32_e32 v64, s12
	v_mov_b32_e32 v65, s12
	;; [unrolled: 1-line block ×4, first 2 shown]
	s_add_u32 s42, s38, s42
	v_add_co_u32_e32 v6, vcc, v6, v51
	v_add_co_u32_e64 v78, s[12:13], v7, v51
	v_add_co_u32_e64 v80, s[14:15], v62, v51
	;; [unrolled: 1-line block ×3, first 2 shown]
	v_addc_co_u32_e64 v7, s[10:11], v64, v13, s[10:11]
	v_addc_co_u32_e64 v62, s[0:1], v65, v15, s[0:1]
	;; [unrolled: 1-line block ×4, first 2 shown]
	v_add_co_u32_e64 v65, s[0:1], s42, v20
	v_add_co_u32_e64 v66, s[2:3], s42, v22
	;; [unrolled: 1-line block ×4, first 2 shown]
	v_addc_co_u32_e64 v83, s[16:17], 0, v7, s[16:17]
	v_addc_co_u32_e32 v7, vcc, 0, v62, vcc
	v_addc_co_u32_e64 v79, vcc, 0, v63, s[12:13]
	v_addc_co_u32_e64 v81, vcc, 0, v64, s[14:15]
	v_add_co_u32_e32 v84, vcc, v66, v51
	v_add_co_u32_e64 v86, s[12:13], v67, v51
	v_add_co_u32_e64 v88, s[14:15], v68, v51
	;; [unrolled: 1-line block ×3, first 2 shown]
	global_load_dwordx4 v[62:65], v[82:83], off
	global_load_dwordx4 v[66:69], v[6:7], off
	;; [unrolled: 1-line block ×4, first 2 shown]
	v_mov_b32_e32 v0, 0
	v_mov_b32_e32 v1, 0
	s_waitcnt vmcnt(3)
	ds_write_b128 v37, v[62:65]
	s_waitcnt vmcnt(2)
	ds_write_b128 v38, v[66:69]
	;; [unrolled: 2-line block ×4, first 2 shown]
	s_waitcnt lgkmcnt(0)
	s_barrier
	ds_read_b128 v[62:65], v43
	ds_read_b128 v[66:69], v42
	ds_read_b128 v[70:73], v43 offset:8704
	s_waitcnt lgkmcnt(1)
	;;#ASMSTART
	v_dot2_f32_f16 v0, v62, v66, v0
	;;#ASMEND
	;;#ASMSTART
	v_dot2_f32_f16 v0, v63, v67, v0
	;;#ASMEND
	;;#ASMSTART
	v_dot2_f32_f16 v0, v64, v68, v0
	;;#ASMEND
	;;#ASMSTART
	v_dot2_f32_f16 v0, v65, v69, v0
	;;#ASMEND
	s_waitcnt lgkmcnt(0)
	;;#ASMSTART
	v_dot2_f32_f16 v1, v70, v66, v1
	;;#ASMEND
	;;#ASMSTART
	v_dot2_f32_f16 v1, v71, v67, v1
	;;#ASMEND
	;;#ASMSTART
	v_dot2_f32_f16 v1, v72, v68, v1
	;;#ASMEND
	;;#ASMSTART
	v_dot2_f32_f16 v1, v73, v69, v1
	;;#ASMEND
	ds_read_b128 v[62:65], v43 offset:16
	ds_read_b128 v[66:69], v42 offset:16
	ds_read_b128 v[70:73], v43 offset:8720
	s_waitcnt lgkmcnt(1)
	;;#ASMSTART
	v_dot2_f32_f16 v0, v62, v66, v0
	;;#ASMEND
	;;#ASMSTART
	v_dot2_f32_f16 v0, v63, v67, v0
	;;#ASMEND
	;;#ASMSTART
	v_dot2_f32_f16 v0, v64, v68, v0
	;;#ASMEND
	;;#ASMSTART
	v_dot2_f32_f16 v0, v65, v69, v0
	;;#ASMEND
	s_waitcnt lgkmcnt(0)
	;;#ASMSTART
	v_dot2_f32_f16 v1, v70, v66, v1
	;;#ASMEND
	;;#ASMSTART
	v_dot2_f32_f16 v1, v71, v67, v1
	;;#ASMEND
	;;#ASMSTART
	v_dot2_f32_f16 v1, v72, v68, v1
	;;#ASMEND
	;;#ASMSTART
	v_dot2_f32_f16 v1, v73, v69, v1
	;;#ASMEND
	ds_read_b128 v[62:65], v43 offset:32
	ds_read_b128 v[66:69], v42 offset:32
	;; [unrolled: 29-line block ×15, first 2 shown]
	ds_read_b128 v[70:73], v43 offset:8944
	s_waitcnt lgkmcnt(1)
	;;#ASMSTART
	v_dot2_f32_f16 v0, v62, v66, v0
	;;#ASMEND
	;;#ASMSTART
	v_dot2_f32_f16 v0, v63, v67, v0
	;;#ASMEND
	;; [unrolled: 3-line block ×3, first 2 shown]
	s_addc_u32 s43, s39, s43
	;;#ASMSTART
	v_dot2_f32_f16 v0, v65, v69, v0
	;;#ASMEND
	s_waitcnt lgkmcnt(0)
	;;#ASMSTART
	v_dot2_f32_f16 v1, v70, v66, v1
	;;#ASMEND
	v_mov_b32_e32 v85, s43
	v_mov_b32_e32 v87, s43
	;;#ASMSTART
	v_dot2_f32_f16 v1, v71, v67, v1
	;;#ASMEND
	v_mov_b32_e32 v91, s43
	v_addc_co_u32_e64 v6, s[0:1], v85, v21, s[0:1]
	v_addc_co_u32_e64 v7, s[0:1], v87, v23, s[2:3]
	;;#ASMSTART
	v_dot2_f32_f16 v1, v72, v68, v1
	;;#ASMEND
	v_addc_co_u32_e64 v79, s[0:1], v91, v27, s[10:11]
	v_addc_co_u32_e64 v91, s[0:1], 0, v6, s[16:17]
	v_addc_co_u32_e32 v85, vcc, 0, v7, vcc
	;;#ASMSTART
	v_dot2_f32_f16 v1, v73, v69, v1
	;;#ASMEND
	flat_load_ushort v6, v[2:3] offset:64
	flat_load_ushort v7, v[2:3]
	v_mov_b32_e32 v89, s43
	v_addc_co_u32_e64 v78, s[0:1], v89, v25, s[8:9]
	v_addc_co_u32_e64 v87, vcc, 0, v78, s[12:13]
	v_addc_co_u32_e64 v89, vcc, 0, v79, s[14:15]
	s_waitcnt lgkmcnt(0)
	s_barrier
	global_load_dwordx4 v[64:67], v[90:91], off
	global_load_dwordx4 v[68:71], v[84:85], off
	;; [unrolled: 1-line block ×4, first 2 shown]
	v_lshlrev_b32_e32 v28, 2, v28
	s_waitcnt vmcnt(0)
	v_cvt_f32_f16_e32 v3, v6
	v_cvt_f32_f16_e32 v2, v7
	v_pk_add_f32 v[0:1], v[0:1], v[2:3]
	v_add_f32_e32 v2, 0x40051340, v0
	v_add_f32_e32 v3, 0x40051340, v1
	v_max3_f32 v2, v4, v2, v3
	ds_bpermute_b32 v3, v92, v2
	s_waitcnt lgkmcnt(0)
	v_max_f32_e32 v3, v3, v3
	v_max_f32_e32 v2, v2, v3
	ds_bpermute_b32 v3, v93, v2
	s_waitcnt lgkmcnt(0)
	v_max_f32_e32 v3, v3, v3
	v_max_f32_e32 v2, v2, v3
	;; [unrolled: 4-line block ×5, first 2 shown]
	v_pk_add_f32 v[0:1], v[0:1], v[28:29] op_sel_hi:[1,0] neg_lo:[0,1] neg_hi:[0,1]
	v_sub_f32_e32 v2, v4, v28
	v_mul_f32_e32 v4, 0x3fb8aa3b, v0
	v_mul_f32_e32 v3, 0x3fb8aa3b, v1
	v_fma_f32 v63, v0, s37, -v4
	v_rndne_f32_e32 v80, v4
	v_mul_f32_e32 v6, 0x3fb8aa3b, v2
	v_cmp_ngt_f32_e32 vcc, s40, v0
	v_cmp_nlt_f32_e64 s[8:9], s41, v0
	v_fma_f32 v7, v1, s37, -v3
	v_rndne_f32_e32 v62, v3
	v_fmac_f32_e32 v63, 0x32a5705f, v0
	v_sub_f32_e32 v0, v4, v80
	v_cmp_ngt_f32_e64 s[2:3], s40, v1
	v_cmp_nlt_f32_e64 s[12:13], s41, v1
	v_fma_f32 v81, v2, s37, -v6
	v_rndne_f32_e32 v82, v6
	v_fmac_f32_e32 v7, 0x32a5705f, v1
	v_sub_f32_e32 v1, v3, v62
	v_add_f32_e32 v0, v0, v63
	v_cmp_ngt_f32_e64 s[0:1], s40, v2
	v_cmp_nlt_f32_e64 s[10:11], s41, v2
	v_cvt_i32_f32_e32 v4, v80
	v_fmac_f32_e32 v81, 0x32a5705f, v2
	v_sub_f32_e32 v2, v6, v82
	v_add_f32_e32 v1, v1, v7
	v_exp_f32_e32 v0, v0
	v_cvt_i32_f32_e32 v3, v62
	v_add_f32_e32 v2, v2, v81
	v_exp_f32_e32 v1, v1
	v_cvt_i32_f32_e32 v6, v82
	v_exp_f32_e32 v2, v2
	v_ldexp_f32 v0, v0, v4
	v_ldexp_f32 v1, v1, v3
	v_cndmask_b32_e32 v0, 0, v0, vcc
	v_ldexp_f32 v2, v2, v6
	v_cndmask_b32_e64 v1, 0, v1, s[2:3]
	v_cndmask_b32_e64 v0, v53, v0, s[8:9]
	;; [unrolled: 1-line block ×4, first 2 shown]
	v_cvt_f16_f32_e32 v3, v0
	v_cndmask_b32_e64 v2, v53, v2, s[10:11]
	v_add_f32_e32 v62, v0, v1
	v_cvt_f16_f32_e32 v0, v1
	v_cvt_f16_f32_e32 v63, v2
	v_fmac_f32_e32 v62, v5, v2
	ds_write_b16 v45, v3
	ds_write_b16 v45, v0 offset:64
	ds_write_b128 v46, v[64:67]
	ds_write_b128 v47, v[68:71]
	;; [unrolled: 1-line block ×4, first 2 shown]
	s_waitcnt lgkmcnt(0)
	s_barrier
	ds_read2_b64 v[64:67], v50 offset1:32
	ds_read_b128 v[68:71], v44
	ds_read_b128 v[72:75], v44 offset:16
	ds_read_b128 v[4:7], v44 offset:32
	;; [unrolled: 1-line block ×3, first 2 shown]
	ds_read2_b64 v[76:79], v50 offset0:64 offset1:96
	ds_read2_b64 v[80:83], v50 offset0:128 offset1:160
	ds_read2_b64 v[84:87], v50 offset0:192 offset1:224
	ds_read2_b64 v[88:91], v54 offset1:32
	ds_read2_b64 v[92:95], v54 offset0:64 offset1:96
	ds_read2_b64 v[96:99], v54 offset0:128 offset1:160
	ds_read2_b64 v[100:103], v54 offset0:192 offset1:224
	ds_read2_b64 v[104:107], v55 offset1:32
	;; [unrolled: 4-line block ×5, first 2 shown]
	s_waitcnt lgkmcnt(14)
	v_pk_mul_f16 v64, v64, v68 op_sel_hi:[1,0]
	v_pk_mul_f16 v65, v65, v68 op_sel_hi:[1,0]
	v_pk_fma_f16 v39, v39, v63, v64 op_sel_hi:[1,0,1]
	v_pk_fma_f16 v61, v61, v63, v65 op_sel_hi:[1,0,1]
	v_pk_fma_f16 v39, v66, v68, v39 op_sel:[0,1,0]
	v_pk_fma_f16 v61, v67, v68, v61 op_sel:[0,1,0]
	v_pk_fma_f16 v39, v76, v69, v39 op_sel_hi:[1,0,1]
	v_pk_fma_f16 v61, v77, v69, v61 op_sel_hi:[1,0,1]
	v_pk_fma_f16 v39, v78, v69, v39 op_sel:[0,1,0]
	v_pk_fma_f16 v61, v79, v69, v61 op_sel:[0,1,0]
	;; [unrolled: 4-line block ×7, first 2 shown]
	s_waitcnt lgkmcnt(13)
	v_pk_fma_f16 v39, v100, v75, v39 op_sel_hi:[1,0,1]
	v_pk_fma_f16 v61, v101, v75, v61 op_sel_hi:[1,0,1]
	v_pk_fma_f16 v39, v102, v75, v39 op_sel:[0,1,0]
	v_pk_fma_f16 v61, v103, v75, v61 op_sel:[0,1,0]
	s_waitcnt lgkmcnt(12)
	v_pk_fma_f16 v39, v104, v4, v39 op_sel_hi:[1,0,1]
	v_pk_fma_f16 v61, v105, v4, v61 op_sel_hi:[1,0,1]
	v_pk_fma_f16 v39, v106, v4, v39 op_sel:[0,1,0]
	v_pk_fma_f16 v4, v107, v4, v61 op_sel:[0,1,0]
	;; [unrolled: 5-line block ×6, first 2 shown]
	s_waitcnt lgkmcnt(7)
	v_pk_fma_f16 v39, v124, v1, v39 op_sel_hi:[1,0,1]
	v_pk_fma_f16 v0, v125, v1, v0 op_sel_hi:[1,0,1]
	ds_read_b128 v[156:159], v44 offset:64
	ds_read_b128 v[64:67], v44 offset:80
	v_pk_fma_f16 v39, v126, v1, v39 op_sel:[0,1,0]
	v_pk_fma_f16 v0, v127, v1, v0 op_sel:[0,1,0]
	s_waitcnt lgkmcnt(8)
	v_pk_fma_f16 v1, v128, v2, v39 op_sel_hi:[1,0,1]
	v_pk_fma_f16 v0, v129, v2, v0 op_sel_hi:[1,0,1]
	v_pk_fma_f16 v1, v130, v2, v1 op_sel:[0,1,0]
	v_pk_fma_f16 v0, v131, v2, v0 op_sel:[0,1,0]
	s_waitcnt lgkmcnt(7)
	v_pk_fma_f16 v1, v132, v3, v1 op_sel_hi:[1,0,1]
	v_pk_fma_f16 v0, v133, v3, v0 op_sel_hi:[1,0,1]
	;; [unrolled: 5-line block ×3, first 2 shown]
	v_pk_fma_f16 v1, v138, v156, v1 op_sel:[0,1,0]
	v_pk_fma_f16 v0, v139, v156, v0 op_sel:[0,1,0]
	v_pk_fma_f16 v1, v140, v157, v1 op_sel_hi:[1,0,1]
	v_pk_fma_f16 v0, v141, v157, v0 op_sel_hi:[1,0,1]
	v_pk_fma_f16 v1, v142, v157, v1 op_sel:[0,1,0]
	v_pk_fma_f16 v0, v143, v157, v0 op_sel:[0,1,0]
	v_pk_fma_f16 v1, v144, v158, v1 op_sel_hi:[1,0,1]
	v_pk_fma_f16 v0, v145, v158, v0 op_sel_hi:[1,0,1]
	ds_read2_b64 v[76:79], v58 offset0:64 offset1:96
	v_pk_fma_f16 v1, v146, v158, v1 op_sel:[0,1,0]
	v_pk_fma_f16 v0, v147, v158, v0 op_sel:[0,1,0]
	v_pk_fma_f16 v1, v148, v159, v1 op_sel_hi:[1,0,1]
	v_pk_fma_f16 v0, v149, v159, v0 op_sel_hi:[1,0,1]
	ds_read2_b64 v[80:83], v58 offset0:128 offset1:160
	v_pk_fma_f16 v1, v150, v159, v1 op_sel:[0,1,0]
	v_pk_fma_f16 v0, v151, v159, v0 op_sel:[0,1,0]
	s_waitcnt lgkmcnt(2)
	v_pk_fma_f16 v1, v152, v64, v1 op_sel_hi:[1,0,1]
	v_pk_fma_f16 v0, v153, v64, v0 op_sel_hi:[1,0,1]
	v_pk_fma_f16 v1, v154, v64, v1 op_sel:[0,1,0]
	v_pk_fma_f16 v0, v155, v64, v0 op_sel:[0,1,0]
	ds_read2_b64 v[68:71], v58 offset0:192 offset1:224
	ds_read2_b64 v[84:87], v59 offset1:32
	s_waitcnt lgkmcnt(3)
	v_pk_fma_f16 v1, v76, v65, v1 op_sel_hi:[1,0,1]
	v_pk_fma_f16 v0, v77, v65, v0 op_sel_hi:[1,0,1]
	ds_read2_b64 v[88:91], v59 offset0:64 offset1:96
	ds_read2_b64 v[92:95], v59 offset0:128 offset1:160
	;; [unrolled: 1-line block ×3, first 2 shown]
	ds_read2_b64 v[72:75], v60 offset1:32
	ds_read_b128 v[100:103], v44 offset:96
	v_pk_fma_f16 v1, v78, v65, v1 op_sel:[0,1,0]
	v_pk_fma_f16 v0, v79, v65, v0 op_sel:[0,1,0]
	s_waitcnt lgkmcnt(7)
	v_pk_fma_f16 v1, v80, v66, v1 op_sel_hi:[1,0,1]
	v_pk_fma_f16 v0, v81, v66, v0 op_sel_hi:[1,0,1]
	v_pk_fma_f16 v1, v82, v66, v1 op_sel:[0,1,0]
	v_pk_fma_f16 v0, v83, v66, v0 op_sel:[0,1,0]
	s_waitcnt lgkmcnt(6)
	v_pk_fma_f16 v1, v68, v67, v1 op_sel_hi:[1,0,1]
	v_pk_fma_f16 v0, v69, v67, v0 op_sel_hi:[1,0,1]
	;; [unrolled: 5-line block ×3, first 2 shown]
	v_pk_fma_f16 v1, v86, v100, v1 op_sel:[0,1,0]
	v_pk_fma_f16 v0, v87, v100, v0 op_sel:[0,1,0]
	v_pk_fma_f16 v1, v88, v101, v1 op_sel_hi:[1,0,1]
	v_pk_fma_f16 v0, v89, v101, v0 op_sel_hi:[1,0,1]
	ds_read_b128 v[104:107], v44 offset:112
	v_pk_fma_f16 v1, v90, v101, v1 op_sel:[0,1,0]
	v_pk_fma_f16 v0, v91, v101, v0 op_sel:[0,1,0]
	v_pk_fma_f16 v1, v92, v102, v1 op_sel_hi:[1,0,1]
	v_pk_fma_f16 v0, v93, v102, v0 op_sel_hi:[1,0,1]
	ds_read2_b64 v[108:111], v60 offset0:64 offset1:96
	v_pk_fma_f16 v1, v94, v102, v1 op_sel:[0,1,0]
	v_pk_fma_f16 v0, v95, v102, v0 op_sel:[0,1,0]
	v_pk_fma_f16 v1, v96, v103, v1 op_sel_hi:[1,0,1]
	v_pk_fma_f16 v0, v97, v103, v0 op_sel_hi:[1,0,1]
	ds_read2_b64 v[112:115], v60 offset0:128 offset1:160
	v_pk_fma_f16 v1, v98, v103, v1 op_sel:[0,1,0]
	v_pk_fma_f16 v0, v99, v103, v0 op_sel:[0,1,0]
	ds_read2_b64 v[4:7], v60 offset0:192 offset1:224
	s_waitcnt lgkmcnt(0)
	s_barrier
	s_load_dword s0, s[18:19], 0x4
	v_pk_fma_f16 v1, v72, v104, v1 op_sel_hi:[1,0,1]
	v_pk_fma_f16 v0, v73, v104, v0 op_sel_hi:[1,0,1]
	v_pk_fma_f16 v1, v74, v104, v1 op_sel:[0,1,0]
	v_pk_fma_f16 v0, v75, v104, v0 op_sel:[0,1,0]
	v_pk_fma_f16 v1, v108, v105, v1 op_sel_hi:[1,0,1]
	v_pk_fma_f16 v0, v109, v105, v0 op_sel_hi:[1,0,1]
	v_pk_fma_f16 v1, v110, v105, v1 op_sel:[0,1,0]
	v_pk_fma_f16 v0, v111, v105, v0 op_sel:[0,1,0]
	v_pk_fma_f16 v1, v112, v106, v1 op_sel_hi:[1,0,1]
	v_pk_fma_f16 v0, v113, v106, v0 op_sel_hi:[1,0,1]
	s_waitcnt lgkmcnt(0)
	s_lshl_b32 s0, s0, 6
	v_pk_fma_f16 v1, v114, v106, v1 op_sel:[0,1,0]
	v_pk_fma_f16 v0, v115, v106, v0 op_sel:[0,1,0]
	s_add_i32 s6, s0, s6
	v_pk_fma_f16 v1, v4, v107, v1 op_sel_hi:[1,0,1]
	v_pk_fma_f16 v0, v5, v107, v0 op_sel_hi:[1,0,1]
	s_cmp_lt_i32 s6, s34
	v_pk_fma_f16 v39, v6, v107, v1 op_sel:[0,1,0]
	v_pk_fma_f16 v61, v7, v107, v0 op_sel:[0,1,0]
	s_cbranch_scc1 .LBB27_9
.LBB27_10:
	v_cmp_lt_i32_e32 vcc, v36, v29
	v_cndmask_b32_e32 v0, v11, v36, vcc
	v_lshlrev_b32_e32 v0, 2, v0
	ds_bpermute_b32 v0, v0, v62
	v_cmp_lt_i32_e32 vcc, v35, v29
	v_cndmask_b32_e32 v1, v11, v35, vcc
	v_lshlrev_b32_e32 v1, 2, v1
	v_cmp_lt_i32_e32 vcc, v34, v29
	s_waitcnt lgkmcnt(0)
	v_add_f32_e32 v0, v62, v0
	ds_bpermute_b32 v1, v1, v0
	v_cndmask_b32_e32 v2, v11, v34, vcc
	v_lshlrev_b32_e32 v2, 2, v2
	v_cmp_lt_i32_e32 vcc, v33, v29
	s_cmp_eq_u64 s[20:21], 0
	s_waitcnt lgkmcnt(0)
	v_add_f32_e32 v0, v0, v1
	ds_bpermute_b32 v1, v2, v0
	v_cndmask_b32_e32 v2, v11, v33, vcc
	v_lshlrev_b32_e32 v2, 2, v2
	v_cmp_lt_i32_e32 vcc, v32, v29
	s_cselect_b64 s[0:1], -1, 0
	s_waitcnt lgkmcnt(0)
	v_add_f32_e32 v0, v0, v1
	ds_bpermute_b32 v1, v2, v0
	v_cndmask_b32_e32 v2, v11, v32, vcc
	v_lshlrev_b32_e32 v2, 2, v2
	s_cmp_lg_u32 s7, 0
	s_cselect_b64 s[2:3], -1, 0
	s_waitcnt lgkmcnt(0)
	v_add_f32_e32 v0, v0, v1
	ds_bpermute_b32 v1, v2, v0
	s_or_b64 s[0:1], s[2:3], s[0:1]
	s_and_b64 vcc, exec, s[0:1]
	s_waitcnt lgkmcnt(0)
	v_add_f32_e32 v29, v0, v1
	s_cbranch_vccnz .LBB27_13
; %bb.11:
	v_add_u32_e32 v0, s35, v9
	v_ashrrev_i32_e32 v1, 31, v0
	v_lshlrev_b64 v[0:1], 2, v[0:1]
	v_mov_b32_e32 v2, s21
	v_add_co_u32_e32 v0, vcc, s20, v0
	v_addc_co_u32_e32 v1, vcc, v2, v1, vcc
	global_load_dword v1, v[0:1], off
	v_max_f32_e32 v0, v28, v28
	s_mov_b32 s0, 0x3fb8aa3b
	s_mov_b32 s1, 0xc2ce8ed0
	s_waitcnt vmcnt(0)
	v_max_f32_e32 v2, v1, v1
	v_max_f32_e32 v0, v0, v2
	v_sub_f32_e32 v2, v28, v0
	v_sub_f32_e32 v1, v1, v0
	v_mul_f32_e32 v3, 0x3fb8aa3b, v2
	v_mul_f32_e32 v4, 0x3fb8aa3b, v1
	v_fma_f32 v5, v2, s0, -v3
	v_rndne_f32_e32 v6, v3
	v_fma_f32 v7, v1, s0, -v4
	v_rndne_f32_e32 v10, v4
	v_fmac_f32_e32 v5, 0x32a5705f, v2
	v_sub_f32_e32 v3, v3, v6
	v_fmac_f32_e32 v7, 0x32a5705f, v1
	v_sub_f32_e32 v4, v4, v10
	v_add_f32_e32 v3, v3, v5
	v_cvt_i32_f32_e32 v6, v6
	v_add_f32_e32 v4, v4, v7
	v_exp_f32_e32 v3, v3
	v_cvt_i32_f32_e32 v10, v10
	v_exp_f32_e32 v4, v4
	v_cmp_ngt_f32_e32 vcc, s1, v2
	v_ldexp_f32 v3, v3, v6
	s_mov_b32 s0, 0x42b17218
	v_ldexp_f32 v4, v4, v10
	v_cndmask_b32_e32 v3, 0, v3, vcc
	v_cmp_ngt_f32_e32 vcc, s1, v1
	v_mov_b32_e32 v5, 0x7f800000
	v_cndmask_b32_e32 v4, 0, v4, vcc
	v_cmp_nlt_f32_e32 vcc, s0, v2
	v_cndmask_b32_e32 v2, v5, v3, vcc
	v_cvt_f16_f32_e32 v3, v2
	v_cmp_nlt_f32_e32 vcc, s0, v1
	v_cndmask_b32_e32 v1, v5, v4, vcc
	v_fmac_f32_e32 v1, v29, v2
	v_pk_mul_f16 v39, v3, v39 op_sel_hi:[0,1]
	v_pk_mul_f16 v61, v3, v61 op_sel_hi:[0,1]
	v_pk_mov_b32 v[28:29], v[0:1], v[0:1] op_sel:[0,1]
	v_cmp_gt_i32_e32 vcc, s30, v30
	s_and_saveexec_b64 s[0:1], vcc
	s_cbranch_execnz .LBB27_14
.LBB27_12:
	s_endpgm
.LBB27_13:
	v_mov_b32_e32 v1, v29
	v_cmp_gt_i32_e32 vcc, s30, v30
	s_and_saveexec_b64 s[0:1], vcc
	s_cbranch_execz .LBB27_12
.LBB27_14:
	v_div_scale_f32 v0, s[0:1], v1, v1, 1.0
	v_rcp_f32_e32 v2, v0
	s_load_dword s2, s[4:5], 0xd4
	s_mul_i32 s33, s33, s30
	v_cvt_f32_f16_sdwa v7, v39 dst_sel:DWORD dst_unused:UNUSED_PAD src0_sel:WORD_1
	v_fma_f32 v3, -v0, v2, 1.0
	v_fmac_f32_e32 v2, v3, v2
	v_div_scale_f32 v3, vcc, 1.0, v1, 1.0
	v_mul_f32_e32 v4, v3, v2
	v_fma_f32 v5, -v0, v4, v3
	v_fmac_f32_e32 v4, v5, v2
	v_fma_f32 v0, -v0, v4, v3
	s_waitcnt lgkmcnt(0)
	s_cmp_lg_u32 s2, 1
	v_div_fmas_f32 v0, v0, v2, v4
	v_div_fixup_f32 v0, v0, v1, 1.0
	s_cselect_b64 s[0:1], -1, 0
	v_cndmask_b32_e64 v4, v0, 1.0, s[0:1]
	v_add_u32_e32 v0, s33, v30
	v_mul_lo_u32 v0, v0, s31
	v_add3_u32 v0, s35, v9, v0
	v_mul_lo_u32 v0, s2, v0
	v_add_u32_e32 v0, s7, v0
	v_lshl_add_u32 v2, v0, 7, v31
	v_mov_b32_e32 v3, 0
	v_lshlrev_b64 v[2:3], 2, v[2:3]
	v_cvt_f32_f16_e32 v6, v39
	v_cvt_f32_f16_sdwa v11, v61 dst_sel:DWORD dst_unused:UNUSED_PAD src0_sel:WORD_1
	v_cvt_f32_f16_e32 v10, v61
	v_mov_b32_e32 v1, s25
	v_add_co_u32_e32 v12, vcc, s24, v2
	v_addc_co_u32_e32 v13, vcc, v1, v3, vcc
	v_cmp_eq_u32_e32 vcc, 0, v8
	v_pk_mul_f32 v[2:3], v[4:5], v[6:7] op_sel_hi:[0,1]
	v_pk_mul_f32 v[4:5], v[4:5], v[10:11] op_sel_hi:[0,1]
	s_and_b64 s[0:1], vcc, s[0:1]
	global_store_dwordx4 v[12:13], v[2:5], off
	s_and_b64 exec, exec, s[0:1]
	s_cbranch_execz .LBB27_12
; %bb.15:
	v_ashrrev_i32_e32 v1, 31, v0
	v_lshlrev_b64 v[0:1], 3, v[0:1]
	v_mov_b32_e32 v2, s27
	v_add_co_u32_e32 v0, vcc, s26, v0
	v_addc_co_u32_e32 v1, vcc, v2, v1, vcc
	global_store_dwordx2 v[0:1], v[28:29], off
	s_endpgm
	.section	.rodata,"a",@progbits
	.p2align	6, 0x0
	.amdhsa_kernel _ZL15flash_attn_tileILi128ELi128ELi2ELi4ELb0EEvPKcS1_S1_S1_S1_PKiPfP15HIP_vector_typeIfLj2EEffffjfiS5_IjLj3EEiiiiiiiiiiiliiliiiiil
		.amdhsa_group_segment_fixed_size 20480
		.amdhsa_private_segment_fixed_size 0
		.amdhsa_kernarg_size 464
		.amdhsa_user_sgpr_count 6
		.amdhsa_user_sgpr_private_segment_buffer 1
		.amdhsa_user_sgpr_dispatch_ptr 0
		.amdhsa_user_sgpr_queue_ptr 0
		.amdhsa_user_sgpr_kernarg_segment_ptr 1
		.amdhsa_user_sgpr_dispatch_id 0
		.amdhsa_user_sgpr_flat_scratch_init 0
		.amdhsa_user_sgpr_kernarg_preload_length 0
		.amdhsa_user_sgpr_kernarg_preload_offset 0
		.amdhsa_user_sgpr_private_segment_size 0
		.amdhsa_uses_dynamic_stack 0
		.amdhsa_system_sgpr_private_segment_wavefront_offset 0
		.amdhsa_system_sgpr_workgroup_id_x 1
		.amdhsa_system_sgpr_workgroup_id_y 1
		.amdhsa_system_sgpr_workgroup_id_z 1
		.amdhsa_system_sgpr_workgroup_info 0
		.amdhsa_system_vgpr_workitem_id 1
		.amdhsa_next_free_vgpr 160
		.amdhsa_next_free_sgpr 44
		.amdhsa_accum_offset 160
		.amdhsa_reserve_vcc 1
		.amdhsa_reserve_flat_scratch 0
		.amdhsa_float_round_mode_32 0
		.amdhsa_float_round_mode_16_64 0
		.amdhsa_float_denorm_mode_32 3
		.amdhsa_float_denorm_mode_16_64 3
		.amdhsa_dx10_clamp 1
		.amdhsa_ieee_mode 1
		.amdhsa_fp16_overflow 0
		.amdhsa_tg_split 0
		.amdhsa_exception_fp_ieee_invalid_op 0
		.amdhsa_exception_fp_denorm_src 0
		.amdhsa_exception_fp_ieee_div_zero 0
		.amdhsa_exception_fp_ieee_overflow 0
		.amdhsa_exception_fp_ieee_underflow 0
		.amdhsa_exception_fp_ieee_inexact 0
		.amdhsa_exception_int_div_zero 0
	.end_amdhsa_kernel
	.section	.text._ZL15flash_attn_tileILi128ELi128ELi2ELi4ELb0EEvPKcS1_S1_S1_S1_PKiPfP15HIP_vector_typeIfLj2EEffffjfiS5_IjLj3EEiiiiiiiiiiiliiliiiiil,"axG",@progbits,_ZL15flash_attn_tileILi128ELi128ELi2ELi4ELb0EEvPKcS1_S1_S1_S1_PKiPfP15HIP_vector_typeIfLj2EEffffjfiS5_IjLj3EEiiiiiiiiiiiliiliiiiil,comdat
.Lfunc_end27:
	.size	_ZL15flash_attn_tileILi128ELi128ELi2ELi4ELb0EEvPKcS1_S1_S1_S1_PKiPfP15HIP_vector_typeIfLj2EEffffjfiS5_IjLj3EEiiiiiiiiiiiliiliiiiil, .Lfunc_end27-_ZL15flash_attn_tileILi128ELi128ELi2ELi4ELb0EEvPKcS1_S1_S1_S1_PKiPfP15HIP_vector_typeIfLj2EEffffjfiS5_IjLj3EEiiiiiiiiiiiliiliiiiil
                                        ; -- End function
	.section	.AMDGPU.csdata,"",@progbits
; Kernel info:
; codeLenInByte = 6428
; NumSgprs: 48
; NumVgprs: 160
; NumAgprs: 0
; TotalNumVgprs: 160
; ScratchSize: 0
; MemoryBound: 0
; FloatMode: 240
; IeeeMode: 1
; LDSByteSize: 20480 bytes/workgroup (compile time only)
; SGPRBlocks: 5
; VGPRBlocks: 19
; NumSGPRsForWavesPerEU: 48
; NumVGPRsForWavesPerEU: 160
; AccumOffset: 160
; Occupancy: 3
; WaveLimiterHint : 1
; COMPUTE_PGM_RSRC2:SCRATCH_EN: 0
; COMPUTE_PGM_RSRC2:USER_SGPR: 6
; COMPUTE_PGM_RSRC2:TRAP_HANDLER: 0
; COMPUTE_PGM_RSRC2:TGID_X_EN: 1
; COMPUTE_PGM_RSRC2:TGID_Y_EN: 1
; COMPUTE_PGM_RSRC2:TGID_Z_EN: 1
; COMPUTE_PGM_RSRC2:TIDIG_COMP_CNT: 1
; COMPUTE_PGM_RSRC3_GFX90A:ACCUM_OFFSET: 39
; COMPUTE_PGM_RSRC3_GFX90A:TG_SPLIT: 0
	.section	.text._ZL33flash_attn_stream_k_fixup_uniformILi128ELi2ELi4EEvPfPK15HIP_vector_typeIfLj2EEiiiiiiS1_IjLj3EES5_S5_,"axG",@progbits,_ZL33flash_attn_stream_k_fixup_uniformILi128ELi2ELi4EEvPfPK15HIP_vector_typeIfLj2EEiiiiiiS1_IjLj3EES5_S5_,comdat
	.globl	_ZL33flash_attn_stream_k_fixup_uniformILi128ELi2ELi4EEvPfPK15HIP_vector_typeIfLj2EEiiiiiiS1_IjLj3EES5_S5_ ; -- Begin function _ZL33flash_attn_stream_k_fixup_uniformILi128ELi2ELi4EEvPfPK15HIP_vector_typeIfLj2EEiiiiiiS1_IjLj3EES5_S5_
	.p2align	8
	.type	_ZL33flash_attn_stream_k_fixup_uniformILi128ELi2ELi4EEvPfPK15HIP_vector_typeIfLj2EEiiiiiiS1_IjLj3EES5_S5_,@function
_ZL33flash_attn_stream_k_fixup_uniformILi128ELi2ELi4EEvPfPK15HIP_vector_typeIfLj2EEiiiiiiS1_IjLj3EES5_S5_: ; @_ZL33flash_attn_stream_k_fixup_uniformILi128ELi2ELi4EEvPfPK15HIP_vector_typeIfLj2EEiiiiiiS1_IjLj3EES5_S5_
; %bb.0:
	s_load_dwordx8 s[12:19], s[4:5], 0x1c
	s_load_dwordx2 s[10:11], s[4:5], 0x10
	s_load_dwordx4 s[0:3], s[4:5], 0x3c
	s_waitcnt lgkmcnt(0)
	s_mul_hi_u32 s9, s15, s6
	s_add_i32 s9, s6, s9
	s_lshr_b32 s9, s9, s16
	s_mul_i32 s15, s9, s17
	s_sub_i32 s15, s6, s15
	s_mul_hi_u32 s16, s15, s18
	s_add_i32 s16, s15, s16
	s_lshr_b32 s16, s16, s19
	s_mul_i32 s0, s16, s0
	s_sub_i32 s0, s15, s0
	;; [unrolled: 5-line block ×3, first 2 shown]
	s_lshl_b32 s0, s17, 1
	s_lshl_b32 s15, s1, 2
	s_add_i32 s0, s0, s7
	s_cmp_lt_i32 s0, s10
	s_cselect_b64 s[0:1], -1, 0
	s_add_i32 s2, s15, s8
	s_cmp_lt_i32 s2, s13
	s_cselect_b64 s[2:3], -1, 0
	s_and_b64 s[0:1], s[0:1], s[2:3]
	s_andn2_b64 vcc, exec, s[0:1]
	s_cbranch_vccnz .LBB28_6
; %bb.1:
	s_load_dwordx4 s[0:3], s[4:5], 0x0
	s_mul_i32 s4, s9, s10
	s_add_i32 s4, s4, s7
	s_mul_i32 s4, s4, s11
	s_mul_i32 s16, s16, s13
	s_add_i32 s4, s4, s8
	s_add_i32 s4, s4, s16
	s_mul_i32 s5, s11, s17
	s_add_i32 s4, s4, s15
	s_lshl_b32 s5, s5, 8
	s_lshl_b32 s4, s4, 7
	s_add_i32 s5, s5, s4
	v_or_b32_e32 v2, s5, v0
	v_ashrrev_i32_e32 v3, 31, v2
	v_lshlrev_b64 v[2:3], 2, v[2:3]
	s_waitcnt lgkmcnt(0)
	v_mov_b32_e32 v1, s1
	v_add_co_u32_e32 v2, vcc, s0, v2
	v_addc_co_u32_e32 v3, vcc, v1, v3, vcc
	global_load_dword v8, v[2:3], off
	s_mul_i32 s9, s6, s14
	s_lshl_b32 s4, s7, 2
	s_add_i32 s11, s9, s14
	s_add_i32 s0, s4, s8
	s_lshl_b32 s1, s11, 3
	s_add_i32 s0, s0, s1
	s_add_i32 s0, s0, -8
	s_ashr_i32 s1, s0, 31
	s_lshl_b64 s[0:1], s[0:1], 3
	s_add_u32 s0, s2, s0
	s_addc_u32 s1, s3, s1
	s_load_dword s5, s[0:1], 0x4
	s_add_i32 s10, s11, -2
	s_cmp_lt_i32 s10, s9
	s_cbranch_scc1 .LBB28_4
; %bb.2:
	s_lshl_b32 s16, s12, 5
	s_ashr_i32 s17, s16, 31
	s_lshl_b64 s[16:17], s[16:17], 2
	s_add_u32 s10, s2, s16
	s_addc_u32 s13, s3, s17
	s_add_i32 s6, s6, 1
	s_load_dword s0, s[0:1], 0x0
	s_mul_i32 s1, s14, s6
	s_lshl_b32 s7, s7, 9
	s_lshl_b32 s14, s8, 7
	;; [unrolled: 1-line block ×3, first 2 shown]
	s_add_i32 s7, s14, s7
	s_lshl_b32 s1, s1, 3
	s_add_i32 s7, s7, s6
	s_add_i32 s1, s8, s1
	s_lshl_b32 s6, s12, 3
	s_add_i32 s1, s1, s6
	v_or_b32_e32 v0, s7, v0
	s_add_i32 s1, s1, s4
	s_add_i32 s11, s11, -1
	v_add_u32_e32 v0, 0xfffff800, v0
	s_add_i32 s4, s1, -16
	s_waitcnt lgkmcnt(0)
	v_mov_b32_e32 v7, s5
	v_mov_b32_e32 v6, s0
	;; [unrolled: 1-line block ×3, first 2 shown]
	s_mov_b32 s6, 0x3fb8aa3b
	s_mov_b32 s7, 0xc2ce8ed0
	;; [unrolled: 1-line block ×3, first 2 shown]
	v_mov_b32_e32 v5, 0x7f800000
	s_mov_b32 s12, 0xc1a00000
.LBB28_3:                               ; =>This Inner Loop Header: Depth=1
	v_ashrrev_i32_e32 v1, 31, v0
	v_lshlrev_b64 v[10:11], 2, v[0:1]
	v_add_co_u32_e32 v10, vcc, s10, v10
	v_addc_co_u32_e32 v11, vcc, v4, v11, vcc
	global_load_dword v1, v[10:11], off
	s_ashr_i32 s5, s4, 31
	s_lshl_b64 s[0:1], s[4:5], 3
	s_add_u32 s0, s2, s0
	s_addc_u32 s1, s3, s1
	s_load_dwordx2 s[14:15], s[0:1], 0x0
	s_waitcnt vmcnt(1)
	v_mov_b32_e32 v9, v8
	v_max_f32_e32 v8, v6, v6
	v_mov_b32_e32 v10, v7
	s_add_i32 s11, s11, -1
	s_waitcnt lgkmcnt(0)
	v_max_f32_e64 v7, s14, s14
	v_max_f32_e32 v7, v8, v7
	v_sub_f32_e32 v11, s14, v7
	v_sub_f32_e32 v8, v6, v7
	v_mul_f32_e32 v12, 0x3fb8aa3b, v11
	v_mov_b32_e32 v6, v7
	v_mul_f32_e32 v7, 0x3fb8aa3b, v8
	v_fma_f32 v15, v11, s6, -v12
	v_rndne_f32_e32 v16, v12
	v_fma_f32 v13, v8, s6, -v7
	v_rndne_f32_e32 v14, v7
	v_fmac_f32_e32 v15, 0x32a5705f, v11
	v_sub_f32_e32 v12, v12, v16
	v_fmac_f32_e32 v13, 0x32a5705f, v8
	v_sub_f32_e32 v7, v7, v14
	v_add_f32_e32 v12, v12, v15
	v_cvt_i32_f32_e32 v16, v16
	v_add_f32_e32 v7, v7, v13
	v_exp_f32_e32 v12, v12
	v_cvt_i32_f32_e32 v14, v14
	v_exp_f32_e32 v7, v7
	v_cmp_ngt_f32_e32 vcc, s7, v11
	v_ldexp_f32 v12, v12, v16
	v_cmp_ngt_f32_e64 s[0:1], s7, v8
	v_ldexp_f32 v7, v7, v14
	v_cndmask_b32_e32 v12, 0, v12, vcc
	v_cmp_nlt_f32_e32 vcc, s8, v11
	v_cndmask_b32_e64 v7, 0, v7, s[0:1]
	v_cmp_nlt_f32_e64 s[0:1], s8, v8
	v_cndmask_b32_e32 v12, v5, v12, vcc
	v_cmp_le_f32_e32 vcc, s12, v11
	v_cndmask_b32_e64 v7, v5, v7, s[0:1]
	v_cmp_le_f32_e64 s[0:1], s12, v8
	v_cndmask_b32_e32 v8, 0, v12, vcc
	s_add_i32 s4, s4, -8
	v_cndmask_b32_e64 v11, 0, v7, s[0:1]
	v_mul_f32_e32 v7, s15, v8
	v_add_u32_e32 v0, 0xfffffc00, v0
	s_cmp_le_i32 s11, s9
	v_fmac_f32_e32 v7, v10, v11
	s_waitcnt vmcnt(0)
	v_mul_f32_e32 v8, v1, v8
	v_fmac_f32_e32 v8, v9, v11
	s_cbranch_scc0 .LBB28_3
	s_branch .LBB28_5
.LBB28_4:
	s_waitcnt lgkmcnt(0)
	v_mov_b32_e32 v7, s5
.LBB28_5:
	s_waitcnt vmcnt(0)
	v_div_scale_f32 v0, s[0:1], v7, v7, v8
	v_rcp_f32_e32 v1, v0
	v_div_scale_f32 v4, vcc, v8, v7, v8
	v_fma_f32 v5, -v0, v1, 1.0
	v_fmac_f32_e32 v1, v5, v1
	v_mul_f32_e32 v5, v4, v1
	v_fma_f32 v6, -v0, v5, v4
	v_fmac_f32_e32 v5, v6, v1
	v_fma_f32 v0, -v0, v5, v4
	v_div_fmas_f32 v0, v0, v1, v5
	v_div_fixup_f32 v0, v0, v7, v8
	global_store_dword v[2:3], v0, off
.LBB28_6:
	s_endpgm
	.section	.rodata,"a",@progbits
	.p2align	6, 0x0
	.amdhsa_kernel _ZL33flash_attn_stream_k_fixup_uniformILi128ELi2ELi4EEvPfPK15HIP_vector_typeIfLj2EEiiiiiiS1_IjLj3EES5_S5_
		.amdhsa_group_segment_fixed_size 0
		.amdhsa_private_segment_fixed_size 0
		.amdhsa_kernarg_size 76
		.amdhsa_user_sgpr_count 6
		.amdhsa_user_sgpr_private_segment_buffer 1
		.amdhsa_user_sgpr_dispatch_ptr 0
		.amdhsa_user_sgpr_queue_ptr 0
		.amdhsa_user_sgpr_kernarg_segment_ptr 1
		.amdhsa_user_sgpr_dispatch_id 0
		.amdhsa_user_sgpr_flat_scratch_init 0
		.amdhsa_user_sgpr_kernarg_preload_length 0
		.amdhsa_user_sgpr_kernarg_preload_offset 0
		.amdhsa_user_sgpr_private_segment_size 0
		.amdhsa_uses_dynamic_stack 0
		.amdhsa_system_sgpr_private_segment_wavefront_offset 0
		.amdhsa_system_sgpr_workgroup_id_x 1
		.amdhsa_system_sgpr_workgroup_id_y 1
		.amdhsa_system_sgpr_workgroup_id_z 1
		.amdhsa_system_sgpr_workgroup_info 0
		.amdhsa_system_vgpr_workitem_id 0
		.amdhsa_next_free_vgpr 17
		.amdhsa_next_free_sgpr 20
		.amdhsa_accum_offset 20
		.amdhsa_reserve_vcc 1
		.amdhsa_reserve_flat_scratch 0
		.amdhsa_float_round_mode_32 0
		.amdhsa_float_round_mode_16_64 0
		.amdhsa_float_denorm_mode_32 3
		.amdhsa_float_denorm_mode_16_64 3
		.amdhsa_dx10_clamp 1
		.amdhsa_ieee_mode 1
		.amdhsa_fp16_overflow 0
		.amdhsa_tg_split 0
		.amdhsa_exception_fp_ieee_invalid_op 0
		.amdhsa_exception_fp_denorm_src 0
		.amdhsa_exception_fp_ieee_div_zero 0
		.amdhsa_exception_fp_ieee_overflow 0
		.amdhsa_exception_fp_ieee_underflow 0
		.amdhsa_exception_fp_ieee_inexact 0
		.amdhsa_exception_int_div_zero 0
	.end_amdhsa_kernel
	.section	.text._ZL33flash_attn_stream_k_fixup_uniformILi128ELi2ELi4EEvPfPK15HIP_vector_typeIfLj2EEiiiiiiS1_IjLj3EES5_S5_,"axG",@progbits,_ZL33flash_attn_stream_k_fixup_uniformILi128ELi2ELi4EEvPfPK15HIP_vector_typeIfLj2EEiiiiiiS1_IjLj3EES5_S5_,comdat
.Lfunc_end28:
	.size	_ZL33flash_attn_stream_k_fixup_uniformILi128ELi2ELi4EEvPfPK15HIP_vector_typeIfLj2EEiiiiiiS1_IjLj3EES5_S5_, .Lfunc_end28-_ZL33flash_attn_stream_k_fixup_uniformILi128ELi2ELi4EEvPfPK15HIP_vector_typeIfLj2EEiiiiiiS1_IjLj3EES5_S5_
                                        ; -- End function
	.section	.AMDGPU.csdata,"",@progbits
; Kernel info:
; codeLenInByte = 856
; NumSgprs: 24
; NumVgprs: 17
; NumAgprs: 0
; TotalNumVgprs: 17
; ScratchSize: 0
; MemoryBound: 0
; FloatMode: 240
; IeeeMode: 1
; LDSByteSize: 0 bytes/workgroup (compile time only)
; SGPRBlocks: 2
; VGPRBlocks: 2
; NumSGPRsForWavesPerEU: 24
; NumVGPRsForWavesPerEU: 17
; AccumOffset: 20
; Occupancy: 8
; WaveLimiterHint : 0
; COMPUTE_PGM_RSRC2:SCRATCH_EN: 0
; COMPUTE_PGM_RSRC2:USER_SGPR: 6
; COMPUTE_PGM_RSRC2:TRAP_HANDLER: 0
; COMPUTE_PGM_RSRC2:TGID_X_EN: 1
; COMPUTE_PGM_RSRC2:TGID_Y_EN: 1
; COMPUTE_PGM_RSRC2:TGID_Z_EN: 1
; COMPUTE_PGM_RSRC2:TIDIG_COMP_CNT: 0
; COMPUTE_PGM_RSRC3_GFX90A:ACCUM_OFFSET: 4
; COMPUTE_PGM_RSRC3_GFX90A:TG_SPLIT: 0
	.section	.text._ZL33flash_attn_stream_k_fixup_generalILi128ELi2ELi4EEvPfPK15HIP_vector_typeIfLj2EEiiiiS1_IjLj3EES5_S5_S5_,"axG",@progbits,_ZL33flash_attn_stream_k_fixup_generalILi128ELi2ELi4EEvPfPK15HIP_vector_typeIfLj2EEiiiiS1_IjLj3EES5_S5_S5_,comdat
	.globl	_ZL33flash_attn_stream_k_fixup_generalILi128ELi2ELi4EEvPfPK15HIP_vector_typeIfLj2EEiiiiS1_IjLj3EES5_S5_S5_ ; -- Begin function _ZL33flash_attn_stream_k_fixup_generalILi128ELi2ELi4EEvPfPK15HIP_vector_typeIfLj2EEiiiiS1_IjLj3EES5_S5_S5_
	.p2align	8
	.type	_ZL33flash_attn_stream_k_fixup_generalILi128ELi2ELi4EEvPfPK15HIP_vector_typeIfLj2EEiiiiS1_IjLj3EES5_S5_S5_,@function
_ZL33flash_attn_stream_k_fixup_generalILi128ELi2ELi4EEvPfPK15HIP_vector_typeIfLj2EEiiiiS1_IjLj3EES5_S5_S5_: ; @_ZL33flash_attn_stream_k_fixup_generalILi128ELi2ELi4EEvPfPK15HIP_vector_typeIfLj2EEiiiiS1_IjLj3EES5_S5_S5_
; %bb.0:
	s_load_dwordx4 s[12:15], s[4:5], 0x10
	s_load_dword s9, s[4:5], 0x50
	s_mov_b32 s2, 0
	s_waitcnt lgkmcnt(0)
	s_mul_hi_i32 s3, s15, s6
	s_cmp_lg_u64 s[2:3], 0
	s_mul_i32 s2, s15, s6
	s_cbranch_scc0 .LBB29_21
; %bb.1:
	v_cvt_f32_u32_e32 v1, s9
	v_cvt_f32_ubyte0_e32 v2, 0
	s_sub_u32 s10, 0, s9
	s_subb_u32 s11, 0, 0
	v_madmk_f32 v1, v2, 0x4f800000, v1
	v_rcp_f32_e32 v1, v1
	v_mul_f32_e32 v1, 0x5f7ffffc, v1
	v_mul_f32_e32 v2, 0x2f800000, v1
	v_trunc_f32_e32 v2, v2
	v_madmk_f32 v1, v2, 0xcf800000, v1
	v_cvt_u32_f32_e32 v2, v2
	v_cvt_u32_f32_e32 v1, v1
	v_readfirstlane_b32 s16, v2
	v_readfirstlane_b32 s17, v1
	s_mul_i32 s18, s10, s16
	s_mul_hi_u32 s20, s10, s17
	s_mul_i32 s19, s11, s17
	s_add_i32 s18, s20, s18
	s_add_i32 s18, s18, s19
	s_mul_i32 s21, s10, s17
	s_mul_hi_u32 s19, s17, s18
	s_mul_i32 s20, s17, s18
	s_mul_hi_u32 s17, s17, s21
	s_add_u32 s17, s17, s20
	s_addc_u32 s19, 0, s19
	s_mul_hi_u32 s22, s16, s21
	s_mul_i32 s21, s16, s21
	s_add_u32 s17, s17, s21
	s_mul_hi_u32 s20, s16, s18
	s_addc_u32 s17, s19, s22
	s_addc_u32 s19, s20, 0
	s_mul_i32 s18, s16, s18
	s_add_u32 s17, s17, s18
	s_addc_u32 s18, 0, s19
	v_add_co_u32_e32 v1, vcc, s17, v1
	s_cmp_lg_u64 vcc, 0
	s_addc_u32 s16, s16, s18
	v_readfirstlane_b32 s18, v1
	s_mul_i32 s17, s10, s16
	s_mul_hi_u32 s19, s10, s18
	s_add_i32 s17, s19, s17
	s_mul_i32 s11, s11, s18
	s_add_i32 s17, s17, s11
	s_mul_i32 s10, s10, s18
	s_mul_hi_u32 s19, s16, s10
	s_mul_i32 s20, s16, s10
	s_mul_i32 s22, s18, s17
	s_mul_hi_u32 s10, s18, s10
	s_mul_hi_u32 s21, s18, s17
	s_add_u32 s10, s10, s22
	s_addc_u32 s18, 0, s21
	s_add_u32 s10, s10, s20
	s_mul_hi_u32 s11, s16, s17
	s_addc_u32 s10, s18, s19
	s_addc_u32 s11, s11, 0
	s_mul_i32 s17, s16, s17
	s_add_u32 s10, s10, s17
	s_addc_u32 s11, 0, s11
	v_add_co_u32_e32 v1, vcc, s10, v1
	s_cmp_lg_u64 vcc, 0
	s_addc_u32 s18, s16, s11
	s_ashr_i32 s10, s3, 31
	s_add_u32 s16, s2, s10
	s_mov_b32 s11, s10
	s_addc_u32 s17, s3, s10
	s_xor_b64 s[16:17], s[16:17], s[10:11]
	v_readfirstlane_b32 s20, v1
	s_mul_i32 s19, s16, s18
	s_mul_hi_u32 s21, s16, s20
	s_mul_hi_u32 s3, s16, s18
	s_add_u32 s19, s21, s19
	s_addc_u32 s3, 0, s3
	s_mul_hi_u32 s22, s17, s20
	s_mul_i32 s20, s17, s20
	s_add_u32 s19, s19, s20
	s_mul_hi_u32 s21, s17, s18
	s_addc_u32 s3, s3, s22
	s_addc_u32 s19, s21, 0
	s_mul_i32 s18, s17, s18
	s_add_u32 s3, s3, s18
	s_addc_u32 s18, 0, s19
	s_add_u32 s19, s3, 1
	s_addc_u32 s20, s18, 0
	s_add_u32 s21, s3, 2
	s_mul_i32 s23, s9, s18
	s_mul_hi_u32 s24, s9, s3
	s_addc_u32 s22, s18, 0
	s_add_i32 s24, s24, s23
	s_mul_i32 s23, s9, s3
	v_mov_b32_e32 v1, s23
	v_sub_co_u32_e32 v1, vcc, s16, v1
	s_cmp_lg_u64 vcc, 0
	s_subb_u32 s16, s17, s24
	v_subrev_co_u32_e32 v2, vcc, s9, v1
	s_cmp_lg_u64 vcc, 0
	s_subb_u32 s17, s16, 0
	v_readfirstlane_b32 s23, v2
	s_cmp_ge_u32 s23, s9
	s_cselect_b32 s23, -1, 0
	s_cmp_eq_u32 s17, 0
	s_cselect_b32 s17, s23, -1
	s_cmp_lg_u32 s17, 0
	s_cselect_b32 s17, s22, s20
	v_readfirstlane_b32 s20, v1
	s_cselect_b32 s19, s21, s19
	s_cmp_ge_u32 s20, s9
	s_cselect_b32 s20, -1, 0
	s_cmp_eq_u32 s16, 0
	s_cselect_b32 s16, s20, -1
	s_cmp_lg_u32 s16, 0
	s_cselect_b32 s17, s17, s18
	s_cselect_b32 s16, s19, s3
	s_xor_b64 s[16:17], s[16:17], s[10:11]
	s_sub_u32 s20, s16, s10
	s_load_dwordx4 s[16:19], s[4:5], 0x44
	s_cbranch_execnz .LBB29_3
.LBB29_2:
	v_cvt_f32_u32_e32 v1, s9
	s_sub_i32 s0, 0, s9
	v_rcp_iflag_f32_e32 v1, v1
	v_mul_f32_e32 v1, 0x4f7ffffe, v1
	v_cvt_u32_f32_e32 v1, v1
	v_readfirstlane_b32 s1, v1
	s_mul_i32 s0, s0, s1
	s_mul_hi_u32 s0, s1, s0
	s_add_i32 s1, s1, s0
	s_mul_hi_u32 s0, s2, s1
	s_mul_i32 s3, s0, s9
	s_sub_i32 s2, s2, s3
	s_add_i32 s1, s0, 1
	s_sub_i32 s3, s2, s9
	s_cmp_ge_u32 s2, s9
	s_cselect_b32 s0, s1, s0
	s_cselect_b32 s2, s3, s2
	s_add_i32 s1, s0, 1
	s_cmp_ge_u32 s2, s9
	s_cselect_b32 s20, s1, s0
.LBB29_3:
	s_add_i32 s0, s6, 1
	s_mul_hi_i32 s3, s15, s0
	s_mov_b32 s2, 0
	s_cmp_lg_u64 s[2:3], 0
	s_mul_i32 s2, s15, s0
	s_cbranch_scc0 .LBB29_22
; %bb.4:
	v_cvt_f32_u32_e32 v1, s9
	v_cvt_f32_ubyte0_e32 v2, 0
	s_sub_u32 s10, 0, s9
	s_subb_u32 s11, 0, 0
	v_madmk_f32 v1, v2, 0x4f800000, v1
	v_rcp_f32_e32 v1, v1
	v_mul_f32_e32 v1, 0x5f7ffffc, v1
	v_mul_f32_e32 v2, 0x2f800000, v1
	v_trunc_f32_e32 v2, v2
	v_madmk_f32 v1, v2, 0xcf800000, v1
	v_cvt_u32_f32_e32 v2, v2
	v_cvt_u32_f32_e32 v1, v1
	s_waitcnt lgkmcnt(0)
	v_readfirstlane_b32 s19, v2
	v_readfirstlane_b32 s21, v1
	s_mul_i32 s22, s10, s19
	s_mul_hi_u32 s24, s10, s21
	s_mul_i32 s23, s11, s21
	s_add_i32 s22, s24, s22
	s_add_i32 s22, s22, s23
	s_mul_i32 s25, s10, s21
	s_mul_hi_u32 s23, s21, s22
	s_mul_i32 s24, s21, s22
	s_mul_hi_u32 s21, s21, s25
	s_add_u32 s21, s21, s24
	s_addc_u32 s23, 0, s23
	s_mul_hi_u32 s26, s19, s25
	s_mul_i32 s25, s19, s25
	s_add_u32 s21, s21, s25
	s_mul_hi_u32 s24, s19, s22
	s_addc_u32 s21, s23, s26
	s_addc_u32 s23, s24, 0
	s_mul_i32 s22, s19, s22
	s_add_u32 s21, s21, s22
	s_addc_u32 s22, 0, s23
	v_add_co_u32_e32 v1, vcc, s21, v1
	s_cmp_lg_u64 vcc, 0
	s_addc_u32 s19, s19, s22
	v_readfirstlane_b32 s22, v1
	s_mul_i32 s21, s10, s19
	s_mul_hi_u32 s23, s10, s22
	s_add_i32 s21, s23, s21
	s_mul_i32 s11, s11, s22
	s_add_i32 s21, s21, s11
	s_mul_i32 s10, s10, s22
	s_mul_hi_u32 s23, s19, s10
	s_mul_i32 s24, s19, s10
	s_mul_i32 s26, s22, s21
	s_mul_hi_u32 s10, s22, s10
	s_mul_hi_u32 s25, s22, s21
	s_add_u32 s10, s10, s26
	s_addc_u32 s22, 0, s25
	s_add_u32 s10, s10, s24
	s_mul_hi_u32 s11, s19, s21
	s_addc_u32 s10, s22, s23
	s_addc_u32 s11, s11, 0
	s_mul_i32 s21, s19, s21
	s_add_u32 s10, s10, s21
	s_addc_u32 s11, 0, s11
	v_add_co_u32_e32 v1, vcc, s10, v1
	s_cmp_lg_u64 vcc, 0
	s_addc_u32 s19, s19, s11
	s_ashr_i32 s10, s3, 31
	s_add_u32 s22, s2, s10
	s_mov_b32 s11, s10
	s_addc_u32 s23, s3, s10
	s_xor_b64 s[22:23], s[22:23], s[10:11]
	v_readfirstlane_b32 s21, v1
	s_mul_i32 s11, s22, s19
	s_mul_hi_u32 s24, s22, s21
	s_mul_hi_u32 s3, s22, s19
	s_add_u32 s11, s24, s11
	s_addc_u32 s3, 0, s3
	s_mul_hi_u32 s25, s23, s21
	s_mul_i32 s21, s23, s21
	s_add_u32 s11, s11, s21
	s_mul_hi_u32 s24, s23, s19
	s_addc_u32 s3, s3, s25
	s_addc_u32 s11, s24, 0
	s_mul_i32 s19, s23, s19
	s_add_u32 s3, s3, s19
	s_addc_u32 s11, 0, s11
	s_mul_i32 s11, s9, s11
	s_mul_hi_u32 s24, s9, s3
	s_add_i32 s24, s24, s11
	s_mul_i32 s11, s9, s3
	v_mov_b32_e32 v1, s11
	s_add_u32 s19, s3, 1
	s_add_u32 s21, s3, 2
	v_sub_co_u32_e32 v1, vcc, s22, v1
	s_cmp_lg_u64 vcc, 0
	s_subb_u32 s11, s23, s24
	v_subrev_co_u32_e32 v2, vcc, s9, v1
	s_cmp_lg_u64 vcc, 0
	s_subb_u32 s22, s11, 0
	v_cmp_le_u32_e32 vcc, s9, v2
	s_cmp_eq_u32 s22, 0
	v_cndmask_b32_e64 v2, 0, -1, vcc
	s_cselect_b64 vcc, -1, 0
	v_cndmask_b32_e32 v2, -1, v2, vcc
	v_mov_b32_e32 v3, s19
	v_mov_b32_e32 v4, s21
	v_cmp_ne_u32_e32 vcc, 0, v2
	v_cndmask_b32_e32 v2, v3, v4, vcc
	v_cmp_le_u32_e32 vcc, s9, v1
	s_cmp_eq_u32 s11, 0
	v_cndmask_b32_e64 v1, 0, -1, vcc
	s_cselect_b64 vcc, -1, 0
	v_cndmask_b32_e32 v1, -1, v1, vcc
	v_mov_b32_e32 v3, s3
	v_cmp_ne_u32_e32 vcc, 0, v1
	v_cndmask_b32_e32 v1, v3, v2, vcc
	v_xor_b32_e32 v1, s10, v1
	v_subrev_co_u32_e32 v2, vcc, s10, v1
	s_cbranch_execnz .LBB29_6
.LBB29_5:
	v_cvt_f32_u32_e32 v1, s9
	s_sub_i32 s0, 0, s9
	s_mov_b32 s1, 0
	v_rcp_iflag_f32_e32 v1, v1
	v_mul_f32_e32 v1, 0x4f7ffffe, v1
	v_cvt_u32_f32_e32 v1, v1
	v_readfirstlane_b32 s3, v1
	s_mul_i32 s0, s0, s3
	s_mul_hi_u32 s0, s3, s0
	s_add_i32 s3, s3, s0
	s_mul_hi_u32 s0, s2, s3
	s_mul_i32 s10, s0, s9
	s_sub_i32 s2, s2, s10
	s_add_i32 s3, s0, 1
	s_sub_i32 s10, s2, s9
	s_cmp_ge_u32 s2, s9
	s_cselect_b32 s0, s3, s0
	s_cselect_b32 s2, s10, s2
	s_add_i32 s3, s0, 1
	s_cmp_ge_u32 s2, s9
	s_cselect_b32 s0, s3, s0
	v_pk_mov_b32 v[2:3], s[0:1], s[0:1] op_sel:[0,1]
.LBB29_6:
	s_waitcnt lgkmcnt(0)
	s_mul_hi_u32 s0, s20, s16
	s_add_i32 s0, s0, s20
	v_mul_hi_u32 v1, v2, s16
	s_lshr_b32 s19, s0, s17
	v_add_u32_e32 v1, v1, v2
	s_mul_i32 s0, s19, s18
	v_lshrrev_b32_e32 v1, s17, v1
	s_cmp_eq_u32 s0, s20
	v_cmp_eq_u32_e64 s[0:1], s19, v1
	v_mul_lo_u32 v1, v1, s18
	v_cmp_eq_u32_e32 vcc, s20, v2
	s_cselect_b64 s[10:11], -1, 0
	v_cmp_ne_u32_e64 s[2:3], v1, v2
	s_and_b64 s[0:1], s[0:1], s[2:3]
	s_or_b64 s[2:3], vcc, s[10:11]
	s_or_b64 s[0:1], s[2:3], s[0:1]
	s_and_b64 vcc, exec, s[0:1]
	s_cbranch_vccnz .LBB29_24
; %bb.7:
	s_load_dwordx8 s[24:31], s[4:5], 0x20
	s_load_dword s0, s[4:5], 0x40
	s_mov_b32 s10, 0
	s_waitcnt lgkmcnt(0)
	s_mul_hi_u32 s1, s20, s24
	s_add_i32 s1, s1, s20
	s_lshr_b32 s11, s1, s25
	s_mul_i32 s1, s11, s26
	s_sub_i32 s1, s20, s1
	s_mul_hi_u32 s2, s1, s27
	s_add_i32 s2, s1, s2
	s_lshr_b32 s24, s2, s28
	s_mul_i32 s2, s24, s29
	s_sub_i32 s1, s1, s2
	;; [unrolled: 5-line block ×3, first 2 shown]
	s_mul_hi_u32 s1, s0, s16
	s_add_i32 s0, s0, s1
	s_lshr_b32 s26, s0, s17
	s_lshl_b32 s0, s26, 1
	s_lshl_b32 s25, s2, 2
	s_add_i32 s0, s0, s7
	s_cmp_lt_i32 s0, s12
	s_cselect_b64 s[0:1], -1, 0
	s_add_i32 s2, s25, s8
	s_cmp_lt_i32 s2, s14
	s_cselect_b64 s[2:3], -1, 0
	s_and_b64 s[0:1], s[0:1], s[2:3]
	s_andn2_b64 vcc, exec, s[0:1]
	s_cbranch_vccnz .LBB29_24
; %bb.8:
	s_load_dwordx4 s[0:3], s[4:5], 0x0
	s_lshl_b32 s21, s7, 2
	s_lshl_b32 s4, s9, 5
	s_mov_b32 s5, s10
	s_add_i32 s21, s21, s8
	s_lshl_b64 s[4:5], s[4:5], 2
	s_waitcnt lgkmcnt(0)
	s_add_u32 s22, s2, s4
	s_mul_i32 s4, s11, s12
	s_addc_u32 s23, s3, s5
	s_add_i32 s4, s4, s7
	s_mul_i32 s4, s4, s13
	s_mul_i32 s24, s24, s14
	s_add_i32 s4, s4, s8
	s_add_i32 s4, s4, s24
	s_mul_i32 s5, s13, s26
	s_add_i32 s4, s4, s25
	s_lshl_b32 s5, s5, 8
	s_lshl_b32 s4, s4, 7
	s_add_i32 s5, s5, s4
	v_or_b32_e32 v2, s5, v0
	v_ashrrev_i32_e32 v3, 31, v2
	v_lshlrev_b64 v[2:3], 2, v[2:3]
	v_mov_b32_e32 v1, s1
	v_add_co_u32_e32 v2, vcc, s0, v2
	v_addc_co_u32_e32 v3, vcc, v1, v3, vcc
	global_load_dword v5, v[2:3], off
	v_lshl_or_b32 v4, s21, 7, v0
	v_cvt_f32_u32_e32 v0, s9
	v_cvt_f32_ubyte0_e32 v1, 0
	s_lshl_b32 s0, s6, 3
	s_add_i32 s0, s21, s0
	v_mac_f32_e32 v0, 0x4f800000, v1
	v_rcp_f32_e32 v0, v0
	v_cvt_f32_u32_e32 v1, s9
	s_ashr_i32 s1, s0, 31
	s_lshl_b64 s[0:1], s[0:1], 3
	v_mul_f32_e32 v0, 0x5f7ffffc, v0
	v_rcp_iflag_f32_e32 v1, v1
	s_add_u32 s0, s2, s0
	v_mul_f32_e32 v9, 0x2f800000, v0
	s_addc_u32 s1, s3, s1
	v_trunc_f32_e32 v10, v9
	s_load_dwordx2 s[0:1], s[0:1], 0x0
	v_mac_f32_e32 v0, 0xcf800000, v10
	v_cvt_u32_f32_e32 v9, v0
	v_mul_f32_e32 v0, 0x4f7ffffe, v1
	v_cvt_u32_f32_e32 v10, v10
	v_cvt_u32_f32_e32 v11, v0
	s_add_i32 s8, s6, -1
	s_waitcnt lgkmcnt(0)
	v_mov_b32_e32 v6, s1
	v_mov_b32_e32 v7, s0
	;; [unrolled: 1-line block ×3, first 2 shown]
	s_mov_b32 s6, 0x3fb8aa3b
	s_mov_b32 s7, 0xc2ce8ed0
	;; [unrolled: 1-line block ×4, first 2 shown]
	v_mov_b32_e32 v12, 0x7f800000
	s_mul_hi_i32 s11, s8, s15
	s_cmp_lg_u64 s[10:11], 0
	s_mul_i32 s4, s8, s15
	s_cbranch_scc0 .LBB29_15
.LBB29_9:
	s_sub_u32 s0, 0, s9
	v_readfirstlane_b32 s5, v9
	v_readfirstlane_b32 s24, v10
	s_subb_u32 s1, 0, 0
	s_mul_hi_u32 s20, s0, s5
	s_mul_i32 s25, s0, s24
	s_mul_i32 s14, s1, s5
	s_add_i32 s20, s20, s25
	s_add_i32 s20, s20, s14
	s_mul_i32 s26, s0, s5
	s_mul_hi_u32 s14, s5, s20
	s_mul_i32 s25, s5, s20
	s_mul_hi_u32 s5, s5, s26
	s_add_u32 s5, s5, s25
	s_addc_u32 s14, 0, s14
	s_mul_hi_u32 s27, s24, s26
	s_mul_i32 s26, s24, s26
	s_add_u32 s5, s5, s26
	s_mul_hi_u32 s25, s24, s20
	s_addc_u32 s5, s14, s27
	s_addc_u32 s14, s25, 0
	s_mul_i32 s20, s24, s20
	s_add_u32 s5, s5, s20
	s_addc_u32 s14, 0, s14
	v_add_co_u32_e32 v0, vcc, s5, v9
	s_cmp_lg_u64 vcc, 0
	s_addc_u32 s5, s24, s14
	v_readfirstlane_b32 s20, v0
	s_mul_i32 s14, s0, s5
	s_mul_hi_u32 s24, s0, s20
	s_add_i32 s14, s24, s14
	s_mul_i32 s1, s1, s20
	s_add_i32 s14, s14, s1
	s_mul_i32 s0, s0, s20
	s_mul_hi_u32 s24, s5, s0
	s_mul_i32 s25, s5, s0
	s_mul_i32 s27, s20, s14
	s_mul_hi_u32 s0, s20, s0
	s_mul_hi_u32 s26, s20, s14
	s_add_u32 s0, s0, s27
	s_addc_u32 s20, 0, s26
	s_add_u32 s0, s0, s25
	s_mul_hi_u32 s1, s5, s14
	s_addc_u32 s0, s20, s24
	s_addc_u32 s1, s1, 0
	s_mul_i32 s14, s5, s14
	s_add_u32 s0, s0, s14
	s_addc_u32 s1, 0, s1
	v_add_co_u32_e32 v0, vcc, s0, v0
	s_cmp_lg_u64 vcc, 0
	s_addc_u32 s5, s5, s1
	s_ashr_i32 s0, s11, 31
	s_add_u32 s24, s4, s0
	s_mov_b32 s1, s0
	s_addc_u32 s25, s11, s0
	s_xor_b64 s[24:25], s[24:25], s[0:1]
	v_readfirstlane_b32 s14, v0
	s_mul_i32 s11, s24, s5
	s_mul_hi_u32 s20, s24, s14
	s_mul_hi_u32 s1, s24, s5
	s_add_u32 s11, s20, s11
	s_addc_u32 s1, 0, s1
	s_mul_hi_u32 s26, s25, s14
	s_mul_i32 s14, s25, s14
	s_add_u32 s11, s11, s14
	s_mul_hi_u32 s20, s25, s5
	s_addc_u32 s1, s1, s26
	s_addc_u32 s11, s20, 0
	s_mul_i32 s5, s25, s5
	s_add_u32 s1, s1, s5
	s_addc_u32 s5, 0, s11
	s_mul_i32 s5, s9, s5
	s_mul_hi_u32 s20, s9, s1
	s_add_i32 s20, s20, s5
	s_mul_i32 s5, s9, s1
	v_mov_b32_e32 v0, s5
	s_add_u32 s11, s1, 1
	s_add_u32 s14, s1, 2
	v_sub_co_u32_e32 v0, vcc, s24, v0
	s_cmp_lg_u64 vcc, 0
	s_subb_u32 s5, s25, s20
	v_subrev_co_u32_e32 v1, vcc, s9, v0
	s_cmp_lg_u64 vcc, 0
	s_subb_u32 s20, s5, 0
	v_cmp_le_u32_e32 vcc, s9, v1
	s_cmp_eq_u32 s20, 0
	v_cndmask_b32_e64 v1, 0, -1, vcc
	s_cselect_b64 vcc, -1, 0
	v_cndmask_b32_e32 v1, -1, v1, vcc
	v_mov_b32_e32 v13, s11
	v_mov_b32_e32 v14, s14
	v_cmp_ne_u32_e32 vcc, 0, v1
	v_cndmask_b32_e32 v1, v13, v14, vcc
	v_cmp_le_u32_e32 vcc, s9, v0
	s_cmp_eq_u32 s5, 0
	v_cndmask_b32_e64 v0, 0, -1, vcc
	s_cselect_b64 vcc, -1, 0
	v_cndmask_b32_e32 v0, -1, v0, vcc
	v_mov_b32_e32 v13, s1
	v_cmp_ne_u32_e32 vcc, 0, v0
	v_cndmask_b32_e32 v0, v13, v1, vcc
	v_xor_b32_e32 v0, s0, v0
	v_subrev_co_u32_e32 v0, vcc, s0, v0
	s_cbranch_execnz .LBB29_11
.LBB29_10:
	s_sub_i32 s0, 0, s9
	v_mul_lo_u32 v0, s0, v11
	v_mul_hi_u32 v0, v11, v0
	v_add_u32_e32 v0, v11, v0
	v_mul_hi_u32 v0, s4, v0
	v_mul_lo_u32 v13, v0, s9
	v_sub_u32_e32 v13, s4, v13
	v_add_u32_e32 v1, 1, v0
	v_subrev_u32_e32 v14, s9, v13
	v_cmp_le_u32_e32 vcc, s9, v13
	v_cndmask_b32_e32 v13, v13, v14, vcc
	v_cndmask_b32_e32 v0, v0, v1, vcc
	v_add_u32_e32 v1, 1, v0
	v_cmp_le_u32_e32 vcc, s9, v13
	v_cndmask_b32_e32 v0, v0, v1, vcc
.LBB29_11:
	v_cmp_ne_u32_e32 vcc, v8, v0
	s_cbranch_vccz .LBB29_14
; %bb.12:
	s_add_i32 s0, s8, s9
	s_lshl_b32 s0, s0, 3
	v_mul_hi_u32 v1, v0, s16
	s_add_i32 s0, s0, s21
	s_mov_b32 s1, s10
	v_add_u32_e32 v1, v1, v0
	s_lshl_b64 s[0:1], s[0:1], 3
	v_lshrrev_b32_e32 v1, s17, v1
	s_add_u32 s4, s2, s0
	v_mul_lo_u32 v13, v1, s18
	s_addc_u32 s5, s3, s1
	v_cmp_eq_u32_e32 vcc, v13, v0
	v_cmp_gt_u32_e64 s[0:1], s19, v1
	s_or_b64 s[0:1], s[0:1], vcc
	s_and_b64 vcc, exec, s[0:1]
	s_cbranch_vccnz .LBB29_16
; %bb.13:
	s_add_i32 s11, s8, -1
	s_mov_b64 s[0:1], 0
	s_branch .LBB29_17
.LBB29_14:
                                        ; implicit-def: $sgpr0_sgpr1
                                        ; implicit-def: $vgpr14
                                        ; implicit-def: $vgpr1
                                        ; implicit-def: $vgpr13
                                        ; implicit-def: $sgpr11
                                        ; implicit-def: $vgpr0
	s_branch .LBB29_18
.LBB29_15:
                                        ; implicit-def: $vgpr0_vgpr1
	s_branch .LBB29_10
.LBB29_16:
	s_mov_b64 s[0:1], -1
	s_mov_b32 s11, s8
	v_mov_b32_e32 v0, v8
.LBB29_17:
	v_lshl_add_u32 v14, s8, 10, v4
	v_ashrrev_i32_e32 v15, 31, v14
	v_lshlrev_b64 v[14:15], 2, v[14:15]
	v_mov_b32_e32 v1, s23
	v_add_co_u32_e32 v14, vcc, s22, v14
	v_addc_co_u32_e32 v15, vcc, v1, v15, vcc
	global_load_dword v14, v[14:15], off
	s_load_dwordx2 s[4:5], s[4:5], 0x0
	v_max_f32_e32 v1, v7, v7
	s_waitcnt lgkmcnt(0)
	v_max_f32_e64 v13, s4, s4
	v_max_f32_e32 v1, v1, v13
	v_sub_f32_e32 v13, v7, v1
	v_sub_f32_e32 v15, s4, v1
	v_mul_f32_e32 v16, 0x3fb8aa3b, v13
	v_mul_f32_e32 v17, 0x3fb8aa3b, v15
	v_fma_f32 v18, v13, s6, -v16
	v_rndne_f32_e32 v19, v16
	v_fma_f32 v20, v15, s6, -v17
	v_rndne_f32_e32 v21, v17
	v_fmac_f32_e32 v18, 0x32a5705f, v13
	v_sub_f32_e32 v16, v16, v19
	v_fmac_f32_e32 v20, 0x32a5705f, v15
	v_sub_f32_e32 v17, v17, v21
	v_add_f32_e32 v16, v16, v18
	v_cvt_i32_f32_e32 v19, v19
	v_add_f32_e32 v17, v17, v20
	v_exp_f32_e32 v16, v16
	v_cvt_i32_f32_e32 v21, v21
	v_exp_f32_e32 v17, v17
	v_cmp_ngt_f32_e32 vcc, s7, v13
	v_ldexp_f32 v16, v16, v19
	v_cndmask_b32_e32 v16, 0, v16, vcc
	v_ldexp_f32 v17, v17, v21
	v_cmp_ngt_f32_e32 vcc, s7, v15
	v_cndmask_b32_e32 v17, 0, v17, vcc
	v_cmp_nlt_f32_e32 vcc, s12, v13
	v_cndmask_b32_e32 v16, v12, v16, vcc
	v_cmp_nlt_f32_e32 vcc, s12, v15
	v_cndmask_b32_e32 v17, v12, v17, vcc
	v_cmp_le_f32_e32 vcc, s13, v13
	v_cndmask_b32_e32 v16, 0, v16, vcc
	v_cmp_le_f32_e32 vcc, s13, v15
	v_cndmask_b32_e32 v15, 0, v17, vcc
	v_mul_f32_e32 v13, s5, v15
	v_fmac_f32_e32 v13, v6, v16
	s_waitcnt vmcnt(0)
	v_mul_f32_e32 v14, v14, v15
	v_fmac_f32_e32 v14, v5, v16
	s_cbranch_execnz .LBB29_19
.LBB29_18:
	s_add_i32 s11, s8, -1
	s_mov_b64 s[0:1], 0
	v_mov_b32_e32 v0, v8
	v_mov_b32_e32 v13, v6
	;; [unrolled: 1-line block ×3, first 2 shown]
	s_waitcnt vmcnt(0)
	v_mov_b32_e32 v14, v5
.LBB29_19:
	s_andn2_b64 vcc, exec, s[0:1]
	s_cbranch_vccz .LBB29_23
; %bb.20:
	v_mov_b32_e32 v8, v0
	s_mov_b32 s8, s11
	v_mov_b32_e32 v6, v13
	v_mov_b32_e32 v7, v1
	s_waitcnt vmcnt(0)
	v_mov_b32_e32 v5, v14
	s_mul_hi_i32 s11, s8, s15
	s_cmp_lg_u64 s[10:11], 0
	s_mul_i32 s4, s8, s15
	s_cbranch_scc1 .LBB29_9
	s_branch .LBB29_15
.LBB29_21:
                                        ; implicit-def: $sgpr20_sgpr21
	s_load_dwordx4 s[16:19], s[4:5], 0x44
	s_branch .LBB29_2
.LBB29_22:
                                        ; implicit-def: $vgpr2_vgpr3
	s_branch .LBB29_5
.LBB29_23:
	v_div_scale_f32 v0, s[0:1], v13, v13, v14
	v_rcp_f32_e32 v1, v0
	v_div_scale_f32 v4, vcc, v14, v13, v14
	s_waitcnt vmcnt(0)
	v_fma_f32 v5, -v0, v1, 1.0
	v_fmac_f32_e32 v1, v5, v1
	v_mul_f32_e32 v5, v4, v1
	v_fma_f32 v6, -v0, v5, v4
	v_fmac_f32_e32 v5, v6, v1
	v_fma_f32 v0, -v0, v5, v4
	v_div_fmas_f32 v0, v0, v1, v5
	v_div_fixup_f32 v0, v0, v13, v14
	global_store_dword v[2:3], v0, off
.LBB29_24:
	s_endpgm
	.section	.rodata,"a",@progbits
	.p2align	6, 0x0
	.amdhsa_kernel _ZL33flash_attn_stream_k_fixup_generalILi128ELi2ELi4EEvPfPK15HIP_vector_typeIfLj2EEiiiiS1_IjLj3EES5_S5_S5_
		.amdhsa_group_segment_fixed_size 0
		.amdhsa_private_segment_fixed_size 0
		.amdhsa_kernarg_size 336
		.amdhsa_user_sgpr_count 6
		.amdhsa_user_sgpr_private_segment_buffer 1
		.amdhsa_user_sgpr_dispatch_ptr 0
		.amdhsa_user_sgpr_queue_ptr 0
		.amdhsa_user_sgpr_kernarg_segment_ptr 1
		.amdhsa_user_sgpr_dispatch_id 0
		.amdhsa_user_sgpr_flat_scratch_init 0
		.amdhsa_user_sgpr_kernarg_preload_length 0
		.amdhsa_user_sgpr_kernarg_preload_offset 0
		.amdhsa_user_sgpr_private_segment_size 0
		.amdhsa_uses_dynamic_stack 0
		.amdhsa_system_sgpr_private_segment_wavefront_offset 0
		.amdhsa_system_sgpr_workgroup_id_x 1
		.amdhsa_system_sgpr_workgroup_id_y 1
		.amdhsa_system_sgpr_workgroup_id_z 1
		.amdhsa_system_sgpr_workgroup_info 0
		.amdhsa_system_vgpr_workitem_id 0
		.amdhsa_next_free_vgpr 22
		.amdhsa_next_free_sgpr 32
		.amdhsa_accum_offset 24
		.amdhsa_reserve_vcc 1
		.amdhsa_reserve_flat_scratch 0
		.amdhsa_float_round_mode_32 0
		.amdhsa_float_round_mode_16_64 0
		.amdhsa_float_denorm_mode_32 3
		.amdhsa_float_denorm_mode_16_64 3
		.amdhsa_dx10_clamp 1
		.amdhsa_ieee_mode 1
		.amdhsa_fp16_overflow 0
		.amdhsa_tg_split 0
		.amdhsa_exception_fp_ieee_invalid_op 0
		.amdhsa_exception_fp_denorm_src 0
		.amdhsa_exception_fp_ieee_div_zero 0
		.amdhsa_exception_fp_ieee_overflow 0
		.amdhsa_exception_fp_ieee_underflow 0
		.amdhsa_exception_fp_ieee_inexact 0
		.amdhsa_exception_int_div_zero 0
	.end_amdhsa_kernel
	.section	.text._ZL33flash_attn_stream_k_fixup_generalILi128ELi2ELi4EEvPfPK15HIP_vector_typeIfLj2EEiiiiS1_IjLj3EES5_S5_S5_,"axG",@progbits,_ZL33flash_attn_stream_k_fixup_generalILi128ELi2ELi4EEvPfPK15HIP_vector_typeIfLj2EEiiiiS1_IjLj3EES5_S5_S5_,comdat
.Lfunc_end29:
	.size	_ZL33flash_attn_stream_k_fixup_generalILi128ELi2ELi4EEvPfPK15HIP_vector_typeIfLj2EEiiiiS1_IjLj3EES5_S5_S5_, .Lfunc_end29-_ZL33flash_attn_stream_k_fixup_generalILi128ELi2ELi4EEvPfPK15HIP_vector_typeIfLj2EEiiiiS1_IjLj3EES5_S5_S5_
                                        ; -- End function
	.section	.AMDGPU.csdata,"",@progbits
; Kernel info:
; codeLenInByte = 2824
; NumSgprs: 36
; NumVgprs: 22
; NumAgprs: 0
; TotalNumVgprs: 22
; ScratchSize: 0
; MemoryBound: 0
; FloatMode: 240
; IeeeMode: 1
; LDSByteSize: 0 bytes/workgroup (compile time only)
; SGPRBlocks: 4
; VGPRBlocks: 2
; NumSGPRsForWavesPerEU: 36
; NumVGPRsForWavesPerEU: 22
; AccumOffset: 24
; Occupancy: 8
; WaveLimiterHint : 0
; COMPUTE_PGM_RSRC2:SCRATCH_EN: 0
; COMPUTE_PGM_RSRC2:USER_SGPR: 6
; COMPUTE_PGM_RSRC2:TRAP_HANDLER: 0
; COMPUTE_PGM_RSRC2:TGID_X_EN: 1
; COMPUTE_PGM_RSRC2:TGID_Y_EN: 1
; COMPUTE_PGM_RSRC2:TGID_Z_EN: 1
; COMPUTE_PGM_RSRC2:TIDIG_COMP_CNT: 0
; COMPUTE_PGM_RSRC3_GFX90A:ACCUM_OFFSET: 5
; COMPUTE_PGM_RSRC3_GFX90A:TG_SPLIT: 0
	.section	.text._ZL15flash_attn_tileILi128ELi128ELi1ELi4ELb0EEvPKcS1_S1_S1_S1_PKiPfP15HIP_vector_typeIfLj2EEffffjfiS5_IjLj3EEiiiiiiiiiiiliiliiiiil,"axG",@progbits,_ZL15flash_attn_tileILi128ELi128ELi1ELi4ELb0EEvPKcS1_S1_S1_S1_PKiPfP15HIP_vector_typeIfLj2EEffffjfiS5_IjLj3EEiiiiiiiiiiiliiliiiiil,comdat
	.globl	_ZL15flash_attn_tileILi128ELi128ELi1ELi4ELb0EEvPKcS1_S1_S1_S1_PKiPfP15HIP_vector_typeIfLj2EEffffjfiS5_IjLj3EEiiiiiiiiiiiliiliiiiil ; -- Begin function _ZL15flash_attn_tileILi128ELi128ELi1ELi4ELb0EEvPKcS1_S1_S1_S1_PKiPfP15HIP_vector_typeIfLj2EEffffjfiS5_IjLj3EEiiiiiiiiiiiliiliiiiil
	.p2align	8
	.type	_ZL15flash_attn_tileILi128ELi128ELi1ELi4ELb0EEvPKcS1_S1_S1_S1_PKiPfP15HIP_vector_typeIfLj2EEffffjfiS5_IjLj3EEiiiiiiiiiiiliiliiiiil,@function
_ZL15flash_attn_tileILi128ELi128ELi1ELi4ELb0EEvPKcS1_S1_S1_S1_PKiPfP15HIP_vector_typeIfLj2EEffffjfiS5_IjLj3EEiiiiiiiiiiiliiliiiiil: ; @_ZL15flash_attn_tileILi128ELi128ELi1ELi4ELb0EEvPKcS1_S1_S1_S1_PKiPfP15HIP_vector_typeIfLj2EEffffjfiS5_IjLj3EEiiiiiiiiiiiliiliiiiil
; %bb.0:
	s_load_dwordx4 s[28:31], s[4:5], 0x5c
	s_load_dwordx2 s[34:35], s[4:5], 0x80
	s_load_dwordx16 s[12:27], s[4:5], 0x0
	s_mov_b64 s[36:37], 0
	s_waitcnt lgkmcnt(0)
	s_ashr_i32 s0, s31, 31
	s_lshr_b32 s0, s0, 30
	s_add_i32 s0, s31, s0
	s_ashr_i32 s0, s0, 2
	v_cvt_f32_u32_e32 v1, s0
	s_sub_i32 s1, 0, s0
	v_rcp_iflag_f32_e32 v1, v1
	v_mul_f32_e32 v1, 0x4f7ffffe, v1
	v_cvt_u32_f32_e32 v1, v1
	v_readfirstlane_b32 s2, v1
	s_mul_i32 s1, s1, s2
	s_mul_hi_u32 s1, s2, s1
	s_add_i32 s2, s2, s1
	s_mul_hi_u32 s1, s8, s2
	s_mul_i32 s2, s1, s0
	s_sub_i32 s2, s8, s2
	s_add_i32 s3, s1, 1
	s_sub_i32 s9, s2, s0
	s_cmp_ge_u32 s2, s0
	s_cselect_b32 s1, s3, s1
	s_cselect_b32 s2, s9, s2
	s_add_i32 s3, s1, 1
	s_cmp_ge_u32 s2, s0
	s_cselect_b32 s33, s3, s1
	s_abs_i32 s0, s35
	v_cvt_f32_u32_e32 v1, s0
	s_lshl_b32 s1, s8, 2
	s_mul_i32 s8, s33, s31
	s_xor_b32 s2, s31, s35
	v_rcp_iflag_f32_e32 v1, v1
	s_sub_i32 s9, 0, s0
	s_sub_i32 s35, s1, s8
	s_abs_i32 s3, s31
	v_mul_f32_e32 v1, 0x4f7ffffe, v1
	v_cvt_u32_f32_e32 v1, v1
	s_ashr_i32 s2, s2, 31
	v_readfirstlane_b32 s1, v1
	s_mul_i32 s9, s9, s1
	s_mul_hi_u32 s8, s1, s9
	s_add_i32 s1, s1, s8
	s_mul_hi_u32 s1, s3, s1
	s_mul_i32 s8, s1, s0
	s_sub_i32 s3, s3, s8
	s_add_i32 s9, s1, 1
	s_sub_i32 s8, s3, s0
	s_cmp_ge_u32 s3, s0
	s_cselect_b32 s1, s9, s1
	s_cselect_b32 s3, s8, s3
	s_add_i32 s8, s1, 1
	s_cmp_ge_u32 s3, s0
	s_cselect_b32 s0, s8, s1
	s_xor_b32 s0, s0, s2
	s_sub_i32 s9, s0, s2
	s_abs_i32 s8, s9
	v_cvt_f32_u32_e32 v1, s8
	s_load_dwordx2 s[0:1], s[4:5], 0xb8
	s_cmp_eq_u64 s[18:19], 0
	v_rcp_iflag_f32_e32 v1, v1
	v_mul_f32_e32 v1, 0x4f7ffffe, v1
	v_cvt_u32_f32_e32 v1, v1
	v_readfirstlane_b32 s10, v1
	s_cbranch_scc1 .LBB30_2
; %bb.1:
	s_waitcnt lgkmcnt(0)
	s_abs_i32 s0, s0
	v_cvt_f32_u32_e32 v1, s0
	s_sub_i32 s37, 0, s0
	s_abs_i32 s36, s33
	s_ashr_i32 s11, s33, 31
	v_rcp_iflag_f32_e32 v1, v1
	s_load_dwordx2 s[2:3], s[4:5], 0xc8
	v_mul_f32_e32 v1, 0x4f7ffffe, v1
	v_cvt_u32_f32_e32 v1, v1
	v_readfirstlane_b32 s38, v1
	s_mul_i32 s37, s37, s38
	s_mul_hi_u32 s37, s38, s37
	s_add_i32 s38, s38, s37
	s_mul_hi_u32 s37, s36, s38
	s_mul_i32 s37, s37, s0
	s_sub_i32 s36, s36, s37
	s_sub_i32 s37, s36, s0
	s_cmp_ge_u32 s36, s0
	s_cselect_b32 s36, s37, s36
	s_sub_i32 s37, s36, s0
	s_cmp_ge_u32 s36, s0
	s_cselect_b32 s0, s37, s36
	s_xor_b32 s0, s0, s11
	s_sub_i32 s0, s0, s11
	s_ashr_i32 s11, s0, 31
	s_waitcnt lgkmcnt(0)
	s_mul_i32 s3, s0, s3
	s_mul_hi_u32 s36, s0, s2
	s_add_i32 s3, s36, s3
	s_mul_i32 s11, s11, s2
	s_add_i32 s3, s3, s11
	s_mul_i32 s0, s0, s2
	s_add_u32 s36, s18, s0
	s_addc_u32 s37, s19, s3
.LBB30_2:
	s_load_dwordx4 s[40:43], s[4:5], 0x70
	v_bfe_u32 v1, v0, 10, 10
	v_and_b32_e32 v53, 3, v1
	v_lshrrev_b32_e32 v6, 2, v1
	v_add_u32_e32 v17, s6, v6
	s_waitcnt lgkmcnt(0)
	s_mul_i32 s0, s33, s42
	s_ashr_i32 s3, s0, 31
	s_mul_i32 s2, s35, s41
	s_add_u32 s0, s12, s0
	s_addc_u32 s3, s13, s3
	s_ashr_i32 s11, s2, 31
	s_add_u32 s0, s0, s2
	s_addc_u32 s11, s3, s11
	s_ashr_i32 s12, s41, 31
	v_mov_b32_e32 v2, s41
	v_alignbit_b32 v2, s12, v2, 2
	v_mad_u64_u32 v[4:5], s[2:3], v2, v53, 0
	v_mov_b32_e32 v2, v5
	s_lshr_b32 s2, s12, 2
	v_mad_u64_u32 v[2:3], s[2:3], s2, v53, v[2:3]
	v_mov_b32_e32 v5, v2
	v_mul_hi_u32 v2, s28, v17
	v_add_u32_e32 v2, v17, v2
	v_lshrrev_b32_e32 v2, s29, v2
	v_mul_lo_u32 v2, v2, s30
	s_ashr_i32 s12, s40, 31
	v_mov_b32_e32 v3, s40
	v_sub_u32_e32 v2, v17, v2
	v_alignbit_b32 v3, s12, v3, 2
	v_mad_u64_u32 v[6:7], s[2:3], v3, v2, 0
	v_mov_b32_e32 v8, v7
	s_lshr_b32 s2, s12, 2
	v_mad_u64_u32 v[8:9], s[2:3], s2, v2, v[8:9]
	v_lshlrev_b64 v[4:5], 2, v[4:5]
	v_mov_b32_e32 v7, v8
	v_and_b32_e32 v16, 0x3ff, v0
	v_mov_b32_e32 v0, s11
	v_add_co_u32_e32 v3, vcc, s0, v4
	v_addc_co_u32_e32 v0, vcc, v0, v5, vcc
	v_lshlrev_b64 v[4:5], 2, v[6:7]
	v_add_co_u32_e32 v3, vcc, v3, v4
	v_addc_co_u32_e32 v0, vcc, v0, v5, vcc
	v_lshlrev_b32_e32 v4, 4, v16
	v_add_co_u32_e32 v4, vcc, v3, v4
	v_addc_co_u32_e32 v5, vcc, 0, v0, vcc
	global_load_dwordx4 v[4:7], v[4:5], off
	s_load_dword s0, s[4:5], 0x40
	v_lshlrev_b32_e32 v0, 6, v1
	v_lshlrev_b32_e32 v3, 1, v16
	v_add_lshl_u32 v0, v0, v3, 2
	s_cmp_eq_u64 s[22:23], 0
	s_waitcnt vmcnt(0) lgkmcnt(0)
	v_pk_mul_f32 v[4:5], v[4:5], s[0:1] op_sel_hi:[1,0]
	v_pk_mul_f32 v[6:7], v[6:7], s[0:1] op_sel_hi:[1,0]
	v_cvt_f16_f32_e32 v8, v5
	v_cvt_f16_f32_e32 v5, v7
	;; [unrolled: 1-line block ×4, first 2 shown]
	v_pack_b32_f16 v5, v6, v5
	v_pack_b32_f16 v4, v4, v8
	ds_write_b64 v0, v[4:5] offset:17408
	s_waitcnt lgkmcnt(0)
	s_barrier
	s_cbranch_scc1 .LBB30_4
; %bb.3:
	s_load_dword s0, s[4:5], 0xd0
	s_mov_b32 s3, 0
	s_waitcnt lgkmcnt(0)
	s_mul_i32 s0, s0, s33
	s_add_i32 s2, s0, s6
	s_lshl_b64 s[2:3], s[2:3], 2
	s_add_u32 s2, s22, s2
	s_addc_u32 s3, s23, s3
	s_load_dword s34, s[2:3], 0x0
.LBB30_4:
	s_lshl_b32 s6, s7, 6
	s_waitcnt lgkmcnt(0)
	s_cmp_lt_i32 s6, s34
	v_mbcnt_lo_u32_b32 v0, -1, 0
	s_cbranch_scc1 .LBB30_6
; %bb.5:
	v_mbcnt_hi_u32_b32 v19, -1, v0
	v_and_b32_e32 v3, 0x60, v19
	s_mov_b32 s0, 0
	v_add_u32_e32 v56, 32, v3
	v_xor_b32_e32 v66, 16, v19
	v_xor_b32_e32 v64, 8, v19
	;; [unrolled: 1-line block ×5, first 2 shown]
	s_mov_b64 s[2:3], 0
	s_mov_b32 s11, 0xfeffffff
	s_branch .LBB30_7
.LBB30_6:
	s_mov_b64 s[2:3], -1
                                        ; implicit-def: $sgpr11
                                        ; implicit-def: $sgpr0
                                        ; implicit-def: $vgpr19
                                        ; implicit-def: $vgpr56
                                        ; implicit-def: $vgpr66
                                        ; implicit-def: $vgpr64
                                        ; implicit-def: $vgpr63
                                        ; implicit-def: $vgpr61
                                        ; implicit-def: $vgpr60
.LBB30_7:
	v_lshlrev_b32_e32 v54, 2, v16
	s_andn2_b64 vcc, exec, s[2:3]
	v_mov_b32_e32 v52, s11
	v_mov_b32_e32 v94, s0
	;; [unrolled: 1-line block ×4, first 2 shown]
	s_cbranch_vccnz .LBB30_10
; %bb.8:
	s_load_dwordx2 s[2:3], s[4:5], 0x8c
	s_load_dwordx4 s[40:43], s[4:5], 0x98
	s_sub_i32 s0, 0, s8
	s_mul_i32 s0, s0, s10
	s_mul_hi_u32 s0, s10, s0
	s_waitcnt lgkmcnt(0)
	s_ashr_i32 s23, s2, 2
	s_ashr_i32 s2, s33, 31
	s_mul_i32 s18, s33, s41
	s_mul_hi_u32 s19, s33, s40
	s_add_i32 s18, s19, s18
	s_mul_i32 s19, s2, s40
	s_abs_i32 s12, s35
	s_add_i32 s10, s10, s0
	s_ashr_i32 s13, s35, 31
	s_ashr_i32 s9, s9, 31
	;; [unrolled: 1-line block ×4, first 2 shown]
	s_add_i32 s18, s18, s19
	s_mul_i32 s19, s33, s40
	s_mul_hi_u32 s0, s12, s10
	s_add_u32 s14, s14, s19
	s_addc_u32 s15, s15, s18
	s_xor_b32 s9, s13, s9
	s_mul_i32 s13, s0, s8
	s_sub_i32 s12, s12, s13
	s_add_i32 s13, s0, 1
	s_sub_i32 s18, s12, s8
	s_cmp_ge_u32 s12, s8
	s_cselect_b32 s0, s13, s0
	s_cselect_b32 s12, s18, s12
	s_add_i32 s13, s0, 1
	s_cmp_ge_u32 s12, s8
	s_cselect_b32 s0, s13, s0
	s_load_dwordx2 s[10:11], s[4:5], 0xa8
	s_xor_b32 s0, s0, s9
	s_sub_i32 s0, s0, s9
	s_mul_i32 s3, s0, s3
	s_ashr_i32 s8, s3, 31
	s_add_u32 s28, s14, s3
	s_addc_u32 s29, s15, s8
	s_waitcnt lgkmcnt(0)
	s_mul_i32 s3, s33, s11
	s_mul_hi_u32 s8, s33, s10
	s_add_i32 s3, s8, s3
	s_mul_i32 s2, s2, s10
	s_add_i32 s3, s3, s2
	s_mul_i32 s2, s33, s10
	s_add_u32 s2, s16, s2
	s_mul_i32 s0, s0, s43
	s_addc_u32 s3, s17, s3
	s_ashr_i32 s8, s0, 31
	v_lshrrev_b32_e32 v3, 4, v16
	v_and_b32_e32 v4, 60, v54
	s_add_u32 s38, s2, s0
	v_lshl_add_u32 v3, v1, 1, v3
	v_lshlrev_b32_e32 v5, 2, v4
	s_movk_i32 s0, 0x110
	s_addc_u32 s39, s3, s8
	v_mad_u32_u24 v57, v3, s0, v5
	v_mul_lo_u32 v6, s23, v3
	s_lshl_b32 s0, s23, 3
	v_add_u32_e32 v8, s0, v6
	v_add_u32_e32 v10, s0, v8
	;; [unrolled: 1-line block ×6, first 2 shown]
	v_mov_b32_e32 v18, 0x4400
	v_add_u32_e32 v34, s0, v32
	v_lshl_add_u32 v71, v1, 8, v18
	v_mad_u64_u32 v[18:19], s[0:1], v2, s1, v[16:17]
	v_mov_b32_e32 v2, 0x4800
	v_lshl_add_u32 v73, v1, 7, v2
	v_mul_lo_u32 v2, s22, v3
	s_lshl_b32 s0, s22, 3
	v_add_u32_e32 v38, s0, v2
	v_add_u32_e32 v40, s0, v38
	;; [unrolled: 1-line block ×7, first 2 shown]
	v_mbcnt_hi_u32_b32 v19, -1, v0
	v_ashrrev_i32_e32 v7, 31, v6
	v_ashrrev_i32_e32 v9, 31, v8
	v_ashrrev_i32_e32 v11, 31, v10
	v_ashrrev_i32_e32 v13, 31, v12
	v_ashrrev_i32_e32 v15, 31, v14
	v_ashrrev_i32_e32 v31, 31, v30
	v_ashrrev_i32_e32 v33, 31, v32
	v_ashrrev_i32_e32 v35, 31, v34
	v_lshl_or_b32 v75, v3, 8, v5
	v_ashrrev_i32_e32 v3, 31, v2
	v_ashrrev_i32_e32 v39, 31, v38
	;; [unrolled: 1-line block ×8, first 2 shown]
	v_lshlrev_b32_e32 v83, 3, v16
	s_add_u32 s18, s4, 0xd0
	v_and_b32_e32 v0, 0x60, v19
	v_mov_b32_e32 v55, 0
	v_add_u32_e32 v58, 0x880, v57
	v_add_u32_e32 v59, 0x1100, v57
	;; [unrolled: 1-line block ×7, first 2 shown]
	v_mul_u32_u24_e32 v72, 0x110, v16
	v_lshl_add_u32 v74, v16, 1, v73
	v_add_u32_e32 v76, 0x800, v75
	v_add_u32_e32 v77, 0x1000, v75
	;; [unrolled: 1-line block ×7, first 2 shown]
	s_addc_u32 s19, s5, 0
	v_mov_b32_e32 v52, 0xfeffffff
	v_lshlrev_b64 v[20:21], 2, v[6:7]
	v_lshlrev_b32_e32 v84, 2, v4
	v_lshlrev_b64 v[22:23], 2, v[8:9]
	v_lshlrev_b64 v[24:25], 2, v[10:11]
	;; [unrolled: 1-line block ×7, first 2 shown]
	v_mov_b32_e32 v85, s37
	v_add_u32_e32 v56, 32, v0
	v_xor_b32_e32 v66, 16, v19
	v_xor_b32_e32 v64, 8, v19
	;; [unrolled: 1-line block ×5, first 2 shown]
	s_mov_b32 s37, 0x3fb8aa3b
	s_mov_b32 s40, 0xc2ce8ed0
	;; [unrolled: 1-line block ×3, first 2 shown]
	v_mov_b32_e32 v86, 0x7f800000
	v_lshlrev_b64 v[36:37], 2, v[2:3]
	v_lshlrev_b64 v[38:39], 2, v[38:39]
	;; [unrolled: 1-line block ×8, first 2 shown]
	v_add_u32_e32 v87, 0x800, v83
	v_add_u32_e32 v88, 0x1000, v83
	v_add_u32_e32 v89, 0x1800, v83
	v_add_u32_e32 v90, 0x2000, v83
	v_add_u32_e32 v91, 0x2800, v83
	v_add_u32_e32 v92, 0x3000, v83
	v_add_u32_e32 v93, 0x3800, v83
	v_mov_b32_e32 v68, 0
	v_mov_b32_e32 v94, 0
.LBB30_9:                               ; =>This Inner Loop Header: Depth=1
	v_cmp_lt_i32_e32 vcc, v66, v56
	v_cndmask_b32_e32 v5, v19, v66, vcc
	v_cmp_lt_i32_e32 vcc, v64, v56
	v_add_u32_e32 v2, s6, v18
	v_cndmask_b32_e32 v6, v19, v64, vcc
	v_cmp_lt_i32_e32 vcc, v63, v56
	s_mul_hi_i32 s1, s6, s23
	s_mul_i32 s0, s6, s23
	v_cndmask_b32_e32 v7, v19, v63, vcc
	v_cmp_lt_i32_e32 vcc, v61, v56
	v_ashrrev_i32_e32 v3, 31, v2
	v_cndmask_b32_e32 v8, v19, v61, vcc
	v_cmp_lt_i32_e32 vcc, v60, v56
	s_lshl_b64 s[0:1], s[0:1], 2
	v_lshlrev_b64 v[2:3], 1, v[2:3]
	v_cndmask_b32_e32 v9, v19, v60, vcc
	s_add_u32 s16, s28, s0
	v_add_co_u32_e32 v2, vcc, s36, v2
	s_addc_u32 s14, s29, s1
	v_addc_co_u32_e32 v3, vcc, v85, v3, vcc
	s_mul_hi_i32 s3, s6, s22
	s_mul_i32 s2, s6, s22
	v_lshlrev_b32_e32 v133, 2, v7
	v_lshlrev_b32_e32 v134, 2, v8
	v_mov_b32_e32 v7, s14
	v_add_co_u32_e32 v8, vcc, s16, v22
	v_lshlrev_b32_e32 v135, 2, v9
	s_lshl_b64 s[42:43], s[2:3], 2
	v_mov_b32_e32 v9, s14
	v_add_co_u32_e64 v10, s[0:1], s16, v24
	v_mov_b32_e32 v11, s14
	v_add_co_u32_e64 v12, s[2:3], s16, v26
	v_addc_co_u32_e32 v7, vcc, v7, v23, vcc
	v_mov_b32_e32 v4, v52
	v_lshlrev_b32_e32 v52, 2, v6
	v_mov_b32_e32 v6, s14
	v_mov_b32_e32 v13, s14
	v_add_co_u32_e64 v15, s[8:9], s16, v28
	v_mov_b32_e32 v95, s14
	v_add_co_u32_e64 v96, s[10:11], s16, v30
	;; [unrolled: 2-line block ×4, first 2 shown]
	v_add_co_u32_e64 v103, s[16:17], s16, v20
	v_add_co_u32_e32 v14, vcc, v8, v84
	v_addc_co_u32_e64 v8, s[0:1], v9, v25, s[0:1]
	v_addc_co_u32_e64 v9, s[2:3], v11, v27, s[2:3]
	v_mov_b32_e32 v132, v94
	v_addc_co_u32_e64 v6, s[16:17], v6, v21, s[16:17]
	v_add_co_u32_e64 v94, s[0:1], v10, v84
	v_add_co_u32_e64 v98, s[2:3], v12, v84
	v_addc_co_u32_e64 v10, s[8:9], v13, v29, s[8:9]
	v_addc_co_u32_e64 v11, s[10:11], v95, v31, s[10:11]
	v_addc_co_u32_e64 v12, s[12:13], v97, v33, s[12:13]
	v_addc_co_u32_e64 v13, s[14:15], v100, v35, s[14:15]
	v_add_co_u32_e64 v102, s[8:9], v15, v84
	v_add_co_u32_e64 v106, s[10:11], v96, v84
	;; [unrolled: 1-line block ×5, first 2 shown]
	v_addc_co_u32_e64 v97, s[16:17], 0, v6, s[16:17]
	v_addc_co_u32_e32 v15, vcc, 0, v7, vcc
	v_addc_co_u32_e64 v95, vcc, 0, v8, s[0:1]
	v_addc_co_u32_e64 v99, vcc, 0, v9, s[2:3]
	;; [unrolled: 1-line block ×6, first 2 shown]
	global_load_dwordx4 v[6:9], v[96:97], off
	global_load_dwordx4 v[10:13], v[14:15], off
                                        ; kill: killed $vgpr14 killed $vgpr15
                                        ; kill: killed $vgpr96 killed $vgpr97
	s_nop 0
	global_load_dwordx4 v[94:97], v[94:95], off
	s_nop 0
	global_load_dwordx4 v[98:101], v[98:99], off
	;; [unrolled: 2-line block ×6, first 2 shown]
	s_waitcnt vmcnt(7)
	ds_write_b128 v57, v[6:9]
	s_waitcnt vmcnt(6)
	ds_write_b128 v58, v[10:13]
	;; [unrolled: 2-line block ×8, first 2 shown]
	s_waitcnt lgkmcnt(0)
	s_barrier
	ds_read_b128 v[6:9], v72
	ds_read_b128 v[10:13], v71
	ds_read_b128 v[94:97], v72 offset:8704
	v_mov_b32_e32 v0, 0
	s_waitcnt lgkmcnt(1)
	;;#ASMSTART
	v_dot2_f32_f16 v0, v6, v10, v0
	;;#ASMEND
	;;#ASMSTART
	v_dot2_f32_f16 v0, v7, v11, v0
	;;#ASMEND
	v_mov_b32_e32 v1, 0
	;;#ASMSTART
	v_dot2_f32_f16 v0, v8, v12, v0
	;;#ASMEND
	;;#ASMSTART
	v_dot2_f32_f16 v0, v9, v13, v0
	;;#ASMEND
	s_waitcnt lgkmcnt(0)
	;;#ASMSTART
	v_dot2_f32_f16 v1, v94, v10, v1
	;;#ASMEND
	;;#ASMSTART
	v_dot2_f32_f16 v1, v95, v11, v1
	;;#ASMEND
	;;#ASMSTART
	v_dot2_f32_f16 v1, v96, v12, v1
	;;#ASMEND
	;;#ASMSTART
	v_dot2_f32_f16 v1, v97, v13, v1
	;;#ASMEND
	ds_read_b128 v[6:9], v72 offset:16
	ds_read_b128 v[10:13], v71 offset:16
	ds_read_b128 v[94:97], v72 offset:8720
	s_waitcnt lgkmcnt(1)
	;;#ASMSTART
	v_dot2_f32_f16 v0, v6, v10, v0
	;;#ASMEND
	;;#ASMSTART
	v_dot2_f32_f16 v0, v7, v11, v0
	;;#ASMEND
	;;#ASMSTART
	v_dot2_f32_f16 v0, v8, v12, v0
	;;#ASMEND
	;;#ASMSTART
	v_dot2_f32_f16 v0, v9, v13, v0
	;;#ASMEND
	s_waitcnt lgkmcnt(0)
	;;#ASMSTART
	v_dot2_f32_f16 v1, v94, v10, v1
	;;#ASMEND
	;;#ASMSTART
	v_dot2_f32_f16 v1, v95, v11, v1
	;;#ASMEND
	;;#ASMSTART
	v_dot2_f32_f16 v1, v96, v12, v1
	;;#ASMEND
	;;#ASMSTART
	v_dot2_f32_f16 v1, v97, v13, v1
	;;#ASMEND
	ds_read_b128 v[6:9], v72 offset:32
	ds_read_b128 v[10:13], v71 offset:32
	ds_read_b128 v[94:97], v72 offset:8736
	s_waitcnt lgkmcnt(1)
	;;#ASMSTART
	v_dot2_f32_f16 v0, v6, v10, v0
	;;#ASMEND
	;;#ASMSTART
	v_dot2_f32_f16 v0, v7, v11, v0
	;;#ASMEND
	;; [unrolled: 29-line block ×15, first 2 shown]
	;;#ASMSTART
	v_dot2_f32_f16 v0, v8, v12, v0
	;;#ASMEND
	;;#ASMSTART
	v_dot2_f32_f16 v0, v9, v13, v0
	;;#ASMEND
	s_waitcnt lgkmcnt(0)
	;;#ASMSTART
	v_dot2_f32_f16 v1, v94, v10, v1
	;;#ASMEND
	;;#ASMSTART
	v_dot2_f32_f16 v1, v95, v11, v1
	;;#ASMEND
	;; [unrolled: 3-line block ×4, first 2 shown]
	flat_load_ushort v94, v[2:3] offset:64
	s_nop 0
	flat_load_ushort v2, v[2:3]
	s_add_u32 s42, s38, s42
	s_addc_u32 s43, s39, s43
	v_mov_b32_e32 v118, s43
	v_add_co_u32_e32 v119, vcc, s42, v36
	v_mov_b32_e32 v120, s43
	v_add_co_u32_e64 v121, s[0:1], s42, v38
	v_mov_b32_e32 v122, s43
	v_add_co_u32_e64 v123, s[2:3], s42, v40
	v_addc_co_u32_e32 v15, vcc, v118, v37, vcc
	v_addc_co_u32_e64 v138, vcc, v120, v39, s[0:1]
	v_mov_b32_e32 v124, s43
	v_add_co_u32_e64 v125, s[8:9], s42, v42
	v_add_co_u32_e32 v14, vcc, v121, v84
	v_addc_co_u32_e64 v121, s[0:1], v122, v41, s[2:3]
	v_mov_b32_e32 v126, s43
	v_add_co_u32_e64 v127, s[10:11], s42, v44
	v_add_co_u32_e64 v118, s[0:1], v123, v84
	v_addc_co_u32_e64 v123, s[2:3], v124, v43, s[8:9]
	v_mov_b32_e32 v128, s43
	v_add_co_u32_e64 v129, s[12:13], s42, v46
	v_add_co_u32_e64 v120, s[2:3], v125, v84
	v_addc_co_u32_e64 v125, s[8:9], v126, v45, s[10:11]
	v_mov_b32_e32 v130, s43
	v_add_co_u32_e64 v131, s[14:15], s42, v48
	v_mov_b32_e32 v136, s43
	v_add_co_u32_e64 v137, s[16:17], s42, v50
	v_add_co_u32_e64 v122, s[8:9], v127, v84
	v_addc_co_u32_e64 v127, s[10:11], v128, v47, s[12:13]
	v_add_co_u32_e64 v124, s[10:11], v129, v84
	v_addc_co_u32_e64 v129, s[12:13], v130, v49, s[14:15]
	v_addc_co_u32_e64 v136, s[14:15], v136, v51, s[16:17]
	v_add_co_u32_e64 v130, s[16:17], v119, v84
	v_add_co_u32_e64 v126, s[12:13], v131, v84
	;; [unrolled: 1-line block ×3, first 2 shown]
	v_addc_co_u32_e64 v131, s[16:17], 0, v15, s[16:17]
	v_addc_co_u32_e32 v15, vcc, 0, v138, vcc
	v_addc_co_u32_e64 v119, vcc, 0, v121, s[0:1]
	v_addc_co_u32_e64 v121, vcc, 0, v123, s[2:3]
	;; [unrolled: 1-line block ×6, first 2 shown]
	s_waitcnt lgkmcnt(0)
	s_barrier
	global_load_dwordx4 v[6:9], v[130:131], off
	global_load_dwordx4 v[10:13], v[14:15], off
	global_load_dwordx4 v[96:99], v[118:119], off
	global_load_dwordx4 v[100:103], v[120:121], off
	global_load_dwordx4 v[104:107], v[122:123], off
	global_load_dwordx4 v[108:111], v[124:125], off
                                        ; kill: killed $vgpr130 killed $vgpr131
                                        ; kill: killed $vgpr120 killed $vgpr121
                                        ; kill: killed $vgpr118 killed $vgpr119
                                        ; kill: killed $vgpr124 killed $vgpr125
                                        ; kill: killed $vgpr14 killed $vgpr15
                                        ; kill: killed $vgpr122 killed $vgpr123
	global_load_dwordx4 v[112:115], v[126:127], off
	s_nop 0
	global_load_dwordx4 v[116:119], v[128:129], off
	s_waitcnt vmcnt(0)
	v_cvt_f32_f16_e32 v3, v94
	v_cvt_f32_f16_e32 v2, v2
	v_lshlrev_b32_e32 v5, 2, v5
	v_pk_add_f32 v[0:1], v[0:1], v[2:3]
	v_add_f32_e32 v2, 0x40051340, v0
	v_add_f32_e32 v3, 0x40051340, v1
	v_max3_f32 v2, v4, v2, v3
	ds_bpermute_b32 v3, v5, v2
	s_waitcnt lgkmcnt(0)
	v_max_f32_e32 v3, v3, v3
	v_max_f32_e32 v2, v2, v3
	ds_bpermute_b32 v3, v52, v2
	s_waitcnt lgkmcnt(0)
	v_max_f32_e32 v3, v3, v3
	v_max_f32_e32 v2, v2, v3
	;; [unrolled: 4-line block ×5, first 2 shown]
	v_pk_add_f32 v[0:1], v[0:1], v[52:53] op_sel_hi:[1,0] neg_lo:[0,1] neg_hi:[0,1]
	v_sub_f32_e32 v2, v4, v52
	v_mul_f32_e32 v4, 0x3fb8aa3b, v0
	v_mul_f32_e32 v3, 0x3fb8aa3b, v1
	v_mul_f32_e32 v5, 0x3fb8aa3b, v2
	v_fma_f32 v94, v0, s37, -v4
	v_rndne_f32_e32 v95, v4
	v_fma_f32 v14, v1, s37, -v3
	v_rndne_f32_e32 v15, v3
	;; [unrolled: 2-line block ×3, first 2 shown]
	v_fmac_f32_e32 v94, 0x32a5705f, v0
	v_sub_f32_e32 v4, v4, v95
	v_fmac_f32_e32 v14, 0x32a5705f, v1
	v_sub_f32_e32 v3, v3, v15
	;; [unrolled: 2-line block ×3, first 2 shown]
	v_add_f32_e32 v4, v4, v94
	v_cvt_i32_f32_e32 v95, v95
	v_add_f32_e32 v3, v3, v14
	v_add_f32_e32 v5, v5, v120
	v_exp_f32_e32 v4, v4
	v_cvt_i32_f32_e32 v15, v15
	v_cvt_i32_f32_e32 v121, v121
	v_exp_f32_e32 v3, v3
	v_exp_f32_e32 v5, v5
	v_ldexp_f32 v4, v4, v95
	v_cmp_ngt_f32_e32 vcc, s40, v0
	v_ldexp_f32 v3, v3, v15
	v_ldexp_f32 v5, v5, v121
	v_cmp_ngt_f32_e64 s[0:1], s40, v2
	v_cmp_ngt_f32_e64 s[2:3], s40, v1
	v_cndmask_b32_e32 v4, 0, v4, vcc
	v_cmp_nlt_f32_e32 vcc, s41, v0
	v_cndmask_b32_e64 v3, 0, v3, s[2:3]
	v_cndmask_b32_e64 v0, 0, v5, s[0:1]
	v_cmp_nlt_f32_e64 s[0:1], s41, v2
	v_cmp_nlt_f32_e64 s[2:3], s41, v1
	v_cndmask_b32_e32 v2, v86, v4, vcc
	v_cndmask_b32_e64 v1, v86, v3, s[2:3]
	v_cvt_f16_f32_e32 v3, v2
	v_cndmask_b32_e64 v0, v86, v0, s[0:1]
	v_add_f32_e32 v94, v2, v1
	v_cvt_f16_f32_e32 v1, v1
	v_cvt_f16_f32_e32 v95, v0
	v_fmac_f32_e32 v94, v132, v0
	ds_write_b16 v74, v3
	ds_write_b16 v74, v1 offset:64
	ds_write_b128 v75, v[6:9]
	ds_write_b128 v76, v[10:13]
	;; [unrolled: 1-line block ×8, first 2 shown]
	s_waitcnt lgkmcnt(0)
	s_barrier
	ds_read2_b64 v[96:99], v83 offset1:32
	ds_read_b128 v[12:15], v73
	ds_read_b128 v[8:11], v73 offset:16
	ds_read_b128 v[4:7], v73 offset:32
	;; [unrolled: 1-line block ×3, first 2 shown]
	ds_read2_b64 v[100:103], v83 offset0:64 offset1:96
	ds_read2_b64 v[104:107], v83 offset0:128 offset1:160
	ds_read2_b64 v[108:111], v83 offset0:192 offset1:224
	ds_read2_b64 v[112:115], v87 offset1:32
	ds_read2_b64 v[116:119], v87 offset0:64 offset1:96
	ds_read2_b64 v[120:123], v87 offset0:128 offset1:160
	ds_read2_b64 v[124:127], v87 offset0:192 offset1:224
	ds_read2_b64 v[128:131], v88 offset1:32
	;; [unrolled: 4-line block ×5, first 2 shown]
	ds_read_b128 v[180:183], v73 offset:64
	ds_read_b128 v[184:187], v73 offset:80
	ds_read2_b64 v[188:191], v91 offset0:64 offset1:96
	ds_read2_b64 v[192:195], v91 offset0:128 offset1:160
	;; [unrolled: 1-line block ×3, first 2 shown]
	ds_read2_b64 v[200:203], v92 offset1:32
	ds_read2_b64 v[204:207], v92 offset0:64 offset1:96
	ds_read2_b64 v[208:211], v92 offset0:128 offset1:160
	;; [unrolled: 1-line block ×3, first 2 shown]
	ds_read2_b64 v[216:219], v93 offset1:32
	ds_read_b128 v[220:223], v73 offset:96
	ds_read_b128 v[224:227], v73 offset:112
	ds_read2_b64 v[228:231], v93 offset0:64 offset1:96
	ds_read2_b64 v[232:235], v93 offset0:128 offset1:160
	;; [unrolled: 1-line block ×3, first 2 shown]
	s_waitcnt lgkmcnt(14)
	v_pk_mul_f16 v96, v96, v12 op_sel_hi:[1,0]
	v_pk_mul_f16 v97, v97, v12 op_sel_hi:[1,0]
	v_pk_fma_f16 v55, v55, v95, v96 op_sel_hi:[1,0,1]
	v_pk_fma_f16 v68, v68, v95, v97 op_sel_hi:[1,0,1]
	v_pk_fma_f16 v55, v98, v12, v55 op_sel:[0,1,0]
	v_pk_fma_f16 v12, v99, v12, v68 op_sel:[0,1,0]
	v_pk_fma_f16 v55, v100, v13, v55 op_sel_hi:[1,0,1]
	v_pk_fma_f16 v12, v101, v13, v12 op_sel_hi:[1,0,1]
	v_pk_fma_f16 v55, v102, v13, v55 op_sel:[0,1,0]
	v_pk_fma_f16 v12, v103, v13, v12 op_sel:[0,1,0]
	;; [unrolled: 4-line block ×20, first 2 shown]
	s_waitcnt lgkmcnt(13)
	v_pk_fma_f16 v1, v176, v184, v1 op_sel_hi:[1,0,1]
	v_pk_fma_f16 v0, v177, v184, v0 op_sel_hi:[1,0,1]
	v_pk_fma_f16 v1, v178, v184, v1 op_sel:[0,1,0]
	v_pk_fma_f16 v0, v179, v184, v0 op_sel:[0,1,0]
	s_waitcnt lgkmcnt(12)
	v_pk_fma_f16 v1, v188, v185, v1 op_sel_hi:[1,0,1]
	v_pk_fma_f16 v0, v189, v185, v0 op_sel_hi:[1,0,1]
	v_pk_fma_f16 v1, v190, v185, v1 op_sel:[0,1,0]
	v_pk_fma_f16 v0, v191, v185, v0 op_sel:[0,1,0]
	;; [unrolled: 5-line block ×5, first 2 shown]
	v_pk_fma_f16 v1, v204, v221, v1 op_sel_hi:[1,0,1]
	v_pk_fma_f16 v0, v205, v221, v0 op_sel_hi:[1,0,1]
	v_pk_fma_f16 v1, v206, v221, v1 op_sel:[0,1,0]
	v_pk_fma_f16 v0, v207, v221, v0 op_sel:[0,1,0]
	v_pk_fma_f16 v1, v208, v222, v1 op_sel_hi:[1,0,1]
	v_pk_fma_f16 v0, v209, v222, v0 op_sel_hi:[1,0,1]
	v_pk_fma_f16 v1, v210, v222, v1 op_sel:[0,1,0]
	v_pk_fma_f16 v0, v211, v222, v0 op_sel:[0,1,0]
	;; [unrolled: 4-line block ×3, first 2 shown]
	s_waitcnt lgkmcnt(0)
	s_barrier
	s_load_dword s0, s[18:19], 0x4
	v_pk_fma_f16 v1, v216, v224, v1 op_sel_hi:[1,0,1]
	v_pk_fma_f16 v0, v217, v224, v0 op_sel_hi:[1,0,1]
	v_pk_fma_f16 v1, v218, v224, v1 op_sel:[0,1,0]
	v_pk_fma_f16 v0, v219, v224, v0 op_sel:[0,1,0]
	v_pk_fma_f16 v1, v228, v225, v1 op_sel_hi:[1,0,1]
	v_pk_fma_f16 v0, v229, v225, v0 op_sel_hi:[1,0,1]
	v_pk_fma_f16 v1, v230, v225, v1 op_sel:[0,1,0]
	v_pk_fma_f16 v0, v231, v225, v0 op_sel:[0,1,0]
	v_pk_fma_f16 v1, v232, v226, v1 op_sel_hi:[1,0,1]
	v_pk_fma_f16 v0, v233, v226, v0 op_sel_hi:[1,0,1]
	s_waitcnt lgkmcnt(0)
	s_lshl_b32 s0, s0, 6
	v_pk_fma_f16 v1, v234, v226, v1 op_sel:[0,1,0]
	v_pk_fma_f16 v0, v235, v226, v0 op_sel:[0,1,0]
	s_add_i32 s6, s0, s6
	v_pk_fma_f16 v1, v236, v227, v1 op_sel_hi:[1,0,1]
	v_pk_fma_f16 v0, v237, v227, v0 op_sel_hi:[1,0,1]
	s_cmp_lt_i32 s6, s34
	v_pk_fma_f16 v55, v238, v227, v1 op_sel:[0,1,0]
	v_pk_fma_f16 v68, v239, v227, v0 op_sel:[0,1,0]
	s_cbranch_scc1 .LBB30_9
.LBB30_10:
	v_cmp_lt_i32_e32 vcc, v66, v56
	v_cndmask_b32_e32 v0, v19, v66, vcc
	v_lshlrev_b32_e32 v0, 2, v0
	ds_bpermute_b32 v0, v0, v94
	v_cmp_lt_i32_e32 vcc, v64, v56
	v_cndmask_b32_e32 v1, v19, v64, vcc
	v_lshlrev_b32_e32 v1, 2, v1
	v_cmp_lt_i32_e32 vcc, v63, v56
	s_waitcnt lgkmcnt(0)
	v_add_f32_e32 v0, v94, v0
	ds_bpermute_b32 v1, v1, v0
	v_cndmask_b32_e32 v2, v19, v63, vcc
	v_lshlrev_b32_e32 v2, 2, v2
	v_cmp_lt_i32_e32 vcc, v61, v56
	s_cmp_eq_u64 s[20:21], 0
	s_waitcnt lgkmcnt(0)
	v_add_f32_e32 v0, v0, v1
	ds_bpermute_b32 v1, v2, v0
	v_cndmask_b32_e32 v2, v19, v61, vcc
	v_lshlrev_b32_e32 v2, 2, v2
	v_cmp_lt_i32_e32 vcc, v60, v56
	v_cndmask_b32_e32 v3, v19, v60, vcc
	s_waitcnt lgkmcnt(0)
	v_add_f32_e32 v1, v0, v1
	ds_bpermute_b32 v2, v2, v1
	v_lshlrev_b32_e32 v3, 2, v3
	s_cselect_b64 s[0:1], -1, 0
	s_cmp_lg_u32 s7, 0
	s_cselect_b64 s[2:3], -1, 0
	s_waitcnt lgkmcnt(0)
	v_add_f32_e32 v1, v1, v2
	ds_bpermute_b32 v2, v3, v1
	s_or_b64 s[0:1], s[2:3], s[0:1]
	v_add_u32_e32 v0, s35, v53
	s_and_b64 vcc, exec, s[0:1]
	s_waitcnt lgkmcnt(0)
	v_add_f32_e32 v53, v1, v2
	s_cbranch_vccnz .LBB30_12
; %bb.11:
	v_ashrrev_i32_e32 v1, 31, v0
	v_lshlrev_b64 v[2:3], 2, v[0:1]
	v_mov_b32_e32 v1, s21
	v_add_co_u32_e32 v2, vcc, s20, v2
	v_addc_co_u32_e32 v3, vcc, v1, v3, vcc
	global_load_dword v1, v[2:3], off
	v_max_f32_e32 v2, v52, v52
	s_mov_b32 s0, 0x3fb8aa3b
	s_mov_b32 s1, 0xc2ce8ed0
	s_waitcnt vmcnt(0)
	v_max_f32_e32 v3, v1, v1
	v_max_f32_e32 v2, v2, v3
	v_sub_f32_e32 v3, v52, v2
	v_sub_f32_e32 v1, v1, v2
	v_mul_f32_e32 v4, 0x3fb8aa3b, v3
	v_mul_f32_e32 v5, 0x3fb8aa3b, v1
	v_fma_f32 v6, v3, s0, -v4
	v_rndne_f32_e32 v7, v4
	v_fma_f32 v8, v1, s0, -v5
	v_rndne_f32_e32 v9, v5
	v_fmac_f32_e32 v6, 0x32a5705f, v3
	v_sub_f32_e32 v4, v4, v7
	v_fmac_f32_e32 v8, 0x32a5705f, v1
	v_sub_f32_e32 v5, v5, v9
	v_add_f32_e32 v4, v4, v6
	v_cvt_i32_f32_e32 v7, v7
	v_add_f32_e32 v5, v5, v8
	v_exp_f32_e32 v4, v4
	v_cvt_i32_f32_e32 v9, v9
	v_exp_f32_e32 v5, v5
	v_cmp_ngt_f32_e32 vcc, s1, v3
	v_ldexp_f32 v4, v4, v7
	s_mov_b32 s0, 0x42b17218
	v_ldexp_f32 v5, v5, v9
	v_cndmask_b32_e32 v4, 0, v4, vcc
	v_cmp_ngt_f32_e32 vcc, s1, v1
	v_mov_b32_e32 v6, 0x7f800000
	v_cndmask_b32_e32 v5, 0, v5, vcc
	v_cmp_nlt_f32_e32 vcc, s0, v3
	v_cndmask_b32_e32 v4, v6, v4, vcc
	v_cvt_f16_f32_e32 v7, v4
	v_cmp_nlt_f32_e32 vcc, s0, v1
	v_cndmask_b32_e32 v3, v6, v5, vcc
	v_fmac_f32_e32 v3, v53, v4
	v_pk_mul_f16 v55, v7, v55 op_sel_hi:[0,1]
	v_pk_mul_f16 v68, v7, v68 op_sel_hi:[0,1]
	v_pk_mov_b32 v[52:53], v[2:3], v[2:3] op_sel:[0,1]
	s_branch .LBB30_13
.LBB30_12:
	v_mov_b32_e32 v3, v53
.LBB30_13:
	v_div_scale_f32 v1, s[0:1], v3, v3, 1.0
	v_rcp_f32_e32 v2, v1
	s_load_dword s4, s[4:5], 0xd4
	s_mul_i32 s33, s33, s30
	v_cvt_f32_f16_sdwa v7, v55 dst_sel:DWORD dst_unused:UNUSED_PAD src0_sel:WORD_1
	v_fma_f32 v4, -v1, v2, 1.0
	v_fmac_f32_e32 v2, v4, v2
	v_div_scale_f32 v4, vcc, 1.0, v3, 1.0
	v_mul_f32_e32 v5, v4, v2
	v_fma_f32 v6, -v1, v5, v4
	v_fmac_f32_e32 v5, v6, v2
	v_fma_f32 v1, -v1, v5, v4
	s_waitcnt lgkmcnt(0)
	s_cmp_lg_u32 s4, 1
	v_div_fmas_f32 v1, v1, v2, v5
	v_div_fixup_f32 v1, v1, v3, 1.0
	s_cselect_b64 s[0:1], -1, 0
	v_cndmask_b32_e64 v4, v1, 1.0, s[0:1]
	v_add_u32_e32 v1, s33, v17
	v_mad_u64_u32 v[0:1], s[2:3], v1, s31, v[0:1]
	v_mul_lo_u32 v0, s4, v0
	v_add_u32_e32 v0, s7, v0
	v_lshl_add_u32 v2, v0, 7, v54
	v_mov_b32_e32 v3, 0
	v_lshlrev_b64 v[2:3], 2, v[2:3]
	v_cvt_f32_f16_e32 v6, v55
	v_cvt_f32_f16_sdwa v9, v68 dst_sel:DWORD dst_unused:UNUSED_PAD src0_sel:WORD_1
	v_cvt_f32_f16_e32 v8, v68
	v_mov_b32_e32 v1, s25
	v_add_co_u32_e32 v10, vcc, s24, v2
	v_addc_co_u32_e32 v11, vcc, v1, v3, vcc
	v_cmp_eq_u32_e32 vcc, 0, v16
	v_pk_mul_f32 v[2:3], v[4:5], v[6:7] op_sel_hi:[0,1]
	v_pk_mul_f32 v[4:5], v[4:5], v[8:9] op_sel_hi:[0,1]
	s_and_b64 s[0:1], vcc, s[0:1]
	global_store_dwordx4 v[10:11], v[2:5], off
	s_and_saveexec_b64 s[2:3], s[0:1]
	s_cbranch_execz .LBB30_15
; %bb.14:
	v_ashrrev_i32_e32 v1, 31, v0
	v_lshlrev_b64 v[0:1], 3, v[0:1]
	v_mov_b32_e32 v2, s27
	v_add_co_u32_e32 v0, vcc, s26, v0
	v_addc_co_u32_e32 v1, vcc, v2, v1, vcc
	global_store_dwordx2 v[0:1], v[52:53], off
.LBB30_15:
	s_endpgm
	.section	.rodata,"a",@progbits
	.p2align	6, 0x0
	.amdhsa_kernel _ZL15flash_attn_tileILi128ELi128ELi1ELi4ELb0EEvPKcS1_S1_S1_S1_PKiPfP15HIP_vector_typeIfLj2EEffffjfiS5_IjLj3EEiiiiiiiiiiiliiliiiiil
		.amdhsa_group_segment_fixed_size 18944
		.amdhsa_private_segment_fixed_size 0
		.amdhsa_kernarg_size 464
		.amdhsa_user_sgpr_count 6
		.amdhsa_user_sgpr_private_segment_buffer 1
		.amdhsa_user_sgpr_dispatch_ptr 0
		.amdhsa_user_sgpr_queue_ptr 0
		.amdhsa_user_sgpr_kernarg_segment_ptr 1
		.amdhsa_user_sgpr_dispatch_id 0
		.amdhsa_user_sgpr_flat_scratch_init 0
		.amdhsa_user_sgpr_kernarg_preload_length 0
		.amdhsa_user_sgpr_kernarg_preload_offset 0
		.amdhsa_user_sgpr_private_segment_size 0
		.amdhsa_uses_dynamic_stack 0
		.amdhsa_system_sgpr_private_segment_wavefront_offset 0
		.amdhsa_system_sgpr_workgroup_id_x 1
		.amdhsa_system_sgpr_workgroup_id_y 1
		.amdhsa_system_sgpr_workgroup_id_z 1
		.amdhsa_system_sgpr_workgroup_info 0
		.amdhsa_system_vgpr_workitem_id 1
		.amdhsa_next_free_vgpr 240
		.amdhsa_next_free_sgpr 44
		.amdhsa_accum_offset 240
		.amdhsa_reserve_vcc 1
		.amdhsa_reserve_flat_scratch 0
		.amdhsa_float_round_mode_32 0
		.amdhsa_float_round_mode_16_64 0
		.amdhsa_float_denorm_mode_32 3
		.amdhsa_float_denorm_mode_16_64 3
		.amdhsa_dx10_clamp 1
		.amdhsa_ieee_mode 1
		.amdhsa_fp16_overflow 0
		.amdhsa_tg_split 0
		.amdhsa_exception_fp_ieee_invalid_op 0
		.amdhsa_exception_fp_denorm_src 0
		.amdhsa_exception_fp_ieee_div_zero 0
		.amdhsa_exception_fp_ieee_overflow 0
		.amdhsa_exception_fp_ieee_underflow 0
		.amdhsa_exception_fp_ieee_inexact 0
		.amdhsa_exception_int_div_zero 0
	.end_amdhsa_kernel
	.section	.text._ZL15flash_attn_tileILi128ELi128ELi1ELi4ELb0EEvPKcS1_S1_S1_S1_PKiPfP15HIP_vector_typeIfLj2EEffffjfiS5_IjLj3EEiiiiiiiiiiiliiliiiiil,"axG",@progbits,_ZL15flash_attn_tileILi128ELi128ELi1ELi4ELb0EEvPKcS1_S1_S1_S1_PKiPfP15HIP_vector_typeIfLj2EEffffjfiS5_IjLj3EEiiiiiiiiiiiliiliiiiil,comdat
.Lfunc_end30:
	.size	_ZL15flash_attn_tileILi128ELi128ELi1ELi4ELb0EEvPKcS1_S1_S1_S1_PKiPfP15HIP_vector_typeIfLj2EEffffjfiS5_IjLj3EEiiiiiiiiiiiliiliiiiil, .Lfunc_end30-_ZL15flash_attn_tileILi128ELi128ELi1ELi4ELb0EEvPKcS1_S1_S1_S1_PKiPfP15HIP_vector_typeIfLj2EEffffjfiS5_IjLj3EEiiiiiiiiiiiliiliiiiil
                                        ; -- End function
	.section	.AMDGPU.csdata,"",@progbits
; Kernel info:
; codeLenInByte = 6952
; NumSgprs: 48
; NumVgprs: 240
; NumAgprs: 0
; TotalNumVgprs: 240
; ScratchSize: 0
; MemoryBound: 0
; FloatMode: 240
; IeeeMode: 1
; LDSByteSize: 18944 bytes/workgroup (compile time only)
; SGPRBlocks: 5
; VGPRBlocks: 29
; NumSGPRsForWavesPerEU: 48
; NumVGPRsForWavesPerEU: 240
; AccumOffset: 240
; Occupancy: 2
; WaveLimiterHint : 1
; COMPUTE_PGM_RSRC2:SCRATCH_EN: 0
; COMPUTE_PGM_RSRC2:USER_SGPR: 6
; COMPUTE_PGM_RSRC2:TRAP_HANDLER: 0
; COMPUTE_PGM_RSRC2:TGID_X_EN: 1
; COMPUTE_PGM_RSRC2:TGID_Y_EN: 1
; COMPUTE_PGM_RSRC2:TGID_Z_EN: 1
; COMPUTE_PGM_RSRC2:TIDIG_COMP_CNT: 1
; COMPUTE_PGM_RSRC3_GFX90A:ACCUM_OFFSET: 59
; COMPUTE_PGM_RSRC3_GFX90A:TG_SPLIT: 0
	.section	.text._ZL33flash_attn_stream_k_fixup_uniformILi128ELi1ELi4EEvPfPK15HIP_vector_typeIfLj2EEiiiiiiS1_IjLj3EES5_S5_,"axG",@progbits,_ZL33flash_attn_stream_k_fixup_uniformILi128ELi1ELi4EEvPfPK15HIP_vector_typeIfLj2EEiiiiiiS1_IjLj3EES5_S5_,comdat
	.globl	_ZL33flash_attn_stream_k_fixup_uniformILi128ELi1ELi4EEvPfPK15HIP_vector_typeIfLj2EEiiiiiiS1_IjLj3EES5_S5_ ; -- Begin function _ZL33flash_attn_stream_k_fixup_uniformILi128ELi1ELi4EEvPfPK15HIP_vector_typeIfLj2EEiiiiiiS1_IjLj3EES5_S5_
	.p2align	8
	.type	_ZL33flash_attn_stream_k_fixup_uniformILi128ELi1ELi4EEvPfPK15HIP_vector_typeIfLj2EEiiiiiiS1_IjLj3EES5_S5_,@function
_ZL33flash_attn_stream_k_fixup_uniformILi128ELi1ELi4EEvPfPK15HIP_vector_typeIfLj2EEiiiiiiS1_IjLj3EES5_S5_: ; @_ZL33flash_attn_stream_k_fixup_uniformILi128ELi1ELi4EEvPfPK15HIP_vector_typeIfLj2EEiiiiiiS1_IjLj3EES5_S5_
; %bb.0:
	s_load_dwordx8 s[12:19], s[4:5], 0x1c
	s_load_dwordx2 s[10:11], s[4:5], 0x10
	s_load_dwordx4 s[0:3], s[4:5], 0x3c
	s_waitcnt lgkmcnt(0)
	s_mul_hi_u32 s9, s15, s6
	s_add_i32 s9, s6, s9
	s_lshr_b32 s9, s9, s16
	s_mul_i32 s15, s9, s17
	s_sub_i32 s16, s6, s15
	s_mul_hi_u32 s15, s16, s18
	s_add_i32 s15, s16, s15
	s_lshr_b32 s15, s15, s19
	s_mul_i32 s0, s15, s0
	s_sub_i32 s0, s16, s0
	;; [unrolled: 5-line block ×3, first 2 shown]
	s_lshl_b32 s17, s1, 2
	s_add_i32 s16, s16, s7
	s_cmp_lt_i32 s16, s10
	s_cselect_b64 s[0:1], -1, 0
	s_add_i32 s17, s17, s8
	s_cmp_lt_i32 s17, s13
	s_cselect_b64 s[2:3], -1, 0
	s_and_b64 s[0:1], s[0:1], s[2:3]
	s_andn2_b64 vcc, exec, s[0:1]
	s_cbranch_vccnz .LBB31_6
; %bb.1:
	s_mul_i32 s9, s9, s10
	s_load_dwordx4 s[0:3], s[4:5], 0x0
	s_mul_i32 s15, s15, s13
	s_add_i32 s4, s16, s9
	s_mul_i32 s4, s4, s11
	s_add_i32 s5, s17, s15
	s_add_i32 s5, s5, s4
	v_lshl_or_b32 v2, s5, 7, v0
	v_ashrrev_i32_e32 v3, 31, v2
	v_lshlrev_b64 v[2:3], 2, v[2:3]
	s_waitcnt lgkmcnt(0)
	v_mov_b32_e32 v1, s1
	v_add_co_u32_e32 v2, vcc, s0, v2
	v_addc_co_u32_e32 v3, vcc, v1, v3, vcc
	global_load_dword v8, v[2:3], off
	s_mul_i32 s9, s6, s14
	s_add_i32 s4, s9, s14
	s_add_i32 s0, s7, s4
	s_lshl_b32 s0, s0, 2
	s_add_i32 s0, s0, s8
	s_add_i32 s0, s0, -4
	s_ashr_i32 s1, s0, 31
	s_lshl_b64 s[0:1], s[0:1], 3
	s_add_u32 s0, s2, s0
	s_addc_u32 s1, s3, s1
	s_load_dword s5, s[0:1], 0x4
	s_add_i32 s10, s4, -2
	s_cmp_lt_i32 s10, s9
	s_cbranch_scc1 .LBB31_4
; %bb.2:
	s_lshl_b32 s10, s12, 4
	s_ashr_i32 s11, s10, 31
	s_lshl_b64 s[10:11], s[10:11], 2
	s_add_u32 s10, s2, s10
	s_addc_u32 s13, s3, s11
	s_load_dword s0, s[0:1], 0x0
	s_add_i32 s6, s6, 1
	s_lshl_b32 s1, s8, 7
	s_add_i32 s12, s7, s12
	s_mul_i32 s6, s14, s6
	s_lshl_b32 s7, s7, 9
	s_add_i32 s12, s12, s4
	s_lshl_b32 s6, s6, 9
	s_add_i32 s1, s1, s7
	s_add_i32 s11, s4, -1
	s_lshl_b32 s4, s12, 2
	s_add_i32 s1, s1, s6
	s_add_i32 s4, s8, s4
	v_or_b32_e32 v0, s1, v0
	s_add_i32 s4, s4, -8
	v_add_u32_e32 v0, 0xfffffc00, v0
	s_waitcnt lgkmcnt(0)
	v_mov_b32_e32 v7, s5
	v_mov_b32_e32 v6, s0
	;; [unrolled: 1-line block ×3, first 2 shown]
	s_mov_b32 s6, 0x3fb8aa3b
	s_mov_b32 s7, 0xc2ce8ed0
	;; [unrolled: 1-line block ×3, first 2 shown]
	v_mov_b32_e32 v5, 0x7f800000
	s_mov_b32 s12, 0xc1a00000
.LBB31_3:                               ; =>This Inner Loop Header: Depth=1
	v_ashrrev_i32_e32 v1, 31, v0
	v_lshlrev_b64 v[10:11], 2, v[0:1]
	v_add_co_u32_e32 v10, vcc, s10, v10
	v_addc_co_u32_e32 v11, vcc, v4, v11, vcc
	global_load_dword v1, v[10:11], off
	s_ashr_i32 s5, s4, 31
	s_lshl_b64 s[0:1], s[4:5], 3
	s_add_u32 s0, s2, s0
	s_addc_u32 s1, s3, s1
	s_load_dwordx2 s[14:15], s[0:1], 0x0
	s_waitcnt vmcnt(1)
	v_mov_b32_e32 v9, v8
	v_max_f32_e32 v8, v6, v6
	v_mov_b32_e32 v10, v7
	s_add_i32 s11, s11, -1
	s_waitcnt lgkmcnt(0)
	v_max_f32_e64 v7, s14, s14
	v_max_f32_e32 v7, v8, v7
	v_sub_f32_e32 v11, s14, v7
	v_sub_f32_e32 v8, v6, v7
	v_mul_f32_e32 v12, 0x3fb8aa3b, v11
	v_mov_b32_e32 v6, v7
	v_mul_f32_e32 v7, 0x3fb8aa3b, v8
	v_fma_f32 v15, v11, s6, -v12
	v_rndne_f32_e32 v16, v12
	v_fma_f32 v13, v8, s6, -v7
	v_rndne_f32_e32 v14, v7
	v_fmac_f32_e32 v15, 0x32a5705f, v11
	v_sub_f32_e32 v12, v12, v16
	v_fmac_f32_e32 v13, 0x32a5705f, v8
	v_sub_f32_e32 v7, v7, v14
	v_add_f32_e32 v12, v12, v15
	v_cvt_i32_f32_e32 v16, v16
	v_add_f32_e32 v7, v7, v13
	v_exp_f32_e32 v12, v12
	v_cvt_i32_f32_e32 v14, v14
	v_exp_f32_e32 v7, v7
	v_cmp_ngt_f32_e32 vcc, s7, v11
	v_ldexp_f32 v12, v12, v16
	v_cmp_ngt_f32_e64 s[0:1], s7, v8
	v_ldexp_f32 v7, v7, v14
	v_cndmask_b32_e32 v12, 0, v12, vcc
	v_cmp_nlt_f32_e32 vcc, s8, v11
	v_cndmask_b32_e64 v7, 0, v7, s[0:1]
	v_cmp_nlt_f32_e64 s[0:1], s8, v8
	v_cndmask_b32_e32 v12, v5, v12, vcc
	v_cmp_le_f32_e32 vcc, s12, v11
	v_cndmask_b32_e64 v7, v5, v7, s[0:1]
	v_cmp_le_f32_e64 s[0:1], s12, v8
	v_cndmask_b32_e32 v8, 0, v12, vcc
	s_add_i32 s4, s4, -4
	v_cndmask_b32_e64 v11, 0, v7, s[0:1]
	v_mul_f32_e32 v7, s15, v8
	v_add_u32_e32 v0, 0xfffffe00, v0
	s_cmp_le_i32 s11, s9
	v_fmac_f32_e32 v7, v10, v11
	s_waitcnt vmcnt(0)
	v_mul_f32_e32 v8, v1, v8
	v_fmac_f32_e32 v8, v9, v11
	s_cbranch_scc0 .LBB31_3
	s_branch .LBB31_5
.LBB31_4:
	s_waitcnt lgkmcnt(0)
	v_mov_b32_e32 v7, s5
.LBB31_5:
	s_waitcnt vmcnt(0)
	v_div_scale_f32 v0, s[0:1], v7, v7, v8
	v_rcp_f32_e32 v1, v0
	v_div_scale_f32 v4, vcc, v8, v7, v8
	v_fma_f32 v5, -v0, v1, 1.0
	v_fmac_f32_e32 v1, v5, v1
	v_mul_f32_e32 v5, v4, v1
	v_fma_f32 v6, -v0, v5, v4
	v_fmac_f32_e32 v5, v6, v1
	v_fma_f32 v0, -v0, v5, v4
	v_div_fmas_f32 v0, v0, v1, v5
	v_div_fixup_f32 v0, v0, v7, v8
	global_store_dword v[2:3], v0, off
.LBB31_6:
	s_endpgm
	.section	.rodata,"a",@progbits
	.p2align	6, 0x0
	.amdhsa_kernel _ZL33flash_attn_stream_k_fixup_uniformILi128ELi1ELi4EEvPfPK15HIP_vector_typeIfLj2EEiiiiiiS1_IjLj3EES5_S5_
		.amdhsa_group_segment_fixed_size 0
		.amdhsa_private_segment_fixed_size 0
		.amdhsa_kernarg_size 76
		.amdhsa_user_sgpr_count 6
		.amdhsa_user_sgpr_private_segment_buffer 1
		.amdhsa_user_sgpr_dispatch_ptr 0
		.amdhsa_user_sgpr_queue_ptr 0
		.amdhsa_user_sgpr_kernarg_segment_ptr 1
		.amdhsa_user_sgpr_dispatch_id 0
		.amdhsa_user_sgpr_flat_scratch_init 0
		.amdhsa_user_sgpr_kernarg_preload_length 0
		.amdhsa_user_sgpr_kernarg_preload_offset 0
		.amdhsa_user_sgpr_private_segment_size 0
		.amdhsa_uses_dynamic_stack 0
		.amdhsa_system_sgpr_private_segment_wavefront_offset 0
		.amdhsa_system_sgpr_workgroup_id_x 1
		.amdhsa_system_sgpr_workgroup_id_y 1
		.amdhsa_system_sgpr_workgroup_id_z 1
		.amdhsa_system_sgpr_workgroup_info 0
		.amdhsa_system_vgpr_workitem_id 0
		.amdhsa_next_free_vgpr 17
		.amdhsa_next_free_sgpr 20
		.amdhsa_accum_offset 20
		.amdhsa_reserve_vcc 1
		.amdhsa_reserve_flat_scratch 0
		.amdhsa_float_round_mode_32 0
		.amdhsa_float_round_mode_16_64 0
		.amdhsa_float_denorm_mode_32 3
		.amdhsa_float_denorm_mode_16_64 3
		.amdhsa_dx10_clamp 1
		.amdhsa_ieee_mode 1
		.amdhsa_fp16_overflow 0
		.amdhsa_tg_split 0
		.amdhsa_exception_fp_ieee_invalid_op 0
		.amdhsa_exception_fp_denorm_src 0
		.amdhsa_exception_fp_ieee_div_zero 0
		.amdhsa_exception_fp_ieee_overflow 0
		.amdhsa_exception_fp_ieee_underflow 0
		.amdhsa_exception_fp_ieee_inexact 0
		.amdhsa_exception_int_div_zero 0
	.end_amdhsa_kernel
	.section	.text._ZL33flash_attn_stream_k_fixup_uniformILi128ELi1ELi4EEvPfPK15HIP_vector_typeIfLj2EEiiiiiiS1_IjLj3EES5_S5_,"axG",@progbits,_ZL33flash_attn_stream_k_fixup_uniformILi128ELi1ELi4EEvPfPK15HIP_vector_typeIfLj2EEiiiiiiS1_IjLj3EES5_S5_,comdat
.Lfunc_end31:
	.size	_ZL33flash_attn_stream_k_fixup_uniformILi128ELi1ELi4EEvPfPK15HIP_vector_typeIfLj2EEiiiiiiS1_IjLj3EES5_S5_, .Lfunc_end31-_ZL33flash_attn_stream_k_fixup_uniformILi128ELi1ELi4EEvPfPK15HIP_vector_typeIfLj2EEiiiiiiS1_IjLj3EES5_S5_
                                        ; -- End function
	.section	.AMDGPU.csdata,"",@progbits
; Kernel info:
; codeLenInByte = 828
; NumSgprs: 24
; NumVgprs: 17
; NumAgprs: 0
; TotalNumVgprs: 17
; ScratchSize: 0
; MemoryBound: 0
; FloatMode: 240
; IeeeMode: 1
; LDSByteSize: 0 bytes/workgroup (compile time only)
; SGPRBlocks: 2
; VGPRBlocks: 2
; NumSGPRsForWavesPerEU: 24
; NumVGPRsForWavesPerEU: 17
; AccumOffset: 20
; Occupancy: 8
; WaveLimiterHint : 0
; COMPUTE_PGM_RSRC2:SCRATCH_EN: 0
; COMPUTE_PGM_RSRC2:USER_SGPR: 6
; COMPUTE_PGM_RSRC2:TRAP_HANDLER: 0
; COMPUTE_PGM_RSRC2:TGID_X_EN: 1
; COMPUTE_PGM_RSRC2:TGID_Y_EN: 1
; COMPUTE_PGM_RSRC2:TGID_Z_EN: 1
; COMPUTE_PGM_RSRC2:TIDIG_COMP_CNT: 0
; COMPUTE_PGM_RSRC3_GFX90A:ACCUM_OFFSET: 4
; COMPUTE_PGM_RSRC3_GFX90A:TG_SPLIT: 0
	.section	.text._ZL33flash_attn_stream_k_fixup_generalILi128ELi1ELi4EEvPfPK15HIP_vector_typeIfLj2EEiiiiS1_IjLj3EES5_S5_S5_,"axG",@progbits,_ZL33flash_attn_stream_k_fixup_generalILi128ELi1ELi4EEvPfPK15HIP_vector_typeIfLj2EEiiiiS1_IjLj3EES5_S5_S5_,comdat
	.globl	_ZL33flash_attn_stream_k_fixup_generalILi128ELi1ELi4EEvPfPK15HIP_vector_typeIfLj2EEiiiiS1_IjLj3EES5_S5_S5_ ; -- Begin function _ZL33flash_attn_stream_k_fixup_generalILi128ELi1ELi4EEvPfPK15HIP_vector_typeIfLj2EEiiiiS1_IjLj3EES5_S5_S5_
	.p2align	8
	.type	_ZL33flash_attn_stream_k_fixup_generalILi128ELi1ELi4EEvPfPK15HIP_vector_typeIfLj2EEiiiiS1_IjLj3EES5_S5_S5_,@function
_ZL33flash_attn_stream_k_fixup_generalILi128ELi1ELi4EEvPfPK15HIP_vector_typeIfLj2EEiiiiS1_IjLj3EES5_S5_S5_: ; @_ZL33flash_attn_stream_k_fixup_generalILi128ELi1ELi4EEvPfPK15HIP_vector_typeIfLj2EEiiiiS1_IjLj3EES5_S5_S5_
; %bb.0:
	s_load_dwordx4 s[12:15], s[4:5], 0x10
	s_load_dword s9, s[4:5], 0x50
	s_mov_b32 s2, 0
	s_waitcnt lgkmcnt(0)
	s_mul_hi_i32 s3, s15, s6
	s_cmp_lg_u64 s[2:3], 0
	s_mul_i32 s2, s15, s6
	s_cbranch_scc0 .LBB32_21
; %bb.1:
	v_cvt_f32_u32_e32 v1, s9
	v_cvt_f32_ubyte0_e32 v2, 0
	s_sub_u32 s10, 0, s9
	s_subb_u32 s11, 0, 0
	v_madmk_f32 v1, v2, 0x4f800000, v1
	v_rcp_f32_e32 v1, v1
	v_mul_f32_e32 v1, 0x5f7ffffc, v1
	v_mul_f32_e32 v2, 0x2f800000, v1
	v_trunc_f32_e32 v2, v2
	v_madmk_f32 v1, v2, 0xcf800000, v1
	v_cvt_u32_f32_e32 v2, v2
	v_cvt_u32_f32_e32 v1, v1
	v_readfirstlane_b32 s16, v2
	v_readfirstlane_b32 s17, v1
	s_mul_i32 s18, s10, s16
	s_mul_hi_u32 s20, s10, s17
	s_mul_i32 s19, s11, s17
	s_add_i32 s18, s20, s18
	s_add_i32 s18, s18, s19
	s_mul_i32 s21, s10, s17
	s_mul_hi_u32 s19, s17, s18
	s_mul_i32 s20, s17, s18
	s_mul_hi_u32 s17, s17, s21
	s_add_u32 s17, s17, s20
	s_addc_u32 s19, 0, s19
	s_mul_hi_u32 s22, s16, s21
	s_mul_i32 s21, s16, s21
	s_add_u32 s17, s17, s21
	s_mul_hi_u32 s20, s16, s18
	s_addc_u32 s17, s19, s22
	s_addc_u32 s19, s20, 0
	s_mul_i32 s18, s16, s18
	s_add_u32 s17, s17, s18
	s_addc_u32 s18, 0, s19
	v_add_co_u32_e32 v1, vcc, s17, v1
	s_cmp_lg_u64 vcc, 0
	s_addc_u32 s16, s16, s18
	v_readfirstlane_b32 s18, v1
	s_mul_i32 s17, s10, s16
	s_mul_hi_u32 s19, s10, s18
	s_add_i32 s17, s19, s17
	s_mul_i32 s11, s11, s18
	s_add_i32 s17, s17, s11
	s_mul_i32 s10, s10, s18
	s_mul_hi_u32 s19, s16, s10
	s_mul_i32 s20, s16, s10
	s_mul_i32 s22, s18, s17
	s_mul_hi_u32 s10, s18, s10
	s_mul_hi_u32 s21, s18, s17
	s_add_u32 s10, s10, s22
	s_addc_u32 s18, 0, s21
	s_add_u32 s10, s10, s20
	s_mul_hi_u32 s11, s16, s17
	s_addc_u32 s10, s18, s19
	s_addc_u32 s11, s11, 0
	s_mul_i32 s17, s16, s17
	s_add_u32 s10, s10, s17
	s_addc_u32 s11, 0, s11
	v_add_co_u32_e32 v1, vcc, s10, v1
	s_cmp_lg_u64 vcc, 0
	s_addc_u32 s18, s16, s11
	s_ashr_i32 s10, s3, 31
	s_add_u32 s16, s2, s10
	s_mov_b32 s11, s10
	s_addc_u32 s17, s3, s10
	s_xor_b64 s[16:17], s[16:17], s[10:11]
	v_readfirstlane_b32 s20, v1
	s_mul_i32 s19, s16, s18
	s_mul_hi_u32 s21, s16, s20
	s_mul_hi_u32 s3, s16, s18
	s_add_u32 s19, s21, s19
	s_addc_u32 s3, 0, s3
	s_mul_hi_u32 s22, s17, s20
	s_mul_i32 s20, s17, s20
	s_add_u32 s19, s19, s20
	s_mul_hi_u32 s21, s17, s18
	s_addc_u32 s3, s3, s22
	s_addc_u32 s19, s21, 0
	s_mul_i32 s18, s17, s18
	s_add_u32 s3, s3, s18
	s_addc_u32 s18, 0, s19
	s_add_u32 s19, s3, 1
	s_addc_u32 s20, s18, 0
	s_add_u32 s21, s3, 2
	s_mul_i32 s23, s9, s18
	s_mul_hi_u32 s24, s9, s3
	s_addc_u32 s22, s18, 0
	s_add_i32 s24, s24, s23
	s_mul_i32 s23, s9, s3
	v_mov_b32_e32 v1, s23
	v_sub_co_u32_e32 v1, vcc, s16, v1
	s_cmp_lg_u64 vcc, 0
	s_subb_u32 s16, s17, s24
	v_subrev_co_u32_e32 v2, vcc, s9, v1
	s_cmp_lg_u64 vcc, 0
	s_subb_u32 s17, s16, 0
	v_readfirstlane_b32 s23, v2
	s_cmp_ge_u32 s23, s9
	s_cselect_b32 s23, -1, 0
	s_cmp_eq_u32 s17, 0
	s_cselect_b32 s17, s23, -1
	s_cmp_lg_u32 s17, 0
	s_cselect_b32 s17, s22, s20
	v_readfirstlane_b32 s20, v1
	s_cselect_b32 s19, s21, s19
	s_cmp_ge_u32 s20, s9
	s_cselect_b32 s20, -1, 0
	s_cmp_eq_u32 s16, 0
	s_cselect_b32 s16, s20, -1
	s_cmp_lg_u32 s16, 0
	s_cselect_b32 s17, s17, s18
	s_cselect_b32 s16, s19, s3
	s_xor_b64 s[16:17], s[16:17], s[10:11]
	s_sub_u32 s20, s16, s10
	s_load_dwordx4 s[16:19], s[4:5], 0x44
	s_cbranch_execnz .LBB32_3
.LBB32_2:
	v_cvt_f32_u32_e32 v1, s9
	s_sub_i32 s0, 0, s9
	v_rcp_iflag_f32_e32 v1, v1
	v_mul_f32_e32 v1, 0x4f7ffffe, v1
	v_cvt_u32_f32_e32 v1, v1
	v_readfirstlane_b32 s1, v1
	s_mul_i32 s0, s0, s1
	s_mul_hi_u32 s0, s1, s0
	s_add_i32 s1, s1, s0
	s_mul_hi_u32 s0, s2, s1
	s_mul_i32 s3, s0, s9
	s_sub_i32 s2, s2, s3
	s_add_i32 s1, s0, 1
	s_sub_i32 s3, s2, s9
	s_cmp_ge_u32 s2, s9
	s_cselect_b32 s0, s1, s0
	s_cselect_b32 s2, s3, s2
	s_add_i32 s1, s0, 1
	s_cmp_ge_u32 s2, s9
	s_cselect_b32 s20, s1, s0
.LBB32_3:
	s_add_i32 s0, s6, 1
	s_mul_hi_i32 s3, s15, s0
	s_mov_b32 s2, 0
	s_cmp_lg_u64 s[2:3], 0
	s_mul_i32 s2, s15, s0
	s_cbranch_scc0 .LBB32_22
; %bb.4:
	v_cvt_f32_u32_e32 v1, s9
	v_cvt_f32_ubyte0_e32 v2, 0
	s_sub_u32 s10, 0, s9
	s_subb_u32 s11, 0, 0
	v_madmk_f32 v1, v2, 0x4f800000, v1
	v_rcp_f32_e32 v1, v1
	v_mul_f32_e32 v1, 0x5f7ffffc, v1
	v_mul_f32_e32 v2, 0x2f800000, v1
	v_trunc_f32_e32 v2, v2
	v_madmk_f32 v1, v2, 0xcf800000, v1
	v_cvt_u32_f32_e32 v2, v2
	v_cvt_u32_f32_e32 v1, v1
	s_waitcnt lgkmcnt(0)
	v_readfirstlane_b32 s19, v2
	v_readfirstlane_b32 s21, v1
	s_mul_i32 s22, s10, s19
	s_mul_hi_u32 s24, s10, s21
	s_mul_i32 s23, s11, s21
	s_add_i32 s22, s24, s22
	s_add_i32 s22, s22, s23
	s_mul_i32 s25, s10, s21
	s_mul_hi_u32 s23, s21, s22
	s_mul_i32 s24, s21, s22
	s_mul_hi_u32 s21, s21, s25
	s_add_u32 s21, s21, s24
	s_addc_u32 s23, 0, s23
	s_mul_hi_u32 s26, s19, s25
	s_mul_i32 s25, s19, s25
	s_add_u32 s21, s21, s25
	s_mul_hi_u32 s24, s19, s22
	s_addc_u32 s21, s23, s26
	s_addc_u32 s23, s24, 0
	s_mul_i32 s22, s19, s22
	s_add_u32 s21, s21, s22
	s_addc_u32 s22, 0, s23
	v_add_co_u32_e32 v1, vcc, s21, v1
	s_cmp_lg_u64 vcc, 0
	s_addc_u32 s19, s19, s22
	v_readfirstlane_b32 s22, v1
	s_mul_i32 s21, s10, s19
	s_mul_hi_u32 s23, s10, s22
	s_add_i32 s21, s23, s21
	s_mul_i32 s11, s11, s22
	s_add_i32 s21, s21, s11
	s_mul_i32 s10, s10, s22
	s_mul_hi_u32 s23, s19, s10
	s_mul_i32 s24, s19, s10
	s_mul_i32 s26, s22, s21
	s_mul_hi_u32 s10, s22, s10
	s_mul_hi_u32 s25, s22, s21
	s_add_u32 s10, s10, s26
	s_addc_u32 s22, 0, s25
	s_add_u32 s10, s10, s24
	s_mul_hi_u32 s11, s19, s21
	s_addc_u32 s10, s22, s23
	s_addc_u32 s11, s11, 0
	s_mul_i32 s21, s19, s21
	s_add_u32 s10, s10, s21
	s_addc_u32 s11, 0, s11
	v_add_co_u32_e32 v1, vcc, s10, v1
	s_cmp_lg_u64 vcc, 0
	s_addc_u32 s19, s19, s11
	s_ashr_i32 s10, s3, 31
	s_add_u32 s22, s2, s10
	s_mov_b32 s11, s10
	s_addc_u32 s23, s3, s10
	s_xor_b64 s[22:23], s[22:23], s[10:11]
	v_readfirstlane_b32 s21, v1
	s_mul_i32 s11, s22, s19
	s_mul_hi_u32 s24, s22, s21
	s_mul_hi_u32 s3, s22, s19
	s_add_u32 s11, s24, s11
	s_addc_u32 s3, 0, s3
	s_mul_hi_u32 s25, s23, s21
	s_mul_i32 s21, s23, s21
	s_add_u32 s11, s11, s21
	s_mul_hi_u32 s24, s23, s19
	s_addc_u32 s3, s3, s25
	s_addc_u32 s11, s24, 0
	s_mul_i32 s19, s23, s19
	s_add_u32 s3, s3, s19
	s_addc_u32 s11, 0, s11
	s_mul_i32 s11, s9, s11
	s_mul_hi_u32 s24, s9, s3
	s_add_i32 s24, s24, s11
	s_mul_i32 s11, s9, s3
	v_mov_b32_e32 v1, s11
	s_add_u32 s19, s3, 1
	s_add_u32 s21, s3, 2
	v_sub_co_u32_e32 v1, vcc, s22, v1
	s_cmp_lg_u64 vcc, 0
	s_subb_u32 s11, s23, s24
	v_subrev_co_u32_e32 v2, vcc, s9, v1
	s_cmp_lg_u64 vcc, 0
	s_subb_u32 s22, s11, 0
	v_cmp_le_u32_e32 vcc, s9, v2
	s_cmp_eq_u32 s22, 0
	v_cndmask_b32_e64 v2, 0, -1, vcc
	s_cselect_b64 vcc, -1, 0
	v_cndmask_b32_e32 v2, -1, v2, vcc
	v_mov_b32_e32 v3, s19
	v_mov_b32_e32 v4, s21
	v_cmp_ne_u32_e32 vcc, 0, v2
	v_cndmask_b32_e32 v2, v3, v4, vcc
	v_cmp_le_u32_e32 vcc, s9, v1
	s_cmp_eq_u32 s11, 0
	v_cndmask_b32_e64 v1, 0, -1, vcc
	s_cselect_b64 vcc, -1, 0
	v_cndmask_b32_e32 v1, -1, v1, vcc
	v_mov_b32_e32 v3, s3
	v_cmp_ne_u32_e32 vcc, 0, v1
	v_cndmask_b32_e32 v1, v3, v2, vcc
	v_xor_b32_e32 v1, s10, v1
	v_subrev_co_u32_e32 v2, vcc, s10, v1
	s_cbranch_execnz .LBB32_6
.LBB32_5:
	v_cvt_f32_u32_e32 v1, s9
	s_sub_i32 s0, 0, s9
	s_mov_b32 s1, 0
	v_rcp_iflag_f32_e32 v1, v1
	v_mul_f32_e32 v1, 0x4f7ffffe, v1
	v_cvt_u32_f32_e32 v1, v1
	v_readfirstlane_b32 s3, v1
	s_mul_i32 s0, s0, s3
	s_mul_hi_u32 s0, s3, s0
	s_add_i32 s3, s3, s0
	s_mul_hi_u32 s0, s2, s3
	s_mul_i32 s10, s0, s9
	s_sub_i32 s2, s2, s10
	s_add_i32 s3, s0, 1
	s_sub_i32 s10, s2, s9
	s_cmp_ge_u32 s2, s9
	s_cselect_b32 s0, s3, s0
	s_cselect_b32 s2, s10, s2
	s_add_i32 s3, s0, 1
	s_cmp_ge_u32 s2, s9
	s_cselect_b32 s0, s3, s0
	v_pk_mov_b32 v[2:3], s[0:1], s[0:1] op_sel:[0,1]
.LBB32_6:
	s_waitcnt lgkmcnt(0)
	s_mul_hi_u32 s0, s20, s16
	s_add_i32 s0, s0, s20
	v_mul_hi_u32 v1, v2, s16
	s_lshr_b32 s19, s0, s17
	v_add_u32_e32 v1, v1, v2
	s_mul_i32 s0, s19, s18
	v_lshrrev_b32_e32 v1, s17, v1
	s_cmp_eq_u32 s0, s20
	v_cmp_eq_u32_e64 s[0:1], s19, v1
	v_mul_lo_u32 v1, v1, s18
	v_cmp_eq_u32_e32 vcc, s20, v2
	s_cselect_b64 s[10:11], -1, 0
	v_cmp_ne_u32_e64 s[2:3], v1, v2
	s_and_b64 s[0:1], s[0:1], s[2:3]
	s_or_b64 s[2:3], vcc, s[10:11]
	s_or_b64 s[0:1], s[2:3], s[0:1]
	s_and_b64 vcc, exec, s[0:1]
	s_cbranch_vccnz .LBB32_24
; %bb.7:
	s_load_dwordx8 s[24:31], s[4:5], 0x20
	s_load_dword s0, s[4:5], 0x40
	s_mov_b32 s10, 0
	s_waitcnt lgkmcnt(0)
	s_mul_hi_u32 s1, s20, s24
	s_add_i32 s1, s1, s20
	s_lshr_b32 s11, s1, s25
	s_mul_i32 s1, s11, s26
	s_sub_i32 s1, s20, s1
	s_mul_hi_u32 s2, s1, s27
	s_add_i32 s2, s1, s2
	s_lshr_b32 s21, s2, s28
	s_mul_i32 s2, s21, s29
	s_sub_i32 s1, s1, s2
	;; [unrolled: 5-line block ×3, first 2 shown]
	s_mul_hi_u32 s1, s0, s16
	s_add_i32 s0, s0, s1
	s_lshr_b32 s22, s0, s17
	s_lshl_b32 s23, s2, 2
	s_add_i32 s22, s22, s7
	s_cmp_lt_i32 s22, s12
	s_cselect_b64 s[0:1], -1, 0
	s_add_i32 s23, s23, s8
	s_cmp_lt_i32 s23, s14
	s_cselect_b64 s[2:3], -1, 0
	s_and_b64 s[0:1], s[0:1], s[2:3]
	s_andn2_b64 vcc, exec, s[0:1]
	s_cbranch_vccnz .LBB32_24
; %bb.8:
	s_load_dwordx4 s[0:3], s[4:5], 0x0
	s_lshl_b32 s4, s9, 4
	s_mov_b32 s5, s10
	s_lshl_b64 s[4:5], s[4:5], 2
	s_mul_i32 s24, s21, s14
	s_waitcnt lgkmcnt(0)
	s_add_u32 s14, s2, s4
	s_mul_i32 s11, s11, s12
	s_addc_u32 s21, s3, s5
	s_add_i32 s4, s22, s11
	s_mul_i32 s4, s4, s13
	s_add_i32 s5, s23, s24
	s_add_i32 s5, s5, s4
	v_lshl_or_b32 v2, s5, 7, v0
	v_ashrrev_i32_e32 v3, 31, v2
	v_lshlrev_b64 v[2:3], 2, v[2:3]
	v_mov_b32_e32 v1, s1
	v_add_co_u32_e32 v2, vcc, s0, v2
	v_addc_co_u32_e32 v3, vcc, v1, v3, vcc
	global_load_dword v5, v[2:3], off
	v_lshl_or_b32 v4, s8, 7, v0
	v_cvt_f32_u32_e32 v0, s9
	v_cvt_f32_ubyte0_e32 v1, 0
	s_add_i32 s0, s7, s6
	s_lshl_b32 s0, s0, 2
	v_mac_f32_e32 v0, 0x4f800000, v1
	v_rcp_f32_e32 v0, v0
	v_cvt_f32_u32_e32 v1, s9
	s_add_i32 s0, s0, s8
	s_ashr_i32 s1, s0, 31
	s_lshl_b64 s[0:1], s[0:1], 3
	v_mul_f32_e32 v0, 0x5f7ffffc, v0
	v_rcp_iflag_f32_e32 v1, v1
	s_add_u32 s0, s2, s0
	v_mul_f32_e32 v9, 0x2f800000, v0
	s_addc_u32 s1, s3, s1
	v_trunc_f32_e32 v10, v9
	s_load_dwordx2 s[0:1], s[0:1], 0x0
	v_mac_f32_e32 v0, 0xcf800000, v10
	v_cvt_u32_f32_e32 v9, v0
	v_mul_f32_e32 v0, 0x4f7ffffe, v1
	v_cvt_u32_f32_e32 v10, v10
	v_cvt_u32_f32_e32 v11, v0
	s_add_i32 s13, s6, -1
	s_waitcnt lgkmcnt(0)
	v_mov_b32_e32 v6, s1
	v_mov_b32_e32 v7, s0
	;; [unrolled: 1-line block ×3, first 2 shown]
	s_mov_b32 s6, 0x3fb8aa3b
	s_mov_b32 s12, 0xc2ce8ed0
	;; [unrolled: 1-line block ×4, first 2 shown]
	v_mov_b32_e32 v12, 0x7f800000
	s_mul_hi_i32 s11, s13, s15
	s_cmp_lg_u64 s[10:11], 0
	s_mul_i32 s4, s13, s15
	s_cbranch_scc0 .LBB32_15
.LBB32_9:
	s_sub_u32 s0, 0, s9
	v_readfirstlane_b32 s5, v9
	v_readfirstlane_b32 s25, v10
	s_subb_u32 s1, 0, 0
	s_mul_hi_u32 s24, s0, s5
	s_mul_i32 s26, s0, s25
	s_mul_i32 s23, s1, s5
	s_add_i32 s24, s24, s26
	s_add_i32 s24, s24, s23
	s_mul_i32 s27, s0, s5
	s_mul_hi_u32 s23, s5, s24
	s_mul_i32 s26, s5, s24
	s_mul_hi_u32 s5, s5, s27
	s_add_u32 s5, s5, s26
	s_addc_u32 s23, 0, s23
	s_mul_hi_u32 s28, s25, s27
	s_mul_i32 s27, s25, s27
	s_add_u32 s5, s5, s27
	s_mul_hi_u32 s26, s25, s24
	s_addc_u32 s5, s23, s28
	s_addc_u32 s23, s26, 0
	s_mul_i32 s24, s25, s24
	s_add_u32 s5, s5, s24
	s_addc_u32 s23, 0, s23
	v_add_co_u32_e32 v0, vcc, s5, v9
	s_cmp_lg_u64 vcc, 0
	s_addc_u32 s5, s25, s23
	v_readfirstlane_b32 s24, v0
	s_mul_i32 s23, s0, s5
	s_mul_hi_u32 s25, s0, s24
	s_add_i32 s23, s25, s23
	s_mul_i32 s1, s1, s24
	s_add_i32 s23, s23, s1
	s_mul_i32 s0, s0, s24
	s_mul_hi_u32 s25, s5, s0
	s_mul_i32 s26, s5, s0
	s_mul_i32 s28, s24, s23
	s_mul_hi_u32 s0, s24, s0
	s_mul_hi_u32 s27, s24, s23
	s_add_u32 s0, s0, s28
	s_addc_u32 s24, 0, s27
	s_add_u32 s0, s0, s26
	s_mul_hi_u32 s1, s5, s23
	s_addc_u32 s0, s24, s25
	s_addc_u32 s1, s1, 0
	s_mul_i32 s23, s5, s23
	s_add_u32 s0, s0, s23
	s_addc_u32 s1, 0, s1
	v_add_co_u32_e32 v0, vcc, s0, v0
	s_cmp_lg_u64 vcc, 0
	s_addc_u32 s5, s5, s1
	s_ashr_i32 s0, s11, 31
	s_add_u32 s24, s4, s0
	s_mov_b32 s1, s0
	s_addc_u32 s25, s11, s0
	s_xor_b64 s[24:25], s[24:25], s[0:1]
	v_readfirstlane_b32 s23, v0
	s_mul_i32 s11, s24, s5
	s_mul_hi_u32 s26, s24, s23
	s_mul_hi_u32 s1, s24, s5
	s_add_u32 s11, s26, s11
	s_addc_u32 s1, 0, s1
	s_mul_hi_u32 s27, s25, s23
	s_mul_i32 s23, s25, s23
	s_add_u32 s11, s11, s23
	s_mul_hi_u32 s26, s25, s5
	s_addc_u32 s1, s1, s27
	s_addc_u32 s11, s26, 0
	s_mul_i32 s5, s25, s5
	s_add_u32 s1, s1, s5
	s_addc_u32 s5, 0, s11
	s_mul_i32 s5, s9, s5
	s_mul_hi_u32 s26, s9, s1
	s_add_i32 s26, s26, s5
	s_mul_i32 s5, s9, s1
	v_mov_b32_e32 v0, s5
	s_add_u32 s11, s1, 1
	s_add_u32 s23, s1, 2
	v_sub_co_u32_e32 v0, vcc, s24, v0
	s_cmp_lg_u64 vcc, 0
	s_subb_u32 s5, s25, s26
	v_subrev_co_u32_e32 v1, vcc, s9, v0
	s_cmp_lg_u64 vcc, 0
	s_subb_u32 s24, s5, 0
	v_cmp_le_u32_e32 vcc, s9, v1
	s_cmp_eq_u32 s24, 0
	v_cndmask_b32_e64 v1, 0, -1, vcc
	s_cselect_b64 vcc, -1, 0
	v_cndmask_b32_e32 v1, -1, v1, vcc
	v_mov_b32_e32 v13, s11
	v_mov_b32_e32 v14, s23
	v_cmp_ne_u32_e32 vcc, 0, v1
	v_cndmask_b32_e32 v1, v13, v14, vcc
	v_cmp_le_u32_e32 vcc, s9, v0
	s_cmp_eq_u32 s5, 0
	v_cndmask_b32_e64 v0, 0, -1, vcc
	s_cselect_b64 vcc, -1, 0
	v_cndmask_b32_e32 v0, -1, v0, vcc
	v_mov_b32_e32 v13, s1
	v_cmp_ne_u32_e32 vcc, 0, v0
	v_cndmask_b32_e32 v0, v13, v1, vcc
	v_xor_b32_e32 v0, s0, v0
	v_subrev_co_u32_e32 v0, vcc, s0, v0
	s_cbranch_execnz .LBB32_11
.LBB32_10:
	s_sub_i32 s0, 0, s9
	v_mul_lo_u32 v0, s0, v11
	v_mul_hi_u32 v0, v11, v0
	v_add_u32_e32 v0, v11, v0
	v_mul_hi_u32 v0, s4, v0
	v_mul_lo_u32 v13, v0, s9
	v_sub_u32_e32 v13, s4, v13
	v_add_u32_e32 v1, 1, v0
	v_subrev_u32_e32 v14, s9, v13
	v_cmp_le_u32_e32 vcc, s9, v13
	v_cndmask_b32_e32 v13, v13, v14, vcc
	v_cndmask_b32_e32 v0, v0, v1, vcc
	v_add_u32_e32 v1, 1, v0
	v_cmp_le_u32_e32 vcc, s9, v13
	v_cndmask_b32_e32 v0, v0, v1, vcc
.LBB32_11:
	v_cmp_ne_u32_e32 vcc, v8, v0
	s_cbranch_vccz .LBB32_14
; %bb.12:
	s_add_i32 s23, s13, s7
	s_add_i32 s0, s23, s9
	s_lshl_b32 s0, s0, 2
	v_mul_hi_u32 v1, v0, s16
	s_add_i32 s0, s0, s8
	s_mov_b32 s1, s10
	v_add_u32_e32 v1, v1, v0
	s_lshl_b64 s[0:1], s[0:1], 3
	v_lshrrev_b32_e32 v1, s17, v1
	s_add_u32 s4, s2, s0
	v_mul_lo_u32 v13, v1, s18
	s_addc_u32 s5, s3, s1
	v_cmp_eq_u32_e32 vcc, v13, v0
	v_cmp_gt_u32_e64 s[0:1], s19, v1
	s_or_b64 s[0:1], s[0:1], vcc
	s_and_b64 vcc, exec, s[0:1]
	s_cbranch_vccnz .LBB32_16
; %bb.13:
	s_add_i32 s11, s13, -1
	s_mov_b64 s[0:1], 0
	s_branch .LBB32_17
.LBB32_14:
                                        ; implicit-def: $sgpr0_sgpr1
                                        ; implicit-def: $vgpr14
                                        ; implicit-def: $vgpr1
                                        ; implicit-def: $vgpr13
                                        ; implicit-def: $sgpr11
                                        ; implicit-def: $vgpr0
	s_branch .LBB32_18
.LBB32_15:
                                        ; implicit-def: $vgpr0_vgpr1
	s_branch .LBB32_10
.LBB32_16:
	s_mov_b64 s[0:1], -1
	s_mov_b32 s11, s13
	v_mov_b32_e32 v0, v8
.LBB32_17:
	v_lshl_add_u32 v14, s23, 9, v4
	v_ashrrev_i32_e32 v15, 31, v14
	v_lshlrev_b64 v[14:15], 2, v[14:15]
	v_mov_b32_e32 v1, s21
	v_add_co_u32_e32 v14, vcc, s14, v14
	v_addc_co_u32_e32 v15, vcc, v1, v15, vcc
	global_load_dword v14, v[14:15], off
	s_load_dwordx2 s[4:5], s[4:5], 0x0
	v_max_f32_e32 v1, v7, v7
	s_waitcnt lgkmcnt(0)
	v_max_f32_e64 v13, s4, s4
	v_max_f32_e32 v1, v1, v13
	v_sub_f32_e32 v13, v7, v1
	v_sub_f32_e32 v15, s4, v1
	v_mul_f32_e32 v16, 0x3fb8aa3b, v13
	v_mul_f32_e32 v17, 0x3fb8aa3b, v15
	v_fma_f32 v18, v13, s6, -v16
	v_rndne_f32_e32 v19, v16
	v_fma_f32 v20, v15, s6, -v17
	v_rndne_f32_e32 v21, v17
	v_fmac_f32_e32 v18, 0x32a5705f, v13
	v_sub_f32_e32 v16, v16, v19
	v_fmac_f32_e32 v20, 0x32a5705f, v15
	v_sub_f32_e32 v17, v17, v21
	v_add_f32_e32 v16, v16, v18
	v_cvt_i32_f32_e32 v19, v19
	v_add_f32_e32 v17, v17, v20
	v_exp_f32_e32 v16, v16
	v_cvt_i32_f32_e32 v21, v21
	v_exp_f32_e32 v17, v17
	v_cmp_ngt_f32_e32 vcc, s12, v13
	v_ldexp_f32 v16, v16, v19
	v_cndmask_b32_e32 v16, 0, v16, vcc
	v_ldexp_f32 v17, v17, v21
	v_cmp_ngt_f32_e32 vcc, s12, v15
	v_cndmask_b32_e32 v17, 0, v17, vcc
	v_cmp_nlt_f32_e32 vcc, s20, v13
	v_cndmask_b32_e32 v16, v12, v16, vcc
	v_cmp_nlt_f32_e32 vcc, s20, v15
	v_cndmask_b32_e32 v17, v12, v17, vcc
	v_cmp_le_f32_e32 vcc, s22, v13
	v_cndmask_b32_e32 v16, 0, v16, vcc
	v_cmp_le_f32_e32 vcc, s22, v15
	v_cndmask_b32_e32 v15, 0, v17, vcc
	v_mul_f32_e32 v13, s5, v15
	v_fmac_f32_e32 v13, v6, v16
	s_waitcnt vmcnt(0)
	v_mul_f32_e32 v14, v14, v15
	v_fmac_f32_e32 v14, v5, v16
	s_cbranch_execnz .LBB32_19
.LBB32_18:
	s_add_i32 s11, s13, -1
	s_mov_b64 s[0:1], 0
	v_mov_b32_e32 v0, v8
	v_mov_b32_e32 v13, v6
	;; [unrolled: 1-line block ×3, first 2 shown]
	s_waitcnt vmcnt(0)
	v_mov_b32_e32 v14, v5
.LBB32_19:
	s_andn2_b64 vcc, exec, s[0:1]
	s_cbranch_vccz .LBB32_23
; %bb.20:
	v_mov_b32_e32 v8, v0
	s_mov_b32 s13, s11
	v_mov_b32_e32 v6, v13
	v_mov_b32_e32 v7, v1
	s_waitcnt vmcnt(0)
	v_mov_b32_e32 v5, v14
	s_mul_hi_i32 s11, s13, s15
	s_cmp_lg_u64 s[10:11], 0
	s_mul_i32 s4, s13, s15
	s_cbranch_scc1 .LBB32_9
	s_branch .LBB32_15
.LBB32_21:
                                        ; implicit-def: $sgpr20_sgpr21
	s_load_dwordx4 s[16:19], s[4:5], 0x44
	s_branch .LBB32_2
.LBB32_22:
                                        ; implicit-def: $vgpr2_vgpr3
	s_branch .LBB32_5
.LBB32_23:
	v_div_scale_f32 v0, s[0:1], v13, v13, v14
	v_rcp_f32_e32 v1, v0
	v_div_scale_f32 v4, vcc, v14, v13, v14
	s_waitcnt vmcnt(0)
	v_fma_f32 v5, -v0, v1, 1.0
	v_fmac_f32_e32 v1, v5, v1
	v_mul_f32_e32 v5, v4, v1
	v_fma_f32 v6, -v0, v5, v4
	v_fmac_f32_e32 v5, v6, v1
	v_fma_f32 v0, -v0, v5, v4
	v_div_fmas_f32 v0, v0, v1, v5
	v_div_fixup_f32 v0, v0, v13, v14
	global_store_dword v[2:3], v0, off
.LBB32_24:
	s_endpgm
	.section	.rodata,"a",@progbits
	.p2align	6, 0x0
	.amdhsa_kernel _ZL33flash_attn_stream_k_fixup_generalILi128ELi1ELi4EEvPfPK15HIP_vector_typeIfLj2EEiiiiS1_IjLj3EES5_S5_S5_
		.amdhsa_group_segment_fixed_size 0
		.amdhsa_private_segment_fixed_size 0
		.amdhsa_kernarg_size 336
		.amdhsa_user_sgpr_count 6
		.amdhsa_user_sgpr_private_segment_buffer 1
		.amdhsa_user_sgpr_dispatch_ptr 0
		.amdhsa_user_sgpr_queue_ptr 0
		.amdhsa_user_sgpr_kernarg_segment_ptr 1
		.amdhsa_user_sgpr_dispatch_id 0
		.amdhsa_user_sgpr_flat_scratch_init 0
		.amdhsa_user_sgpr_kernarg_preload_length 0
		.amdhsa_user_sgpr_kernarg_preload_offset 0
		.amdhsa_user_sgpr_private_segment_size 0
		.amdhsa_uses_dynamic_stack 0
		.amdhsa_system_sgpr_private_segment_wavefront_offset 0
		.amdhsa_system_sgpr_workgroup_id_x 1
		.amdhsa_system_sgpr_workgroup_id_y 1
		.amdhsa_system_sgpr_workgroup_id_z 1
		.amdhsa_system_sgpr_workgroup_info 0
		.amdhsa_system_vgpr_workitem_id 0
		.amdhsa_next_free_vgpr 22
		.amdhsa_next_free_sgpr 32
		.amdhsa_accum_offset 24
		.amdhsa_reserve_vcc 1
		.amdhsa_reserve_flat_scratch 0
		.amdhsa_float_round_mode_32 0
		.amdhsa_float_round_mode_16_64 0
		.amdhsa_float_denorm_mode_32 3
		.amdhsa_float_denorm_mode_16_64 3
		.amdhsa_dx10_clamp 1
		.amdhsa_ieee_mode 1
		.amdhsa_fp16_overflow 0
		.amdhsa_tg_split 0
		.amdhsa_exception_fp_ieee_invalid_op 0
		.amdhsa_exception_fp_denorm_src 0
		.amdhsa_exception_fp_ieee_div_zero 0
		.amdhsa_exception_fp_ieee_overflow 0
		.amdhsa_exception_fp_ieee_underflow 0
		.amdhsa_exception_fp_ieee_inexact 0
		.amdhsa_exception_int_div_zero 0
	.end_amdhsa_kernel
	.section	.text._ZL33flash_attn_stream_k_fixup_generalILi128ELi1ELi4EEvPfPK15HIP_vector_typeIfLj2EEiiiiS1_IjLj3EES5_S5_S5_,"axG",@progbits,_ZL33flash_attn_stream_k_fixup_generalILi128ELi1ELi4EEvPfPK15HIP_vector_typeIfLj2EEiiiiS1_IjLj3EES5_S5_S5_,comdat
.Lfunc_end32:
	.size	_ZL33flash_attn_stream_k_fixup_generalILi128ELi1ELi4EEvPfPK15HIP_vector_typeIfLj2EEiiiiS1_IjLj3EES5_S5_S5_, .Lfunc_end32-_ZL33flash_attn_stream_k_fixup_generalILi128ELi1ELi4EEvPfPK15HIP_vector_typeIfLj2EEiiiiS1_IjLj3EES5_S5_S5_
                                        ; -- End function
	.section	.AMDGPU.csdata,"",@progbits
; Kernel info:
; codeLenInByte = 2804
; NumSgprs: 36
; NumVgprs: 22
; NumAgprs: 0
; TotalNumVgprs: 22
; ScratchSize: 0
; MemoryBound: 0
; FloatMode: 240
; IeeeMode: 1
; LDSByteSize: 0 bytes/workgroup (compile time only)
; SGPRBlocks: 4
; VGPRBlocks: 2
; NumSGPRsForWavesPerEU: 36
; NumVGPRsForWavesPerEU: 22
; AccumOffset: 24
; Occupancy: 8
; WaveLimiterHint : 0
; COMPUTE_PGM_RSRC2:SCRATCH_EN: 0
; COMPUTE_PGM_RSRC2:USER_SGPR: 6
; COMPUTE_PGM_RSRC2:TRAP_HANDLER: 0
; COMPUTE_PGM_RSRC2:TGID_X_EN: 1
; COMPUTE_PGM_RSRC2:TGID_Y_EN: 1
; COMPUTE_PGM_RSRC2:TGID_Z_EN: 1
; COMPUTE_PGM_RSRC2:TIDIG_COMP_CNT: 0
; COMPUTE_PGM_RSRC3_GFX90A:ACCUM_OFFSET: 5
; COMPUTE_PGM_RSRC3_GFX90A:TG_SPLIT: 0
	.section	.text._ZL15flash_attn_tileILi128ELi128ELi32ELi2ELb0EEvPKcS1_S1_S1_S1_PKiPfP15HIP_vector_typeIfLj2EEffffjfiS5_IjLj3EEiiiiiiiiiiiliiliiiiil,"axG",@progbits,_ZL15flash_attn_tileILi128ELi128ELi32ELi2ELb0EEvPKcS1_S1_S1_S1_PKiPfP15HIP_vector_typeIfLj2EEffffjfiS5_IjLj3EEiiiiiiiiiiiliiliiiiil,comdat
	.globl	_ZL15flash_attn_tileILi128ELi128ELi32ELi2ELb0EEvPKcS1_S1_S1_S1_PKiPfP15HIP_vector_typeIfLj2EEffffjfiS5_IjLj3EEiiiiiiiiiiiliiliiiiil ; -- Begin function _ZL15flash_attn_tileILi128ELi128ELi32ELi2ELb0EEvPKcS1_S1_S1_S1_PKiPfP15HIP_vector_typeIfLj2EEffffjfiS5_IjLj3EEiiiiiiiiiiiliiliiiiil
	.p2align	8
	.type	_ZL15flash_attn_tileILi128ELi128ELi32ELi2ELb0EEvPKcS1_S1_S1_S1_PKiPfP15HIP_vector_typeIfLj2EEffffjfiS5_IjLj3EEiiiiiiiiiiiliiliiiiil,@function
_ZL15flash_attn_tileILi128ELi128ELi32ELi2ELb0EEvPKcS1_S1_S1_S1_PKiPfP15HIP_vector_typeIfLj2EEffffjfiS5_IjLj3EEiiiiiiiiiiiliiliiiiil: ; @_ZL15flash_attn_tileILi128ELi128ELi32ELi2ELb0EEvPKcS1_S1_S1_S1_PKiPfP15HIP_vector_typeIfLj2EEffffjfiS5_IjLj3EEiiiiiiiiiiiliiliiiiil
; %bb.0:
	s_load_dwordx4 s[60:63], s[4:5], 0x5c
	s_load_dwordx2 s[66:67], s[4:5], 0x80
	s_load_dwordx16 s[44:59], s[4:5], 0x0
	s_mov_b64 s[68:69], 0
	s_waitcnt lgkmcnt(0)
	s_lshr_b32 s0, s63, 31
	s_add_i32 s0, s63, s0
	s_ashr_i32 s0, s0, 1
	v_cvt_f32_u32_e32 v1, s0
	s_sub_i32 s1, 0, s0
	v_rcp_iflag_f32_e32 v1, v1
	v_mul_f32_e32 v1, 0x4f7ffffe, v1
	v_cvt_u32_f32_e32 v1, v1
	v_readfirstlane_b32 s2, v1
	s_mul_i32 s1, s1, s2
	s_mul_hi_u32 s1, s2, s1
	s_add_i32 s2, s2, s1
	s_mul_hi_u32 s1, s8, s2
	s_mul_i32 s2, s1, s0
	s_sub_i32 s2, s8, s2
	s_add_i32 s3, s1, 1
	s_sub_i32 s9, s2, s0
	s_cmp_ge_u32 s2, s0
	s_cselect_b32 s1, s3, s1
	s_cselect_b32 s2, s9, s2
	s_add_i32 s3, s1, 1
	s_cmp_ge_u32 s2, s0
	s_cselect_b32 s33, s3, s1
	s_abs_i32 s0, s67
	v_cvt_f32_u32_e32 v1, s0
	s_lshl_b32 s1, s8, 1
	s_mul_i32 s8, s33, s63
	s_sub_i32 s9, 0, s0
	v_rcp_iflag_f32_e32 v1, v1
	s_sub_i32 s64, s1, s8
	s_abs_i32 s3, s63
	s_xor_b32 s2, s63, s67
	v_mul_f32_e32 v1, 0x4f7ffffe, v1
	v_cvt_u32_f32_e32 v1, v1
	s_ashr_i32 s2, s2, 31
	v_readfirstlane_b32 s1, v1
	s_mul_i32 s9, s9, s1
	s_mul_hi_u32 s8, s1, s9
	s_add_i32 s1, s1, s8
	s_mul_hi_u32 s1, s3, s1
	s_mul_i32 s8, s1, s0
	s_sub_i32 s3, s3, s8
	s_add_i32 s9, s1, 1
	s_sub_i32 s8, s3, s0
	s_cmp_ge_u32 s3, s0
	s_cselect_b32 s1, s9, s1
	s_cselect_b32 s3, s8, s3
	s_add_i32 s8, s1, 1
	s_cmp_ge_u32 s3, s0
	s_cselect_b32 s0, s8, s1
	s_xor_b32 s0, s0, s2
	s_sub_i32 s11, s0, s2
	s_abs_i32 s10, s11
	v_cvt_f32_u32_e32 v1, s10
	s_load_dwordx2 s[8:9], s[4:5], 0xb8
	s_cmp_eq_u64 s[50:51], 0
	v_rcp_iflag_f32_e32 v1, v1
	v_mul_f32_e32 v1, 0x4f7ffffe, v1
	v_cvt_u32_f32_e32 v1, v1
	v_readfirstlane_b32 s12, v1
	s_cbranch_scc1 .LBB33_2
; %bb.1:
	s_waitcnt lgkmcnt(0)
	s_abs_i32 s2, s8
	v_cvt_f32_u32_e32 v1, s2
	s_sub_i32 s13, 0, s2
	s_abs_i32 s8, s33
	s_ashr_i32 s3, s33, 31
	v_rcp_iflag_f32_e32 v1, v1
	s_load_dwordx2 s[0:1], s[4:5], 0xc8
	v_mul_f32_e32 v1, 0x4f7ffffe, v1
	v_cvt_u32_f32_e32 v1, v1
	v_readfirstlane_b32 s14, v1
	s_mul_i32 s13, s13, s14
	s_mul_hi_u32 s13, s14, s13
	s_add_i32 s14, s14, s13
	s_mul_hi_u32 s13, s8, s14
	s_mul_i32 s13, s13, s2
	s_sub_i32 s8, s8, s13
	s_sub_i32 s13, s8, s2
	s_cmp_ge_u32 s8, s2
	s_cselect_b32 s8, s13, s8
	s_sub_i32 s13, s8, s2
	s_cmp_ge_u32 s8, s2
	s_cselect_b32 s2, s13, s8
	s_xor_b32 s2, s2, s3
	s_sub_i32 s2, s2, s3
	s_ashr_i32 s3, s2, 31
	s_waitcnt lgkmcnt(0)
	s_mul_i32 s1, s2, s1
	s_mul_hi_u32 s8, s2, s0
	s_add_i32 s1, s8, s1
	s_mul_i32 s3, s3, s0
	s_add_i32 s1, s1, s3
	s_mul_i32 s2, s2, s0
	s_add_u32 s68, s50, s2
	s_addc_u32 s69, s51, s1
.LBB33_2:
	s_load_dwordx4 s[0:3], s[4:5], 0x70
	v_bfe_u32 v9, v0, 10, 10
	s_lshl_b32 s67, s6, 5
	v_lshlrev_b32_e32 v125, 2, v9
	v_add_u32_e32 v127, s67, v125
	s_waitcnt lgkmcnt(0)
	s_mul_i32 s2, s33, s2
	s_ashr_i32 s8, s2, 31
	v_and_b32_e32 v126, 0x3ff, v0
	v_mul_hi_u32 v0, v127, s60
	s_mul_i32 s3, s64, s1
	s_add_u32 s2, s44, s2
	v_add_u32_e32 v0, v127, v0
	s_addc_u32 s8, s45, s8
	s_ashr_i32 s13, s3, 31
	v_lshrrev_b32_e32 v0, s61, v0
	s_add_u32 s2, s2, s3
	v_mul_lo_u32 v0, v0, s62
	s_addc_u32 s3, s8, s13
	s_ashr_i32 s13, s0, 31
	v_sub_u32_e32 v10, v127, v0
	v_mov_b32_e32 v0, s0
	v_alignbit_b32 v32, s13, v0, 2
	v_mad_u64_u32 v[0:1], s[14:15], v32, v10, 0
	v_mov_b32_e32 v2, v1
	s_lshr_b32 s0, s13, 2
	v_mad_u64_u32 v[2:3], s[14:15], s0, v10, v[2:3]
	v_mov_b32_e32 v1, v2
	v_lshlrev_b64 v[0:1], 2, v[0:1]
	v_mov_b32_e32 v2, s3
	v_add_co_u32_e32 v3, vcc, s2, v0
	s_ashr_i32 s8, s1, 31
	v_addc_co_u32_e32 v2, vcc, v2, v1, vcc
	v_lshlrev_b32_e32 v8, 4, v126
	s_and_b32 s1, s1, -4
	v_add_co_u32_e32 v12, vcc, v3, v8
	s_add_u32 s1, s2, s1
	v_lshlrev_b32_e32 v11, 3, v9
	v_addc_co_u32_e32 v13, vcc, 0, v2, vcc
	s_addc_u32 s8, s3, s8
	v_mov_b32_e32 v2, s8
	v_add_co_u32_e32 v0, vcc, s1, v0
	v_or_b32_e32 v36, 2, v11
	v_addc_co_u32_e32 v1, vcc, v2, v1, vcc
	v_lshrrev_b32_e32 v123, 1, v36
	v_add_co_u32_e32 v14, vcc, v0, v8
	v_add_u32_e32 v124, s67, v123
	v_addc_co_u32_e32 v15, vcc, 0, v1, vcc
	global_load_dwordx4 v[4:7], v[12:13], off
	global_load_dwordx4 v[0:3], v[14:15], off
	v_mul_hi_u32 v12, v124, s60
	v_add_u32_e32 v12, v124, v12
	v_lshrrev_b32_e32 v12, s61, v12
	v_mul_lo_u32 v12, v12, s62
	v_sub_u32_e32 v15, v124, v12
	v_mad_u64_u32 v[12:13], s[14:15], v32, v15, 0
	v_mov_b32_e32 v14, v13
	v_mad_u64_u32 v[14:15], s[14:15], s0, v15, v[14:15]
	v_mov_b32_e32 v13, v14
	v_lshlrev_b64 v[12:13], 2, v[12:13]
	v_or_b32_e32 v37, 3, v11
	v_mov_b32_e32 v14, s3
	v_add_co_u32_e32 v12, vcc, s2, v12
	v_lshrrev_b32_e32 v121, 1, v37
	v_addc_co_u32_e32 v13, vcc, v14, v13, vcc
	v_add_u32_e32 v122, s67, v121
	v_add_co_u32_e32 v20, vcc, v12, v8
	v_mul_hi_u32 v12, v122, s60
	v_add_u32_e32 v12, v122, v12
	v_lshrrev_b32_e32 v12, s61, v12
	v_mul_lo_u32 v12, v12, s62
	v_sub_u32_e32 v15, v122, v12
	v_addc_co_u32_e32 v21, vcc, 0, v13, vcc
	v_mad_u64_u32 v[12:13], s[14:15], v32, v15, 0
	v_mov_b32_e32 v14, v13
	v_mad_u64_u32 v[14:15], s[14:15], s0, v15, v[14:15]
	v_mov_b32_e32 v13, v14
	v_lshlrev_b64 v[12:13], 2, v[12:13]
	v_mov_b32_e32 v14, s8
	v_add_co_u32_e32 v12, vcc, s1, v12
	v_or_b32_e32 v38, 4, v11
	v_addc_co_u32_e32 v13, vcc, v14, v13, vcc
	v_lshrrev_b32_e32 v118, 1, v38
	v_add_co_u32_e32 v22, vcc, v12, v8
	v_add_u32_e32 v119, s67, v118
	v_addc_co_u32_e32 v23, vcc, 0, v13, vcc
	global_load_dwordx4 v[12:15], v[20:21], off
	global_load_dwordx4 v[16:19], v[22:23], off
	v_mul_hi_u32 v20, v119, s60
	v_add_u32_e32 v20, v119, v20
	v_lshrrev_b32_e32 v20, s61, v20
	v_mul_lo_u32 v20, v20, s62
	v_sub_u32_e32 v23, v119, v20
	v_mad_u64_u32 v[20:21], s[14:15], v32, v23, 0
	v_mov_b32_e32 v22, v21
	v_mad_u64_u32 v[22:23], s[14:15], s0, v23, v[22:23]
	v_mov_b32_e32 v21, v22
	v_lshlrev_b64 v[20:21], 2, v[20:21]
	v_or_b32_e32 v39, 5, v11
	v_mov_b32_e32 v22, s3
	v_add_co_u32_e32 v20, vcc, s2, v20
	v_lshrrev_b32_e32 v116, 1, v39
	v_addc_co_u32_e32 v21, vcc, v22, v21, vcc
	v_add_u32_e32 v117, s67, v116
	v_add_co_u32_e32 v28, vcc, v20, v8
	v_mul_hi_u32 v20, v117, s60
	v_add_u32_e32 v20, v117, v20
	v_lshrrev_b32_e32 v20, s61, v20
	v_mul_lo_u32 v20, v20, s62
	v_sub_u32_e32 v23, v117, v20
	v_addc_co_u32_e32 v29, vcc, 0, v21, vcc
	v_mad_u64_u32 v[20:21], s[14:15], v32, v23, 0
	v_mov_b32_e32 v22, v21
	v_mad_u64_u32 v[22:23], s[14:15], s0, v23, v[22:23]
	v_mov_b32_e32 v21, v22
	v_lshlrev_b64 v[20:21], 2, v[20:21]
	v_mov_b32_e32 v22, s8
	v_add_co_u32_e32 v20, vcc, s1, v20
	v_or_b32_e32 v40, 6, v11
	v_addc_co_u32_e32 v21, vcc, v22, v21, vcc
	v_lshrrev_b32_e32 v114, 1, v40
	v_add_co_u32_e32 v30, vcc, v20, v8
	v_add_u32_e32 v115, s67, v114
	v_addc_co_u32_e32 v31, vcc, 0, v21, vcc
	global_load_dwordx4 v[20:23], v[28:29], off
	global_load_dwordx4 v[24:27], v[30:31], off
	v_mul_hi_u32 v28, v115, s60
	v_add_u32_e32 v28, v115, v28
	v_lshrrev_b32_e32 v28, s61, v28
	v_mul_lo_u32 v28, v28, s62
	v_or_b32_e32 v41, 7, v11
	v_sub_u32_e32 v31, v115, v28
	v_lshrrev_b32_e32 v112, 1, v41
	v_mad_u64_u32 v[28:29], s[14:15], v32, v31, 0
	v_add_u32_e32 v113, s67, v112
	v_mov_b32_e32 v30, v29
	v_mul_hi_u32 v33, v113, s60
	v_mad_u64_u32 v[30:31], s[14:15], s0, v31, v[30:31]
	v_add_u32_e32 v33, v113, v33
	v_mov_b32_e32 v29, v30
	v_lshrrev_b32_e32 v33, s61, v33
	v_lshlrev_b64 v[28:29], 2, v[28:29]
	v_mul_lo_u32 v33, v33, s62
	v_mov_b32_e32 v30, s3
	v_add_co_u32_e32 v28, vcc, s2, v28
	v_sub_u32_e32 v35, v113, v33
	v_addc_co_u32_e32 v29, vcc, v30, v29, vcc
	v_mad_u64_u32 v[32:33], s[2:3], v32, v35, 0
	v_add_co_u32_e32 v28, vcc, v28, v8
	v_mov_b32_e32 v34, v33
	v_addc_co_u32_e32 v29, vcc, 0, v29, vcc
	v_mad_u64_u32 v[34:35], s[2:3], s0, v35, v[34:35]
	global_load_dwordx4 v[28:31], v[28:29], off
	v_mov_b32_e32 v33, v34
	v_lshlrev_b64 v[32:33], 2, v[32:33]
	v_mov_b32_e32 v34, s8
	v_add_co_u32_e32 v32, vcc, s1, v32
	v_addc_co_u32_e32 v33, vcc, v34, v33, vcc
	v_add_co_u32_e32 v32, vcc, v32, v8
	v_addc_co_u32_e32 v33, vcc, 0, v33, vcc
	global_load_dwordx4 v[32:35], v[32:33], off
	s_load_dword s0, s[4:5], 0x40
	v_lshlrev_b32_e32 v42, 1, v126
	s_cmp_eq_u64 s[54:55], 0
	s_waitcnt vmcnt(7) lgkmcnt(0)
	v_pk_mul_f32 v[4:5], v[4:5], s[0:1] op_sel_hi:[1,0]
	v_cvt_f16_f32_e32 v43, v5
	v_cvt_f16_f32_e32 v44, v4
	v_pk_mul_f32 v[4:5], v[6:7], s[0:1] op_sel_hi:[1,0]
	s_waitcnt vmcnt(6)
	v_pk_mul_f32 v[0:1], v[0:1], s[0:1] op_sel_hi:[1,0]
	v_pk_mul_f32 v[2:3], v[2:3], s[0:1] op_sel_hi:[1,0]
	v_cvt_f16_f32_e32 v5, v5
	v_cvt_f16_f32_e32 v4, v4
	;; [unrolled: 1-line block ×6, first 2 shown]
	v_lshlrev_b32_e32 v6, 3, v126
	v_lshl_or_b32 v6, v9, 11, v6
	v_pack_b32_f16 v1, v4, v5
	v_pack_b32_f16 v0, v44, v43
	;; [unrolled: 1-line block ×4, first 2 shown]
	ds_write2_b64 v6, v[0:1], v[2:3] offset1:32
	s_waitcnt vmcnt(5)
	v_pk_mul_f32 v[0:1], v[12:13], s[0:1] op_sel_hi:[1,0]
	v_pk_mul_f32 v[2:3], v[14:15], s[0:1] op_sel_hi:[1,0]
	v_cvt_f16_f32_e32 v4, v1
	v_cvt_f16_f32_e32 v1, v3
	v_cvt_f16_f32_e32 v2, v2
	v_cvt_f16_f32_e32 v0, v0
	v_lshlrev_b32_e32 v3, 6, v36
	v_add_lshl_u32 v3, v3, v42, 2
	v_pack_b32_f16 v1, v2, v1
	v_pack_b32_f16 v0, v0, v4
	ds_write_b64 v3, v[0:1]
	s_waitcnt vmcnt(4)
	v_pk_mul_f32 v[0:1], v[16:17], s[0:1] op_sel_hi:[1,0]
	v_pk_mul_f32 v[2:3], v[18:19], s[0:1] op_sel_hi:[1,0]
	v_cvt_f16_f32_e32 v4, v1
	v_cvt_f16_f32_e32 v1, v3
	v_cvt_f16_f32_e32 v2, v2
	v_cvt_f16_f32_e32 v0, v0
	v_lshlrev_b32_e32 v3, 6, v37
	v_add_lshl_u32 v3, v3, v42, 2
	v_pack_b32_f16 v1, v2, v1
	v_pack_b32_f16 v0, v0, v4
	ds_write_b64 v3, v[0:1]
	;; [unrolled: 12-line block ×6, first 2 shown]
	s_waitcnt lgkmcnt(0)
	s_barrier
	s_cbranch_scc1 .LBB33_4
; %bb.3:
	s_load_dword s0, s[4:5], 0xd0
	s_mov_b32 s1, 0
	s_waitcnt lgkmcnt(0)
	s_mul_i32 s0, s0, s33
	s_add_i32 s0, s0, s6
	s_lshl_b64 s[0:1], s[0:1], 2
	s_add_u32 s0, s54, s0
	s_addc_u32 s1, s55, s1
	s_load_dword s66, s[0:1], 0x0
.LBB33_4:
	s_lshl_b32 s54, s7, 6
	s_waitcnt lgkmcnt(0)
	s_cmp_lt_i32 s54, s66
	v_mbcnt_lo_u32_b32 v12, -1, 0
	s_cbranch_scc1 .LBB33_6
; %bb.5:
	v_mbcnt_hi_u32_b32 v128, -1, v12
	v_and_b32_e32 v0, 0x60, v128
	s_mov_b32 s2, 0
	v_add_u32_e32 v129, 32, v0
	v_xor_b32_e32 v133, 16, v128
	v_xor_b32_e32 v134, 8, v128
	;; [unrolled: 1-line block ×5, first 2 shown]
	s_mov_b64 s[0:1], 0
	s_mov_b32 s3, 0xfeffffff
	s_branch .LBB33_7
.LBB33_6:
	s_mov_b64 s[0:1], -1
                                        ; implicit-def: $sgpr3
                                        ; implicit-def: $sgpr2
                                        ; implicit-def: $vgpr128
                                        ; implicit-def: $vgpr129
                                        ; implicit-def: $vgpr133
                                        ; implicit-def: $vgpr134
                                        ; implicit-def: $vgpr132
                                        ; implicit-def: $vgpr131
                                        ; implicit-def: $vgpr130
.LBB33_7:
	v_lshlrev_b32_e32 v120, 2, v126
	s_andn2_b64 vcc, exec, s[0:1]
	v_mov_b32_e32 v7, s3
	v_mov_b32_e32 v105, s2
	v_mov_b32_e32 v58, s2
	v_mov_b32_e32 v6, s3
	v_mov_b32_e32 v5, s3
	v_mov_b32_e32 v4, s3
	v_mov_b32_e32 v3, s3
	v_mov_b32_e32 v2, s3
	v_mov_b32_e32 v1, s3
	v_mov_b32_e32 v0, s3
	v_mov_b32_e32 v104, s2
	v_mov_b32_e32 v107, s2
	v_mov_b32_e32 v106, s2
	v_mov_b32_e32 v111, s2
	v_mov_b32_e32 v110, s2
	v_mov_b32_e32 v109, s2
	v_mov_b32_e32 v108, s2
	v_mov_b32_e32 v59, s2
	v_mov_b32_e32 v57, s2
	v_mov_b32_e32 v56, s2
	v_mov_b32_e32 v55, s2
	v_mov_b32_e32 v54, s2
	v_mov_b32_e32 v53, s2
	v_mov_b32_e32 v52, s2
	v_mov_b32_e32 v51, s2
	v_mov_b32_e32 v50, s2
	v_mov_b32_e32 v49, s2
	v_mov_b32_e32 v48, s2
	v_mov_b32_e32 v47, s2
	v_mov_b32_e32 v46, s2
	v_mov_b32_e32 v45, s2
	v_mov_b32_e32 v44, s2
	s_cbranch_vccnz .LBB33_10
; %bb.8:
	s_sub_i32 s0, 0, s10
	s_mul_i32 s0, s0, s12
	s_mul_hi_u32 s0, s12, s0
	s_add_i32 s8, s12, s0
	s_load_dwordx2 s[12:13], s[4:5], 0x8c
	s_load_dwordx4 s[0:3], s[4:5], 0x98
	s_abs_i32 s6, s64
	s_mul_hi_u32 s8, s6, s8
	s_ashr_i32 s16, s64, 31
	s_waitcnt lgkmcnt(0)
	s_ashr_i32 s65, s12, 2
	s_ashr_i32 s55, s2, 2
	;; [unrolled: 1-line block ×4, first 2 shown]
	s_mul_i32 s1, s33, s1
	s_mul_hi_u32 s12, s33, s0
	s_add_i32 s1, s12, s1
	s_mul_i32 s12, s9, s0
	s_ashr_i32 s11, s11, 31
	s_add_i32 s1, s1, s12
	s_mul_i32 s0, s33, s0
	s_add_u32 s0, s46, s0
	s_mul_i32 s12, s8, s10
	s_addc_u32 s1, s47, s1
	s_sub_i32 s6, s6, s12
	s_xor_b32 s11, s16, s11
	s_add_i32 s12, s8, 1
	s_sub_i32 s16, s6, s10
	s_cmp_ge_u32 s6, s10
	s_cselect_b32 s8, s12, s8
	s_cselect_b32 s6, s16, s6
	s_add_i32 s12, s8, 1
	s_cmp_ge_u32 s6, s10
	s_cselect_b32 s6, s12, s8
	s_load_dwordx2 s[14:15], s[4:5], 0xa8
	s_xor_b32 s6, s6, s11
	s_sub_i32 s6, s6, s11
	s_mul_i32 s8, s6, s13
	s_ashr_i32 s10, s8, 31
	s_add_u32 s0, s0, s8
	s_addc_u32 s1, s1, s10
	s_waitcnt lgkmcnt(0)
	s_mul_i32 s8, s33, s15
	s_mul_hi_u32 s10, s33, s14
	s_add_i32 s8, s10, s8
	s_mul_i32 s9, s9, s14
	s_add_i32 s8, s8, s9
	s_mul_i32 s9, s33, s14
	v_lshrrev_b32_e32 v0, 2, v126
	s_add_u32 s9, s48, s9
	s_mul_i32 s6, s6, s3
	v_add_u32_e32 v0, v11, v0
	s_addc_u32 s8, s49, s8
	s_ashr_i32 s3, s6, 31
	v_and_b32_e32 v1, 12, v120
	v_mul_u32_u24_e32 v2, 0x50, v0
	v_mul_lo_u32 v0, s65, v0
	s_add_u32 s6, s9, s6
	v_lshlrev_b32_e32 v3, 2, v1
	v_ashrrev_i32_e32 v1, 31, v0
	s_addc_u32 s3, s8, s3
	s_movk_i32 s8, 0x6000
	v_lshlrev_b64 v[0:1], 2, v[0:1]
	v_add3_u32 v135, v2, v3, s8
	v_mov_b32_e32 v2, s1
	v_add_co_u32_e32 v0, vcc, s0, v0
	v_addc_co_u32_e32 v1, vcc, v2, v1, vcc
	v_add_co_u32_e32 v136, vcc, v0, v3
	v_add_u32_e32 v0, 1, v127
	v_addc_co_u32_e32 v137, vcc, 0, v1, vcc
	v_mul_hi_u32 v1, s60, v0
	v_add_u32_e32 v1, v0, v1
	v_lshrrev_b32_e32 v1, s61, v1
	v_mul_lo_u32 v1, v1, s62
	v_sub_u32_e32 v0, v0, v1
	v_mul_lo_u32 v141, v0, s2
	v_add_u32_e32 v0, 2, v127
	v_mul_hi_u32 v1, s60, v0
	v_add_u32_e32 v1, v0, v1
	v_lshrrev_b32_e32 v1, s61, v1
	v_mul_lo_u32 v1, v1, s62
	v_sub_u32_e32 v0, v0, v1
	v_mul_lo_u32 v142, v0, s2
	v_add_u32_e32 v0, 3, v127
	v_mul_hi_u32 v1, s60, v0
	v_add_u32_e32 v1, v0, v1
	v_lshrrev_b32_e32 v1, s61, v1
	v_mul_lo_u32 v1, v1, s62
	v_sub_u32_e32 v0, v0, v1
	v_mul_lo_u32 v143, v0, s2
	v_mov_b32_e32 v0, 0x4000
	v_lshl_add_u32 v144, v9, 10, v0
	v_lshrrev_b32_e32 v0, 4, v126
	v_and_b32_e32 v1, 60, v120
	v_lshl_add_u32 v0, v9, 1, v0
	v_lshlrev_b32_e32 v2, 2, v1
	v_lshl_or_b32 v1, v0, 8, v2
	v_mul_lo_u32 v0, s55, v0
	v_add_u32_e32 v145, 0x6000, v1
	v_ashrrev_i32_e32 v1, 31, v0
	v_lshlrev_b64 v[0:1], 2, v[0:1]
	v_mov_b32_e32 v3, s3
	v_add_co_u32_e32 v0, vcc, s6, v0
	v_addc_co_u32_e32 v1, vcc, v3, v1, vcc
	v_add_co_u32_e32 v146, vcc, v0, v2
	v_mov_b32_e32 v0, 0x6000
	v_mbcnt_hi_u32_b32 v128, -1, v12
	v_addc_co_u32_e32 v147, vcc, 0, v1, vcc
	v_lshl_or_b32 v148, v126, 3, v0
	s_add_u32 s50, s4, 0xd0
	v_mov_b32_e32 v0, 0xfeffffff
	v_mov_b32_e32 v108, 0
	v_and_b32_e32 v1, 0x60, v128
	v_mul_u32_u24_e32 v138, 0x50, v126
	v_lshlrev_b32_e32 v139, 11, v9
	v_mul_lo_u32 v140, v10, s2
	s_addc_u32 s51, s5, 0
	v_mov_b32_e32 v44, 0
	v_add_u32_e32 v129, 32, v1
	v_xor_b32_e32 v133, 16, v128
	v_xor_b32_e32 v134, 8, v128
	;; [unrolled: 1-line block ×5, first 2 shown]
	v_mov_b32_e32 v149, s69
	s_mov_b32 s6, 0x40051340
	s_mov_b32 s60, 0x3fb8aa3b
	;; [unrolled: 1-line block ×4, first 2 shown]
	v_mov_b32_e32 v150, 0x7f800000
	v_add_u32_e32 v151, v144, v8
	v_add_u32_e32 v152, 0x800, v148
	v_mov_b32_e32 v45, 0
	v_mov_b32_e32 v46, 0
	;; [unrolled: 1-line block ×29, first 2 shown]
.LBB33_9:                               ; =>This Inner Loop Header: Depth=1
	s_mul_hi_i32 s1, s54, s65
	s_mul_i32 s0, s54, s65
	v_cmp_lt_i32_e32 vcc, v133, v129
	v_cndmask_b32_e32 v9, v128, v133, vcc
	s_lshl_b64 s[0:1], s[0:1], 2
	v_lshlrev_b32_e32 v66, 2, v9
	v_mov_b32_e32 v9, s1
	v_add_co_u32_e64 v42, s[0:1], s0, v136
	v_addc_co_u32_e64 v43, s[0:1], v137, v9, s[0:1]
	global_load_dwordx4 v[68:71], v[42:43], off
	v_cmp_lt_i32_e32 vcc, v134, v129
	v_cndmask_b32_e32 v10, v128, v134, vcc
	v_cmp_lt_i32_e32 vcc, v132, v129
	v_add_u32_e32 v8, s54, v126
	v_cndmask_b32_e32 v11, v128, v132, vcc
	v_cmp_lt_i32_e32 vcc, v131, v129
	s_mul_hi_i32 s3, s54, s55
	s_mul_i32 s2, s54, s55
	v_cndmask_b32_e32 v30, v128, v131, vcc
	v_cmp_lt_i32_e32 vcc, v130, v129
	s_or_b32 s8, s54, 16
	s_or_b32 s9, s54, 32
	;; [unrolled: 1-line block ×3, first 2 shown]
	v_lshlrev_b32_e32 v65, 2, v10
	v_add_u32_e32 v10, v8, v140
	s_lshl_b64 s[2:3], s[2:3], 2
	v_cndmask_b32_e32 v31, v128, v130, vcc
	v_lshlrev_b32_e32 v64, 2, v11
	v_lshlrev_b32_e32 v63, 2, v30
	v_add_u32_e32 v30, v8, v141
	v_add_u32_e32 v32, v8, v142
	v_add_u32_e32 v34, v8, v143
	s_mul_hi_i32 s11, s8, s55
	s_mul_i32 s10, s8, s55
	s_mul_hi_i32 s13, s9, s55
	s_mul_i32 s12, s9, s55
	;; [unrolled: 2-line block ×3, first 2 shown]
	v_ashrrev_i32_e32 v11, 31, v10
	v_mov_b32_e32 v38, s3
	v_add_co_u32_e32 v8, vcc, s2, v146
	v_lshlrev_b32_e32 v62, 2, v31
	v_ashrrev_i32_e32 v31, 31, v30
	v_ashrrev_i32_e32 v35, 31, v34
	s_lshl_b64 s[2:3], s[10:11], 2
	s_lshl_b64 s[8:9], s[8:9], 2
	v_lshlrev_b64 v[10:11], 1, v[10:11]
	v_addc_co_u32_e32 v9, vcc, v147, v38, vcc
	v_lshlrev_b64 v[36:37], 1, v[30:31]
	v_lshlrev_b64 v[72:73], 1, v[34:35]
	v_mov_b32_e32 v31, s3
	v_add_co_u32_e32 v34, vcc, s2, v146
	v_mov_b32_e32 v67, s9
	v_add_co_u32_e64 v30, s[2:3], s8, v146
	v_add_co_u32_e64 v10, s[8:9], s68, v10
	v_addc_co_u32_e64 v11, s[8:9], v149, v11, s[8:9]
	v_ashrrev_i32_e32 v33, 31, v32
	v_add_co_u32_e64 v38, s[8:9], s68, v36
	v_lshlrev_b64 v[40:41], 1, v[32:33]
	v_addc_co_u32_e64 v39, s[8:9], v149, v37, s[8:9]
	v_add_co_u32_e64 v36, s[8:9], s68, v40
	v_addc_co_u32_e64 v37, s[8:9], v149, v41, s[8:9]
	v_mov_b32_e32 v14, v0
	v_mov_b32_e32 v0, 0
	v_add_co_u32_e64 v40, s[8:9], s68, v72
	v_addc_co_u32_e64 v41, s[8:9], v149, v73, s[8:9]
	v_mov_b32_e32 v15, v1
	v_mov_b32_e32 v1, 0
	;; [unrolled: 1-line block ×11, first 2 shown]
	s_waitcnt vmcnt(0)
	ds_write_b128 v135, v[68:71]
	s_waitcnt lgkmcnt(0)
	s_barrier
	ds_read_b128 v[68:71], v138 offset:24576
	ds_read_b128 v[72:75], v138 offset:27136
	ds_read_b128 v[76:79], v139
	ds_read_b128 v[80:83], v139 offset:256
	ds_read_b128 v[84:87], v139 offset:512
	;; [unrolled: 1-line block ×7, first 2 shown]
	s_waitcnt lgkmcnt(7)
	;;#ASMSTART
	v_dot2_f32_f16 v0, v68, v76, v0
	;;#ASMEND
	;;#ASMSTART
	v_dot2_f32_f16 v0, v69, v77, v0
	;;#ASMEND
	;;#ASMSTART
	v_dot2_f32_f16 v0, v70, v78, v0
	;;#ASMEND
	;;#ASMSTART
	v_dot2_f32_f16 v0, v71, v79, v0
	;;#ASMEND
	s_waitcnt lgkmcnt(6)
	;;#ASMSTART
	v_dot2_f32_f16 v1, v68, v80, v1
	;;#ASMEND
	;;#ASMSTART
	v_dot2_f32_f16 v1, v69, v81, v1
	;;#ASMEND
	;;#ASMSTART
	v_dot2_f32_f16 v1, v70, v82, v1
	;;#ASMEND
	;;#ASMSTART
	v_dot2_f32_f16 v1, v71, v83, v1
	;;#ASMEND
	s_waitcnt lgkmcnt(5)
	;;#ASMSTART
	v_dot2_f32_f16 v2, v68, v84, v2
	;;#ASMEND
	;;#ASMSTART
	v_dot2_f32_f16 v2, v69, v85, v2
	;;#ASMEND
	;;#ASMSTART
	v_dot2_f32_f16 v2, v70, v86, v2
	;;#ASMEND
	;;#ASMSTART
	v_dot2_f32_f16 v2, v71, v87, v2
	;;#ASMEND
	s_waitcnt lgkmcnt(4)
	;;#ASMSTART
	v_dot2_f32_f16 v3, v68, v88, v3
	;;#ASMEND
	;;#ASMSTART
	v_dot2_f32_f16 v3, v69, v89, v3
	;;#ASMEND
	;;#ASMSTART
	v_dot2_f32_f16 v3, v70, v90, v3
	;;#ASMEND
	;;#ASMSTART
	v_dot2_f32_f16 v3, v71, v91, v3
	;;#ASMEND
	s_waitcnt lgkmcnt(3)
	;;#ASMSTART
	v_dot2_f32_f16 v16, v68, v92, v16
	;;#ASMEND
	;;#ASMSTART
	v_dot2_f32_f16 v16, v69, v93, v16
	;;#ASMEND
	;;#ASMSTART
	v_dot2_f32_f16 v16, v70, v94, v16
	;;#ASMEND
	;;#ASMSTART
	v_dot2_f32_f16 v16, v71, v95, v16
	;;#ASMEND
	s_waitcnt lgkmcnt(2)
	;;#ASMSTART
	v_dot2_f32_f16 v17, v68, v96, v17
	;;#ASMEND
	;;#ASMSTART
	v_dot2_f32_f16 v17, v69, v97, v17
	;;#ASMEND
	;;#ASMSTART
	v_dot2_f32_f16 v17, v70, v98, v17
	;;#ASMEND
	;;#ASMSTART
	v_dot2_f32_f16 v17, v71, v99, v17
	;;#ASMEND
	s_waitcnt lgkmcnt(1)
	;;#ASMSTART
	v_dot2_f32_f16 v60, v68, v100, v60
	;;#ASMEND
	;;#ASMSTART
	v_dot2_f32_f16 v60, v69, v101, v60
	;;#ASMEND
	;;#ASMSTART
	v_dot2_f32_f16 v60, v70, v102, v60
	;;#ASMEND
	;;#ASMSTART
	v_dot2_f32_f16 v60, v71, v103, v60
	;;#ASMEND
	s_waitcnt lgkmcnt(0)
	;;#ASMSTART
	v_dot2_f32_f16 v18, v68, v154, v18
	;;#ASMEND
	;;#ASMSTART
	v_dot2_f32_f16 v18, v69, v155, v18
	;;#ASMEND
	;;#ASMSTART
	v_dot2_f32_f16 v18, v70, v156, v18
	;;#ASMEND
	;;#ASMSTART
	v_dot2_f32_f16 v18, v71, v157, v18
	;;#ASMEND
	;;#ASMSTART
	v_dot2_f32_f16 v20, v72, v76, v20
	;;#ASMEND
	;;#ASMSTART
	v_dot2_f32_f16 v20, v73, v77, v20
	;;#ASMEND
	v_mov_b32_e32 v21, 0
	;;#ASMSTART
	v_dot2_f32_f16 v20, v74, v78, v20
	;;#ASMEND
	;;#ASMSTART
	v_dot2_f32_f16 v20, v75, v79, v20
	;;#ASMEND
	;;#ASMSTART
	v_dot2_f32_f16 v21, v72, v80, v21
	;;#ASMEND
	;;#ASMSTART
	v_dot2_f32_f16 v21, v73, v81, v21
	;;#ASMEND
	v_mov_b32_e32 v22, 0
	;;#ASMSTART
	v_dot2_f32_f16 v21, v74, v82, v21
	;;#ASMEND
	;;#ASMSTART
	v_dot2_f32_f16 v21, v75, v83, v21
	;;#ASMEND
	;;#ASMSTART
	v_dot2_f32_f16 v22, v72, v84, v22
	;;#ASMEND
	;;#ASMSTART
	v_dot2_f32_f16 v22, v73, v85, v22
	;;#ASMEND
	v_mov_b32_e32 v23, 0
	;;#ASMSTART
	v_dot2_f32_f16 v22, v74, v86, v22
	;;#ASMEND
	;;#ASMSTART
	v_dot2_f32_f16 v22, v75, v87, v22
	;;#ASMEND
	;;#ASMSTART
	v_dot2_f32_f16 v23, v72, v88, v23
	;;#ASMEND
	;;#ASMSTART
	v_dot2_f32_f16 v23, v73, v89, v23
	;;#ASMEND
	v_mov_b32_e32 v24, 0
	;;#ASMSTART
	v_dot2_f32_f16 v23, v74, v90, v23
	;;#ASMEND
	;;#ASMSTART
	v_dot2_f32_f16 v23, v75, v91, v23
	;;#ASMEND
	;;#ASMSTART
	v_dot2_f32_f16 v24, v72, v92, v24
	;;#ASMEND
	;;#ASMSTART
	v_dot2_f32_f16 v24, v73, v93, v24
	;;#ASMEND
	v_mov_b32_e32 v25, 0
	;;#ASMSTART
	v_dot2_f32_f16 v24, v74, v94, v24
	;;#ASMEND
	;;#ASMSTART
	v_dot2_f32_f16 v24, v75, v95, v24
	;;#ASMEND
	;;#ASMSTART
	v_dot2_f32_f16 v25, v72, v96, v25
	;;#ASMEND
	;;#ASMSTART
	v_dot2_f32_f16 v25, v73, v97, v25
	;;#ASMEND
	v_mov_b32_e32 v61, 0
	;;#ASMSTART
	v_dot2_f32_f16 v25, v74, v98, v25
	;;#ASMEND
	;;#ASMSTART
	v_dot2_f32_f16 v25, v75, v99, v25
	;;#ASMEND
	;;#ASMSTART
	v_dot2_f32_f16 v61, v72, v100, v61
	;;#ASMEND
	;;#ASMSTART
	v_dot2_f32_f16 v61, v73, v101, v61
	;;#ASMEND
	v_mov_b32_e32 v19, 0
	;;#ASMSTART
	v_dot2_f32_f16 v61, v74, v102, v61
	;;#ASMEND
	;;#ASMSTART
	v_dot2_f32_f16 v61, v75, v103, v61
	;;#ASMEND
	;;#ASMSTART
	v_dot2_f32_f16 v19, v72, v154, v19
	;;#ASMEND
	;;#ASMSTART
	v_dot2_f32_f16 v19, v73, v155, v19
	;;#ASMEND
	;; [unrolled: 3-line block ×4, first 2 shown]
	ds_read_b128 v[68:71], v138 offset:24592
	ds_read_b128 v[72:75], v138 offset:27152
	;; [unrolled: 1-line block ×10, first 2 shown]
	s_waitcnt lgkmcnt(7)
	;;#ASMSTART
	v_dot2_f32_f16 v0, v68, v76, v0
	;;#ASMEND
	;;#ASMSTART
	v_dot2_f32_f16 v0, v69, v77, v0
	;;#ASMEND
	;;#ASMSTART
	v_dot2_f32_f16 v0, v70, v78, v0
	;;#ASMEND
	;;#ASMSTART
	v_dot2_f32_f16 v0, v71, v79, v0
	;;#ASMEND
	s_waitcnt lgkmcnt(6)
	;;#ASMSTART
	v_dot2_f32_f16 v1, v68, v80, v1
	;;#ASMEND
	;;#ASMSTART
	v_dot2_f32_f16 v1, v69, v81, v1
	;;#ASMEND
	;;#ASMSTART
	v_dot2_f32_f16 v1, v70, v82, v1
	;;#ASMEND
	;;#ASMSTART
	v_dot2_f32_f16 v1, v71, v83, v1
	;;#ASMEND
	;; [unrolled: 13-line block ×8, first 2 shown]
	;;#ASMSTART
	v_dot2_f32_f16 v20, v72, v76, v20
	;;#ASMEND
	;;#ASMSTART
	v_dot2_f32_f16 v20, v73, v77, v20
	;;#ASMEND
	;; [unrolled: 3-line block ×32, first 2 shown]
	ds_read_b128 v[68:71], v138 offset:24608
	ds_read_b128 v[72:75], v138 offset:27168
	;; [unrolled: 1-line block ×10, first 2 shown]
	s_waitcnt lgkmcnt(7)
	;;#ASMSTART
	v_dot2_f32_f16 v0, v68, v76, v0
	;;#ASMEND
	;;#ASMSTART
	v_dot2_f32_f16 v0, v69, v77, v0
	;;#ASMEND
	;;#ASMSTART
	v_dot2_f32_f16 v0, v70, v78, v0
	;;#ASMEND
	;;#ASMSTART
	v_dot2_f32_f16 v0, v71, v79, v0
	;;#ASMEND
	s_waitcnt lgkmcnt(6)
	;;#ASMSTART
	v_dot2_f32_f16 v1, v68, v80, v1
	;;#ASMEND
	;;#ASMSTART
	v_dot2_f32_f16 v1, v69, v81, v1
	;;#ASMEND
	;;#ASMSTART
	v_dot2_f32_f16 v1, v70, v82, v1
	;;#ASMEND
	;;#ASMSTART
	v_dot2_f32_f16 v1, v71, v83, v1
	;;#ASMEND
	;; [unrolled: 13-line block ×8, first 2 shown]
	;;#ASMSTART
	v_dot2_f32_f16 v20, v72, v76, v20
	;;#ASMEND
	;;#ASMSTART
	v_dot2_f32_f16 v20, v73, v77, v20
	;;#ASMEND
	;; [unrolled: 3-line block ×32, first 2 shown]
	ds_read_b128 v[68:71], v138 offset:24624
	ds_read_b128 v[72:75], v138 offset:27184
	;; [unrolled: 1-line block ×10, first 2 shown]
	s_waitcnt lgkmcnt(7)
	;;#ASMSTART
	v_dot2_f32_f16 v0, v68, v76, v0
	;;#ASMEND
	;;#ASMSTART
	v_dot2_f32_f16 v0, v69, v77, v0
	;;#ASMEND
	;;#ASMSTART
	v_dot2_f32_f16 v0, v70, v78, v0
	;;#ASMEND
	;;#ASMSTART
	v_dot2_f32_f16 v0, v71, v79, v0
	;;#ASMEND
	s_waitcnt lgkmcnt(6)
	;;#ASMSTART
	v_dot2_f32_f16 v1, v68, v80, v1
	;;#ASMEND
	;;#ASMSTART
	v_dot2_f32_f16 v1, v69, v81, v1
	;;#ASMEND
	;;#ASMSTART
	v_dot2_f32_f16 v1, v70, v82, v1
	;;#ASMEND
	;;#ASMSTART
	v_dot2_f32_f16 v1, v71, v83, v1
	;;#ASMEND
	;; [unrolled: 13-line block ×8, first 2 shown]
	;;#ASMSTART
	v_dot2_f32_f16 v20, v72, v76, v20
	;;#ASMEND
	;;#ASMSTART
	v_dot2_f32_f16 v20, v73, v77, v20
	;;#ASMEND
	;;#ASMSTART
	v_dot2_f32_f16 v20, v74, v78, v20
	;;#ASMEND
	;;#ASMSTART
	v_dot2_f32_f16 v20, v75, v79, v20
	;;#ASMEND
	;;#ASMSTART
	v_dot2_f32_f16 v21, v72, v80, v21
	;;#ASMEND
	;;#ASMSTART
	v_dot2_f32_f16 v21, v73, v81, v21
	;;#ASMEND
	;;#ASMSTART
	v_dot2_f32_f16 v21, v74, v82, v21
	;;#ASMEND
	;;#ASMSTART
	v_dot2_f32_f16 v21, v75, v83, v21
	;;#ASMEND
	;;#ASMSTART
	v_dot2_f32_f16 v22, v72, v84, v22
	;;#ASMEND
	;;#ASMSTART
	v_dot2_f32_f16 v22, v73, v85, v22
	;;#ASMEND
	;;#ASMSTART
	v_dot2_f32_f16 v22, v74, v86, v22
	;;#ASMEND
	;;#ASMSTART
	v_dot2_f32_f16 v22, v75, v87, v22
	;;#ASMEND
	;;#ASMSTART
	v_dot2_f32_f16 v23, v72, v88, v23
	;;#ASMEND
	;;#ASMSTART
	v_dot2_f32_f16 v23, v73, v89, v23
	;;#ASMEND
	;;#ASMSTART
	v_dot2_f32_f16 v23, v74, v90, v23
	;;#ASMEND
	;;#ASMSTART
	v_dot2_f32_f16 v23, v75, v91, v23
	;;#ASMEND
	;;#ASMSTART
	v_dot2_f32_f16 v24, v72, v92, v24
	;;#ASMEND
	;;#ASMSTART
	v_dot2_f32_f16 v24, v73, v93, v24
	;;#ASMEND
	;;#ASMSTART
	v_dot2_f32_f16 v24, v74, v94, v24
	;;#ASMEND
	;;#ASMSTART
	v_dot2_f32_f16 v24, v75, v95, v24
	;;#ASMEND
	;;#ASMSTART
	v_dot2_f32_f16 v25, v72, v96, v25
	;;#ASMEND
	;;#ASMSTART
	v_dot2_f32_f16 v25, v73, v97, v25
	;;#ASMEND
	;;#ASMSTART
	v_dot2_f32_f16 v25, v74, v98, v25
	;;#ASMEND
	;;#ASMSTART
	v_dot2_f32_f16 v25, v75, v99, v25
	;;#ASMEND
	;;#ASMSTART
	v_dot2_f32_f16 v61, v72, v100, v61
	;;#ASMEND
	;;#ASMSTART
	v_dot2_f32_f16 v61, v73, v101, v61
	;;#ASMEND
	;;#ASMSTART
	v_dot2_f32_f16 v61, v74, v102, v61
	;;#ASMEND
	;;#ASMSTART
	v_dot2_f32_f16 v61, v75, v103, v61
	;;#ASMEND
	;;#ASMSTART
	v_dot2_f32_f16 v19, v72, v154, v19
	;;#ASMEND
	;;#ASMSTART
	v_dot2_f32_f16 v19, v73, v155, v19
	;;#ASMEND
	;;#ASMSTART
	v_dot2_f32_f16 v19, v74, v156, v19
	;;#ASMEND
	;;#ASMSTART
	v_dot2_f32_f16 v19, v75, v157, v19
	;;#ASMEND
	s_barrier
	global_load_dwordx4 v[68:71], v[42:43], off offset:64
	v_addc_co_u32_e32 v35, vcc, v147, v31, vcc
	v_addc_co_u32_e64 v31, vcc, v147, v67, s[2:3]
	v_mov_b32_e32 v26, v6
	v_mov_b32_e32 v27, v7
	;; [unrolled: 1-line block ×4, first 2 shown]
	s_lshl_b64 s[10:11], s[12:13], 2
	v_mov_b32_e32 v33, s11
	v_add_co_u32_e64 v32, s[0:1], s10, v146
	v_addc_co_u32_e64 v33, vcc, v147, v33, s[0:1]
	s_waitcnt vmcnt(0)
	ds_write_b128 v135, v[68:71]
	s_waitcnt lgkmcnt(0)
	s_barrier
	ds_read_b128 v[68:71], v138 offset:24576
	ds_read_b128 v[72:75], v138 offset:27136
	ds_read_b128 v[76:79], v139 offset:64
	ds_read_b128 v[80:83], v139 offset:320
	ds_read_b128 v[84:87], v139 offset:576
	ds_read_b128 v[88:91], v139 offset:832
	ds_read_b128 v[92:95], v139 offset:1088
	ds_read_b128 v[96:99], v139 offset:1344
	ds_read_b128 v[100:103], v139 offset:1600
	ds_read_b128 v[154:157], v139 offset:1856
	s_waitcnt lgkmcnt(7)
	;;#ASMSTART
	v_dot2_f32_f16 v0, v68, v76, v0
	;;#ASMEND
	;;#ASMSTART
	v_dot2_f32_f16 v0, v69, v77, v0
	;;#ASMEND
	;;#ASMSTART
	v_dot2_f32_f16 v0, v70, v78, v0
	;;#ASMEND
	;;#ASMSTART
	v_dot2_f32_f16 v0, v71, v79, v0
	;;#ASMEND
	s_waitcnt lgkmcnt(6)
	;;#ASMSTART
	v_dot2_f32_f16 v1, v68, v80, v1
	;;#ASMEND
	;;#ASMSTART
	v_dot2_f32_f16 v1, v69, v81, v1
	;;#ASMEND
	;;#ASMSTART
	v_dot2_f32_f16 v1, v70, v82, v1
	;;#ASMEND
	;;#ASMSTART
	v_dot2_f32_f16 v1, v71, v83, v1
	;;#ASMEND
	;; [unrolled: 13-line block ×8, first 2 shown]
	;;#ASMSTART
	v_dot2_f32_f16 v20, v72, v76, v20
	;;#ASMEND
	;;#ASMSTART
	v_dot2_f32_f16 v20, v73, v77, v20
	;;#ASMEND
	;; [unrolled: 3-line block ×32, first 2 shown]
	ds_read_b128 v[68:71], v138 offset:24592
	ds_read_b128 v[72:75], v138 offset:27152
	;; [unrolled: 1-line block ×10, first 2 shown]
	s_waitcnt lgkmcnt(7)
	;;#ASMSTART
	v_dot2_f32_f16 v0, v68, v76, v0
	;;#ASMEND
	;;#ASMSTART
	v_dot2_f32_f16 v0, v69, v77, v0
	;;#ASMEND
	;;#ASMSTART
	v_dot2_f32_f16 v0, v70, v78, v0
	;;#ASMEND
	;;#ASMSTART
	v_dot2_f32_f16 v0, v71, v79, v0
	;;#ASMEND
	s_waitcnt lgkmcnt(6)
	;;#ASMSTART
	v_dot2_f32_f16 v1, v68, v80, v1
	;;#ASMEND
	;;#ASMSTART
	v_dot2_f32_f16 v1, v69, v81, v1
	;;#ASMEND
	;;#ASMSTART
	v_dot2_f32_f16 v1, v70, v82, v1
	;;#ASMEND
	;;#ASMSTART
	v_dot2_f32_f16 v1, v71, v83, v1
	;;#ASMEND
	;; [unrolled: 13-line block ×8, first 2 shown]
	;;#ASMSTART
	v_dot2_f32_f16 v20, v72, v76, v20
	;;#ASMEND
	;;#ASMSTART
	v_dot2_f32_f16 v20, v73, v77, v20
	;;#ASMEND
	;; [unrolled: 3-line block ×32, first 2 shown]
	ds_read_b128 v[68:71], v138 offset:24608
	ds_read_b128 v[72:75], v138 offset:27168
	;; [unrolled: 1-line block ×10, first 2 shown]
	s_waitcnt lgkmcnt(7)
	;;#ASMSTART
	v_dot2_f32_f16 v0, v68, v76, v0
	;;#ASMEND
	;;#ASMSTART
	v_dot2_f32_f16 v0, v69, v77, v0
	;;#ASMEND
	;;#ASMSTART
	v_dot2_f32_f16 v0, v70, v78, v0
	;;#ASMEND
	;;#ASMSTART
	v_dot2_f32_f16 v0, v71, v79, v0
	;;#ASMEND
	s_waitcnt lgkmcnt(6)
	;;#ASMSTART
	v_dot2_f32_f16 v1, v68, v80, v1
	;;#ASMEND
	;;#ASMSTART
	v_dot2_f32_f16 v1, v69, v81, v1
	;;#ASMEND
	;;#ASMSTART
	v_dot2_f32_f16 v1, v70, v82, v1
	;;#ASMEND
	;;#ASMSTART
	v_dot2_f32_f16 v1, v71, v83, v1
	;;#ASMEND
	;; [unrolled: 13-line block ×8, first 2 shown]
	;;#ASMSTART
	v_dot2_f32_f16 v20, v72, v76, v20
	;;#ASMEND
	;;#ASMSTART
	v_dot2_f32_f16 v20, v73, v77, v20
	;;#ASMEND
	;; [unrolled: 3-line block ×32, first 2 shown]
	ds_read_b128 v[68:71], v138 offset:24624
	ds_read_b128 v[72:75], v138 offset:27184
	;; [unrolled: 1-line block ×10, first 2 shown]
	s_waitcnt lgkmcnt(7)
	;;#ASMSTART
	v_dot2_f32_f16 v0, v68, v76, v0
	;;#ASMEND
	;;#ASMSTART
	v_dot2_f32_f16 v0, v69, v77, v0
	;;#ASMEND
	;;#ASMSTART
	v_dot2_f32_f16 v0, v70, v78, v0
	;;#ASMEND
	;;#ASMSTART
	v_dot2_f32_f16 v0, v71, v79, v0
	;;#ASMEND
	s_waitcnt lgkmcnt(6)
	;;#ASMSTART
	v_dot2_f32_f16 v1, v68, v80, v1
	;;#ASMEND
	;;#ASMSTART
	v_dot2_f32_f16 v1, v69, v81, v1
	;;#ASMEND
	;;#ASMSTART
	v_dot2_f32_f16 v1, v70, v82, v1
	;;#ASMEND
	;;#ASMSTART
	v_dot2_f32_f16 v1, v71, v83, v1
	;;#ASMEND
	;; [unrolled: 13-line block ×8, first 2 shown]
	;;#ASMSTART
	v_dot2_f32_f16 v20, v72, v76, v20
	;;#ASMEND
	;;#ASMSTART
	v_dot2_f32_f16 v20, v73, v77, v20
	;;#ASMEND
	;; [unrolled: 3-line block ×32, first 2 shown]
	s_barrier
	global_load_dwordx4 v[68:71], v[42:43], off offset:128
	s_waitcnt vmcnt(0)
	ds_write_b128 v135, v[68:71]
	s_waitcnt lgkmcnt(0)
	s_barrier
	ds_read_b128 v[68:71], v138 offset:24576
	ds_read_b128 v[72:75], v138 offset:27136
	;; [unrolled: 1-line block ×10, first 2 shown]
	s_waitcnt lgkmcnt(7)
	;;#ASMSTART
	v_dot2_f32_f16 v0, v68, v76, v0
	;;#ASMEND
	;;#ASMSTART
	v_dot2_f32_f16 v0, v69, v77, v0
	;;#ASMEND
	;;#ASMSTART
	v_dot2_f32_f16 v0, v70, v78, v0
	;;#ASMEND
	;;#ASMSTART
	v_dot2_f32_f16 v0, v71, v79, v0
	;;#ASMEND
	s_waitcnt lgkmcnt(6)
	;;#ASMSTART
	v_dot2_f32_f16 v1, v68, v80, v1
	;;#ASMEND
	;;#ASMSTART
	v_dot2_f32_f16 v1, v69, v81, v1
	;;#ASMEND
	;;#ASMSTART
	v_dot2_f32_f16 v1, v70, v82, v1
	;;#ASMEND
	;;#ASMSTART
	v_dot2_f32_f16 v1, v71, v83, v1
	;;#ASMEND
	;; [unrolled: 13-line block ×8, first 2 shown]
	;;#ASMSTART
	v_dot2_f32_f16 v20, v72, v76, v20
	;;#ASMEND
	;;#ASMSTART
	v_dot2_f32_f16 v20, v73, v77, v20
	;;#ASMEND
	;; [unrolled: 3-line block ×32, first 2 shown]
	ds_read_b128 v[68:71], v138 offset:24592
	ds_read_b128 v[72:75], v138 offset:27152
	ds_read_b128 v[76:79], v139 offset:144
	ds_read_b128 v[80:83], v139 offset:400
	ds_read_b128 v[84:87], v139 offset:656
	ds_read_b128 v[88:91], v139 offset:912
	ds_read_b128 v[92:95], v139 offset:1168
	ds_read_b128 v[96:99], v139 offset:1424
	ds_read_b128 v[100:103], v139 offset:1680
	ds_read_b128 v[154:157], v139 offset:1936
	s_waitcnt lgkmcnt(7)
	;;#ASMSTART
	v_dot2_f32_f16 v0, v68, v76, v0
	;;#ASMEND
	;;#ASMSTART
	v_dot2_f32_f16 v0, v69, v77, v0
	;;#ASMEND
	;;#ASMSTART
	v_dot2_f32_f16 v0, v70, v78, v0
	;;#ASMEND
	;;#ASMSTART
	v_dot2_f32_f16 v0, v71, v79, v0
	;;#ASMEND
	s_waitcnt lgkmcnt(6)
	;;#ASMSTART
	v_dot2_f32_f16 v1, v68, v80, v1
	;;#ASMEND
	;;#ASMSTART
	v_dot2_f32_f16 v1, v69, v81, v1
	;;#ASMEND
	;;#ASMSTART
	v_dot2_f32_f16 v1, v70, v82, v1
	;;#ASMEND
	;;#ASMSTART
	v_dot2_f32_f16 v1, v71, v83, v1
	;;#ASMEND
	;; [unrolled: 13-line block ×8, first 2 shown]
	;;#ASMSTART
	v_dot2_f32_f16 v20, v72, v76, v20
	;;#ASMEND
	;;#ASMSTART
	v_dot2_f32_f16 v20, v73, v77, v20
	;;#ASMEND
	;; [unrolled: 3-line block ×32, first 2 shown]
	ds_read_b128 v[68:71], v138 offset:24608
	ds_read_b128 v[72:75], v138 offset:27168
	;; [unrolled: 1-line block ×10, first 2 shown]
	s_waitcnt lgkmcnt(7)
	;;#ASMSTART
	v_dot2_f32_f16 v0, v68, v76, v0
	;;#ASMEND
	;;#ASMSTART
	v_dot2_f32_f16 v0, v69, v77, v0
	;;#ASMEND
	;;#ASMSTART
	v_dot2_f32_f16 v0, v70, v78, v0
	;;#ASMEND
	;;#ASMSTART
	v_dot2_f32_f16 v0, v71, v79, v0
	;;#ASMEND
	s_waitcnt lgkmcnt(6)
	;;#ASMSTART
	v_dot2_f32_f16 v1, v68, v80, v1
	;;#ASMEND
	;;#ASMSTART
	v_dot2_f32_f16 v1, v69, v81, v1
	;;#ASMEND
	;;#ASMSTART
	v_dot2_f32_f16 v1, v70, v82, v1
	;;#ASMEND
	;;#ASMSTART
	v_dot2_f32_f16 v1, v71, v83, v1
	;;#ASMEND
	s_waitcnt lgkmcnt(5)
	;;#ASMSTART
	v_dot2_f32_f16 v2, v68, v84, v2
	;;#ASMEND
	;;#ASMSTART
	v_dot2_f32_f16 v2, v69, v85, v2
	;;#ASMEND
	;;#ASMSTART
	v_dot2_f32_f16 v2, v70, v86, v2
	;;#ASMEND
	;;#ASMSTART
	v_dot2_f32_f16 v2, v71, v87, v2
	;;#ASMEND
	s_waitcnt lgkmcnt(4)
	;;#ASMSTART
	v_dot2_f32_f16 v3, v68, v88, v3
	;;#ASMEND
	;;#ASMSTART
	v_dot2_f32_f16 v3, v69, v89, v3
	;;#ASMEND
	;;#ASMSTART
	v_dot2_f32_f16 v3, v70, v90, v3
	;;#ASMEND
	;;#ASMSTART
	v_dot2_f32_f16 v3, v71, v91, v3
	;;#ASMEND
	s_waitcnt lgkmcnt(3)
	;;#ASMSTART
	v_dot2_f32_f16 v16, v68, v92, v16
	;;#ASMEND
	;;#ASMSTART
	v_dot2_f32_f16 v16, v69, v93, v16
	;;#ASMEND
	;;#ASMSTART
	v_dot2_f32_f16 v16, v70, v94, v16
	;;#ASMEND
	;;#ASMSTART
	v_dot2_f32_f16 v16, v71, v95, v16
	;;#ASMEND
	s_waitcnt lgkmcnt(2)
	;;#ASMSTART
	v_dot2_f32_f16 v17, v68, v96, v17
	;;#ASMEND
	;;#ASMSTART
	v_dot2_f32_f16 v17, v69, v97, v17
	;;#ASMEND
	;;#ASMSTART
	v_dot2_f32_f16 v17, v70, v98, v17
	;;#ASMEND
	;;#ASMSTART
	v_dot2_f32_f16 v17, v71, v99, v17
	;;#ASMEND
	s_waitcnt lgkmcnt(1)
	;;#ASMSTART
	v_dot2_f32_f16 v60, v68, v100, v60
	;;#ASMEND
	;;#ASMSTART
	v_dot2_f32_f16 v60, v69, v101, v60
	;;#ASMEND
	;;#ASMSTART
	v_dot2_f32_f16 v60, v70, v102, v60
	;;#ASMEND
	;;#ASMSTART
	v_dot2_f32_f16 v60, v71, v103, v60
	;;#ASMEND
	s_waitcnt lgkmcnt(0)
	;;#ASMSTART
	v_dot2_f32_f16 v18, v68, v154, v18
	;;#ASMEND
	;;#ASMSTART
	v_dot2_f32_f16 v18, v69, v155, v18
	;;#ASMEND
	;;#ASMSTART
	v_dot2_f32_f16 v18, v70, v156, v18
	;;#ASMEND
	;;#ASMSTART
	v_dot2_f32_f16 v18, v71, v157, v18
	;;#ASMEND
	;;#ASMSTART
	v_dot2_f32_f16 v20, v72, v76, v20
	;;#ASMEND
	;;#ASMSTART
	v_dot2_f32_f16 v20, v73, v77, v20
	;;#ASMEND
	;; [unrolled: 3-line block ×32, first 2 shown]
	ds_read_b128 v[68:71], v138 offset:24624
	ds_read_b128 v[72:75], v138 offset:27184
	;; [unrolled: 1-line block ×10, first 2 shown]
	s_waitcnt lgkmcnt(7)
	;;#ASMSTART
	v_dot2_f32_f16 v0, v68, v76, v0
	;;#ASMEND
	;;#ASMSTART
	v_dot2_f32_f16 v0, v69, v77, v0
	;;#ASMEND
	;;#ASMSTART
	v_dot2_f32_f16 v0, v70, v78, v0
	;;#ASMEND
	;;#ASMSTART
	v_dot2_f32_f16 v0, v71, v79, v0
	;;#ASMEND
	s_waitcnt lgkmcnt(6)
	;;#ASMSTART
	v_dot2_f32_f16 v1, v68, v80, v1
	;;#ASMEND
	;;#ASMSTART
	v_dot2_f32_f16 v1, v69, v81, v1
	;;#ASMEND
	;;#ASMSTART
	v_dot2_f32_f16 v1, v70, v82, v1
	;;#ASMEND
	;;#ASMSTART
	v_dot2_f32_f16 v1, v71, v83, v1
	;;#ASMEND
	;; [unrolled: 13-line block ×8, first 2 shown]
	;;#ASMSTART
	v_dot2_f32_f16 v20, v72, v76, v20
	;;#ASMEND
	;;#ASMSTART
	v_dot2_f32_f16 v20, v73, v77, v20
	;;#ASMEND
	;; [unrolled: 3-line block ×32, first 2 shown]
	s_barrier
	global_load_dwordx4 v[68:71], v[42:43], off offset:192
	s_waitcnt vmcnt(0)
	ds_write_b128 v135, v[68:71]
	s_waitcnt lgkmcnt(0)
	s_barrier
	ds_read_b128 v[68:71], v138 offset:24576
	ds_read_b128 v[72:75], v138 offset:27136
	ds_read_b128 v[76:79], v139 offset:192
	ds_read_b128 v[80:83], v139 offset:448
	ds_read_b128 v[84:87], v139 offset:704
	ds_read_b128 v[88:91], v139 offset:960
	ds_read_b128 v[92:95], v139 offset:1216
	ds_read_b128 v[96:99], v139 offset:1472
	ds_read_b128 v[100:103], v139 offset:1728
	ds_read_b128 v[154:157], v139 offset:1984
	s_waitcnt lgkmcnt(7)
	;;#ASMSTART
	v_dot2_f32_f16 v0, v68, v76, v0
	;;#ASMEND
	;;#ASMSTART
	v_dot2_f32_f16 v0, v69, v77, v0
	;;#ASMEND
	;;#ASMSTART
	v_dot2_f32_f16 v0, v70, v78, v0
	;;#ASMEND
	;;#ASMSTART
	v_dot2_f32_f16 v0, v71, v79, v0
	;;#ASMEND
	s_waitcnt lgkmcnt(6)
	;;#ASMSTART
	v_dot2_f32_f16 v1, v68, v80, v1
	;;#ASMEND
	;;#ASMSTART
	v_dot2_f32_f16 v1, v69, v81, v1
	;;#ASMEND
	;;#ASMSTART
	v_dot2_f32_f16 v1, v70, v82, v1
	;;#ASMEND
	;;#ASMSTART
	v_dot2_f32_f16 v1, v71, v83, v1
	;;#ASMEND
	;; [unrolled: 13-line block ×8, first 2 shown]
	;;#ASMSTART
	v_dot2_f32_f16 v20, v72, v76, v20
	;;#ASMEND
	;;#ASMSTART
	v_dot2_f32_f16 v20, v73, v77, v20
	;;#ASMEND
	;; [unrolled: 3-line block ×32, first 2 shown]
	ds_read_b128 v[68:71], v138 offset:24592
	ds_read_b128 v[72:75], v138 offset:27152
	;; [unrolled: 1-line block ×10, first 2 shown]
	s_waitcnt lgkmcnt(7)
	;;#ASMSTART
	v_dot2_f32_f16 v0, v68, v76, v0
	;;#ASMEND
	;;#ASMSTART
	v_dot2_f32_f16 v0, v69, v77, v0
	;;#ASMEND
	;;#ASMSTART
	v_dot2_f32_f16 v0, v70, v78, v0
	;;#ASMEND
	;;#ASMSTART
	v_dot2_f32_f16 v0, v71, v79, v0
	;;#ASMEND
	s_waitcnt lgkmcnt(6)
	;;#ASMSTART
	v_dot2_f32_f16 v1, v68, v80, v1
	;;#ASMEND
	;;#ASMSTART
	v_dot2_f32_f16 v1, v69, v81, v1
	;;#ASMEND
	;;#ASMSTART
	v_dot2_f32_f16 v1, v70, v82, v1
	;;#ASMEND
	;;#ASMSTART
	v_dot2_f32_f16 v1, v71, v83, v1
	;;#ASMEND
	;; [unrolled: 13-line block ×8, first 2 shown]
	;;#ASMSTART
	v_dot2_f32_f16 v20, v72, v76, v20
	;;#ASMEND
	;;#ASMSTART
	v_dot2_f32_f16 v20, v73, v77, v20
	;;#ASMEND
	;; [unrolled: 3-line block ×32, first 2 shown]
	ds_read_b128 v[68:71], v138 offset:24608
	ds_read_b128 v[72:75], v138 offset:27168
	;; [unrolled: 1-line block ×10, first 2 shown]
	s_waitcnt lgkmcnt(7)
	;;#ASMSTART
	v_dot2_f32_f16 v0, v68, v76, v0
	;;#ASMEND
	;;#ASMSTART
	v_dot2_f32_f16 v0, v69, v77, v0
	;;#ASMEND
	;;#ASMSTART
	v_dot2_f32_f16 v0, v70, v78, v0
	;;#ASMEND
	;;#ASMSTART
	v_dot2_f32_f16 v0, v71, v79, v0
	;;#ASMEND
	s_waitcnt lgkmcnt(6)
	;;#ASMSTART
	v_dot2_f32_f16 v1, v68, v80, v1
	;;#ASMEND
	;;#ASMSTART
	v_dot2_f32_f16 v1, v69, v81, v1
	;;#ASMEND
	;;#ASMSTART
	v_dot2_f32_f16 v1, v70, v82, v1
	;;#ASMEND
	;;#ASMSTART
	v_dot2_f32_f16 v1, v71, v83, v1
	;;#ASMEND
	s_waitcnt lgkmcnt(5)
	;;#ASMSTART
	v_dot2_f32_f16 v2, v68, v84, v2
	;;#ASMEND
	;;#ASMSTART
	v_dot2_f32_f16 v2, v69, v85, v2
	;;#ASMEND
	;;#ASMSTART
	v_dot2_f32_f16 v2, v70, v86, v2
	;;#ASMEND
	;;#ASMSTART
	v_dot2_f32_f16 v2, v71, v87, v2
	;;#ASMEND
	s_waitcnt lgkmcnt(4)
	;;#ASMSTART
	v_dot2_f32_f16 v3, v68, v88, v3
	;;#ASMEND
	;;#ASMSTART
	v_dot2_f32_f16 v3, v69, v89, v3
	;;#ASMEND
	;;#ASMSTART
	v_dot2_f32_f16 v3, v70, v90, v3
	;;#ASMEND
	;;#ASMSTART
	v_dot2_f32_f16 v3, v71, v91, v3
	;;#ASMEND
	s_waitcnt lgkmcnt(3)
	;;#ASMSTART
	v_dot2_f32_f16 v16, v68, v92, v16
	;;#ASMEND
	;;#ASMSTART
	v_dot2_f32_f16 v16, v69, v93, v16
	;;#ASMEND
	;;#ASMSTART
	v_dot2_f32_f16 v16, v70, v94, v16
	;;#ASMEND
	;;#ASMSTART
	v_dot2_f32_f16 v16, v71, v95, v16
	;;#ASMEND
	s_waitcnt lgkmcnt(2)
	;;#ASMSTART
	v_dot2_f32_f16 v17, v68, v96, v17
	;;#ASMEND
	;;#ASMSTART
	v_dot2_f32_f16 v17, v69, v97, v17
	;;#ASMEND
	;;#ASMSTART
	v_dot2_f32_f16 v17, v70, v98, v17
	;;#ASMEND
	;;#ASMSTART
	v_dot2_f32_f16 v17, v71, v99, v17
	;;#ASMEND
	s_waitcnt lgkmcnt(1)
	;;#ASMSTART
	v_dot2_f32_f16 v60, v68, v100, v60
	;;#ASMEND
	;;#ASMSTART
	v_dot2_f32_f16 v60, v69, v101, v60
	;;#ASMEND
	;;#ASMSTART
	v_dot2_f32_f16 v60, v70, v102, v60
	;;#ASMEND
	;;#ASMSTART
	v_dot2_f32_f16 v60, v71, v103, v60
	;;#ASMEND
	s_waitcnt lgkmcnt(0)
	;;#ASMSTART
	v_dot2_f32_f16 v18, v68, v154, v18
	;;#ASMEND
	;;#ASMSTART
	v_dot2_f32_f16 v18, v69, v155, v18
	;;#ASMEND
	;;#ASMSTART
	v_dot2_f32_f16 v18, v70, v156, v18
	;;#ASMEND
	;;#ASMSTART
	v_dot2_f32_f16 v18, v71, v157, v18
	;;#ASMEND
	;;#ASMSTART
	v_dot2_f32_f16 v20, v72, v76, v20
	;;#ASMEND
	;;#ASMSTART
	v_dot2_f32_f16 v20, v73, v77, v20
	;;#ASMEND
	;; [unrolled: 3-line block ×32, first 2 shown]
	ds_read_b128 v[68:71], v138 offset:24624
	ds_read_b128 v[72:75], v138 offset:27184
	;; [unrolled: 1-line block ×10, first 2 shown]
	s_waitcnt lgkmcnt(7)
	;;#ASMSTART
	v_dot2_f32_f16 v0, v68, v76, v0
	;;#ASMEND
	;;#ASMSTART
	v_dot2_f32_f16 v0, v69, v77, v0
	;;#ASMEND
	;;#ASMSTART
	v_dot2_f32_f16 v0, v70, v78, v0
	;;#ASMEND
	;;#ASMSTART
	v_dot2_f32_f16 v0, v71, v79, v0
	;;#ASMEND
	s_waitcnt lgkmcnt(6)
	;;#ASMSTART
	v_dot2_f32_f16 v1, v68, v80, v1
	;;#ASMEND
	;;#ASMSTART
	v_dot2_f32_f16 v1, v69, v81, v1
	;;#ASMEND
	;;#ASMSTART
	v_dot2_f32_f16 v1, v70, v82, v1
	;;#ASMEND
	;;#ASMSTART
	v_dot2_f32_f16 v1, v71, v83, v1
	;;#ASMEND
	;; [unrolled: 13-line block ×8, first 2 shown]
	;;#ASMSTART
	v_dot2_f32_f16 v20, v72, v76, v20
	;;#ASMEND
	;;#ASMSTART
	v_dot2_f32_f16 v20, v73, v77, v20
	;;#ASMEND
	;; [unrolled: 3-line block ×32, first 2 shown]
	flat_load_ushort v42, v[10:11] offset:64
	flat_load_ushort v43, v[38:39] offset:64
	flat_load_ushort v67, v[36:37]
	flat_load_ushort v68, v[36:37] offset:64
	flat_load_ushort v69, v[40:41]
	;; [unrolled: 2-line block ×3, first 2 shown]
	flat_load_ushort v72, v[10:11]
	s_waitcnt lgkmcnt(0)
	s_barrier
	global_load_dwordx4 v[8:11], v[8:9], off
	s_waitcnt vmcnt(0)
	v_cvt_f32_f16_e32 v36, v42
	v_cvt_f32_f16_e32 v38, v43
	;; [unrolled: 1-line block ×8, first 2 shown]
	v_add_f32_e32 v60, v60, v68
	v_add_f32_e32 v74, v61, v69
	v_pk_add_f32 v[68:69], v[18:19], v[68:69]
	v_pk_add_f32 v[70:71], v[2:3], v[70:71] op_sel_hi:[1,0]
	v_pk_add_f32 v[22:23], v[22:23], v[38:39] op_sel_hi:[1,0]
	v_pk_add_f32 v[18:19], v[0:1], v[72:73] op_sel_hi:[1,0]
	v_pk_add_f32 v[20:21], v[20:21], v[36:37] op_sel_hi:[1,0]
	v_pk_add_f32 v[16:17], v[16:17], v[40:41] op_sel_hi:[1,0]
	v_pk_add_f32 v[36:37], v[24:25], v[42:43] op_sel_hi:[1,0]
	v_mov_b32_e32 v61, v68
	v_mov_b32_e32 v75, v69
	v_pk_add_f32 v[0:1], v[70:71], s[6:7] op_sel_hi:[1,0]
	v_pk_add_f32 v[38:39], v[22:23], s[6:7] op_sel_hi:[1,0]
	;; [unrolled: 1-line block ×8, first 2 shown]
	v_max3_f32 v1, v13, v1, v39
	v_max3_f32 v0, v12, v0, v38
	;; [unrolled: 1-line block ×8, first 2 shown]
	ds_bpermute_b32 v39, v66, v1
	ds_bpermute_b32 v24, v66, v2
	ds_bpermute_b32 v25, v66, v3
	ds_bpermute_b32 v38, v66, v0
	ds_bpermute_b32 v40, v66, v4
	ds_bpermute_b32 v41, v66, v5
	ds_bpermute_b32 v42, v66, v6
	ds_bpermute_b32 v43, v66, v7
	s_waitcnt lgkmcnt(7)
	v_max_f32_e32 v39, v39, v39
	s_waitcnt lgkmcnt(4)
	v_max_f32_e32 v38, v38, v38
	v_max_f32_e32 v25, v25, v25
	v_max_f32_e32 v24, v24, v24
	s_waitcnt lgkmcnt(2)
	v_max_f32_e32 v41, v41, v41
	v_max_f32_e32 v40, v40, v40
	s_waitcnt lgkmcnt(0)
	v_max_f32_e32 v43, v43, v43
	v_max_f32_e32 v42, v42, v42
	v_max_f32_e32 v1, v1, v39
	v_max_f32_e32 v0, v0, v38
	v_max_f32_e32 v3, v3, v25
	v_max_f32_e32 v2, v2, v24
	v_max_f32_e32 v5, v5, v41
	v_max_f32_e32 v4, v4, v40
	v_max_f32_e32 v7, v7, v43
	v_max_f32_e32 v6, v6, v42
	ds_bpermute_b32 v39, v65, v1
	ds_bpermute_b32 v24, v65, v2
	ds_bpermute_b32 v25, v65, v3
	ds_bpermute_b32 v38, v65, v0
	ds_bpermute_b32 v40, v65, v4
	ds_bpermute_b32 v41, v65, v5
	ds_bpermute_b32 v42, v65, v6
	ds_bpermute_b32 v43, v65, v7
	s_waitcnt lgkmcnt(7)
	v_max_f32_e32 v39, v39, v39
	s_waitcnt lgkmcnt(4)
	v_max_f32_e32 v38, v38, v38
	v_max_f32_e32 v25, v25, v25
	v_max_f32_e32 v24, v24, v24
	s_waitcnt lgkmcnt(2)
	v_max_f32_e32 v41, v41, v41
	v_max_f32_e32 v40, v40, v40
	s_waitcnt lgkmcnt(0)
	v_max_f32_e32 v43, v43, v43
	v_max_f32_e32 v42, v42, v42
	v_max_f32_e32 v1, v1, v39
	v_max_f32_e32 v0, v0, v38
	v_max_f32_e32 v3, v3, v25
	v_max_f32_e32 v2, v2, v24
	v_max_f32_e32 v5, v5, v41
	v_max_f32_e32 v4, v4, v40
	v_max_f32_e32 v7, v7, v43
	v_max_f32_e32 v6, v6, v42
	;; [unrolled: 28-line block ×5, first 2 shown]
	v_sub_f32_e32 v40, v71, v3
	v_sub_f32_e32 v38, v18, v0
	;; [unrolled: 1-line block ×8, first 2 shown]
	v_pk_add_f32 v[24:25], v[14:15], v[0:1] neg_lo:[0,1] neg_hi:[0,1]
	v_pk_add_f32 v[22:23], v[12:13], v[2:3] neg_lo:[0,1] neg_hi:[0,1]
	;; [unrolled: 1-line block ×5, first 2 shown]
	v_sub_f32_e32 v60, v60, v6
	v_sub_f32_e32 v28, v74, v6
	v_pk_add_f32 v[14:15], v[26:27], v[6:7] neg_lo:[0,1] neg_hi:[0,1]
	v_mov_b32_e32 v12, v7
	v_mul_f32_e32 v27, 0x3fb8aa3b, v40
	v_mul_f32_e32 v26, 0x3fb8aa3b, v41
	;; [unrolled: 1-line block ×22, first 2 shown]
	v_pk_add_f32 v[12:13], v[68:69], v[12:13] op_sel_hi:[1,0] neg_lo:[0,1] neg_hi:[0,1]
	v_fma_f32 v82, v40, s60, -v27
	v_rndne_f32_e32 v83, v27
	v_fma_f32 v68, v41, s60, -v26
	v_rndne_f32_e32 v69, v26
	;; [unrolled: 2-line block ×22, first 2 shown]
	v_mul_f32_e32 v173, 0x3fb8aa3b, v13
	v_mul_f32_e32 v174, 0x3fb8aa3b, v12
	v_fmac_f32_e32 v82, 0x32a5705f, v40
	v_sub_f32_e32 v27, v27, v83
	v_fmac_f32_e32 v68, 0x32a5705f, v41
	v_sub_f32_e32 v26, v26, v69
	;; [unrolled: 2-line block ×22, first 2 shown]
	v_fma_f32 v175, v13, s60, -v173
	v_rndne_f32_e32 v176, v173
	v_fma_f32 v177, v12, s60, -v174
	v_rndne_f32_e32 v178, v174
	v_add_f32_e32 v27, v27, v82
	v_cvt_i32_f32_e32 v83, v83
	v_add_f32_e32 v26, v26, v68
	v_add_f32_e32 v29, v29, v84
	;; [unrolled: 1-line block ×21, first 2 shown]
	v_fmac_f32_e32 v175, 0x32a5705f, v13
	v_sub_f32_e32 v81, v173, v176
	v_fmac_f32_e32 v177, 0x32a5705f, v12
	v_sub_f32_e32 v84, v174, v178
	v_exp_f32_e32 v27, v27
	v_cvt_i32_f32_e32 v69, v69
	v_cvt_i32_f32_e32 v85, v85
	v_cvt_i32_f32_e32 v87, v87
	v_cvt_i32_f32_e32 v89, v89
	v_cvt_i32_f32_e32 v91, v91
	v_cvt_i32_f32_e32 v93, v93
	v_cvt_i32_f32_e32 v95, v95
	v_cvt_i32_f32_e32 v97, v97
	v_cvt_i32_f32_e32 v99, v99
	v_cvt_i32_f32_e32 v101, v101
	v_cvt_i32_f32_e32 v103, v103
	v_cvt_i32_f32_e32 v154, v154
	v_cvt_i32_f32_e32 v156, v156
	v_cvt_i32_f32_e32 v158, v158
	v_cvt_i32_f32_e32 v160, v160
	v_cvt_i32_f32_e32 v162, v162
	v_cvt_i32_f32_e32 v164, v164
	v_cvt_i32_f32_e32 v166, v166
	v_cvt_i32_f32_e32 v168, v168
	v_cvt_i32_f32_e32 v170, v170
	v_exp_f32_e32 v26, v26
	v_exp_f32_e32 v29, v29
	;; [unrolled: 1-line block ×20, first 2 shown]
	v_add_f32_e32 v81, v81, v175
	v_add_f32_e32 v84, v84, v177
	v_cvt_i32_f32_e32 v172, v172
	v_cvt_i32_f32_e32 v82, v176
	;; [unrolled: 1-line block ×3, first 2 shown]
	v_exp_f32_e32 v80, v80
	v_exp_f32_e32 v81, v81
	;; [unrolled: 1-line block ×3, first 2 shown]
	v_ldexp_f32 v27, v27, v83
	v_cmp_ngt_f32_e32 vcc, s61, v40
	v_ldexp_f32 v26, v26, v69
	v_ldexp_f32 v29, v29, v85
	v_cmp_ngt_f32_e64 s[0:1], s61, v39
	v_ldexp_f32 v36, v36, v87
	v_cmp_ngt_f32_e64 s[2:3], s61, v38
	v_ldexp_f32 v37, v37, v89
	v_cmp_ngt_f32_e64 s[8:9], s61, v62
	v_ldexp_f32 v63, v63, v91
	v_cmp_ngt_f32_e64 s[10:11], s61, v61
	v_ldexp_f32 v64, v64, v93
	v_cmp_ngt_f32_e64 s[12:13], s61, v25
	v_ldexp_f32 v65, v65, v95
	v_cmp_ngt_f32_e64 s[14:15], s61, v24
	v_ldexp_f32 v66, v66, v97
	v_cmp_ngt_f32_e64 s[16:17], s61, v43
	v_ldexp_f32 v67, v67, v99
	v_cmp_ngt_f32_e64 s[18:19], s61, v42
	v_ldexp_f32 v68, v68, v101
	v_cmp_ngt_f32_e64 s[20:21], s61, v23
	v_ldexp_f32 v69, v70, v103
	v_ldexp_f32 v70, v71, v154
	v_cmp_ngt_f32_e64 s[24:25], s61, v21
	v_ldexp_f32 v71, v72, v156
	v_cmp_ngt_f32_e64 s[26:27], s61, v20
	;; [unrolled: 2-line block ×3, first 2 shown]
	v_ldexp_f32 v73, v74, v160
	v_ldexp_f32 v74, v75, v162
	;; [unrolled: 1-line block ×3, first 2 shown]
	v_cmp_ngt_f32_e64 s[38:39], s61, v41
	v_ldexp_f32 v76, v77, v166
	v_ldexp_f32 v77, v78, v168
	;; [unrolled: 1-line block ×3, first 2 shown]
	v_cmp_ngt_f32_e64 s[42:43], s61, v15
	v_cndmask_b32_e32 v27, 0, v27, vcc
	v_cmp_nlt_f32_e32 vcc, s69, v40
	v_cmp_ngt_f32_e64 s[46:47], s61, v60
	v_cmp_ngt_f32_e64 s[22:23], s61, v22
	;; [unrolled: 1-line block ×6, first 2 shown]
	v_ldexp_f32 v79, v80, v172
	v_cmp_ngt_f32_e64 s[44:45], s61, v14
	v_cndmask_b32_e64 v26, 0, v26, s[38:39]
	v_cmp_nlt_f32_e64 s[38:39], s69, v41
	v_cndmask_b32_e64 v29, 0, v29, s[0:1]
	v_cmp_nlt_f32_e64 s[0:1], s69, v39
	;; [unrolled: 2-line block ×9, first 2 shown]
	v_cndmask_b32_e64 v41, 0, v68, s[20:21]
	v_cndmask_b32_e64 v43, 0, v70, s[24:25]
	;; [unrolled: 1-line block ×4, first 2 shown]
	v_cmp_nlt_f32_e64 s[28:29], s69, v19
	v_cndmask_b32_e64 v66, 0, v76, s[46:47]
	v_cndmask_b32_e64 v68, 0, v78, s[42:43]
	v_cmp_nlt_f32_e64 s[42:43], s69, v15
	v_ldexp_f32 v70, v81, v82
	v_cmp_ngt_f32_e64 s[46:47], s61, v13
	v_ldexp_f32 v71, v84, v86
	v_cmp_ngt_f32_e64 s[48:49], s61, v12
	v_cndmask_b32_e32 v15, v150, v27, vcc
	v_cmp_nlt_f32_e32 vcc, s69, v60
	v_cmp_nlt_f32_e64 s[20:21], s69, v23
	v_cndmask_b32_e64 v42, 0, v69, s[22:23]
	v_cmp_nlt_f32_e64 s[22:23], s69, v22
	v_cmp_nlt_f32_e64 s[24:25], s69, v21
	;; [unrolled: 1-line block ×3, first 2 shown]
	v_cndmask_b32_e64 v63, 0, v73, s[30:31]
	v_cmp_nlt_f32_e64 s[30:31], s69, v18
	v_cndmask_b32_e64 v64, 0, v74, s[34:35]
	v_cmp_nlt_f32_e64 s[34:35], s69, v17
	;; [unrolled: 2-line block ×5, first 2 shown]
	v_cndmask_b32_e64 v14, v150, v26, s[38:39]
	v_cndmask_b32_e64 v17, v150, v29, s[0:1]
	;; [unrolled: 1-line block ×9, first 2 shown]
	v_cndmask_b32_e32 v38, v150, v66, vcc
	v_cndmask_b32_e64 v39, 0, v70, s[46:47]
	v_cndmask_b32_e64 v62, 0, v71, s[48:49]
	v_cmp_nlt_f32_e32 vcc, s69, v12
	v_cmp_nlt_f32_e64 s[0:1], s69, v13
	v_cndmask_b32_e64 v20, v150, v25, s[14:15]
	v_cndmask_b32_e64 v25, v150, v41, s[20:21]
	;; [unrolled: 1-line block ×8, first 2 shown]
	v_pk_add_f32 v[60:61], v[16:17], v[18:19]
	v_cvt_f16_f32_e32 v67, v15
	v_cvt_f16_f32_e32 v68, v14
	v_pk_add_f32 v[14:15], v[14:15], v[22:23]
	v_cndmask_b32_e64 v41, v150, v39, s[0:1]
	v_cndmask_b32_e32 v39, v150, v62, vcc
	v_cndmask_b32_e64 v37, v150, v64, s[34:35]
	v_cndmask_b32_e64 v36, v150, v65, s[36:37]
	;; [unrolled: 1-line block ×3, first 2 shown]
	v_cvt_f16_f32_e32 v63, v18
	v_cvt_f16_f32_e32 v18, v20
	;; [unrolled: 1-line block ×10, first 2 shown]
	v_pk_add_f32 v[16:17], v[26:27], v[28:29]
	v_cvt_f16_f32_e32 v26, v29
	v_cvt_f16_f32_e32 v28, v38
	;; [unrolled: 1-line block ×3, first 2 shown]
	v_pk_fma_f32 v[108:109], v[108:109], v[20:21], v[60:61]
	v_pk_fma_f32 v[110:111], v[110:111], v[24:25], v[14:15]
	v_cvt_f16_f32_e32 v15, v39
	v_cvt_f16_f32_e32 v20, v41
	;; [unrolled: 1-line block ×9, first 2 shown]
	v_pk_add_f32 v[12:13], v[38:39], v[40:41]
	v_pk_fma_f32 v[106:107], v[106:107], v[36:37], v[16:17]
	v_pk_fma_f32 v[104:105], v[104:105], v[42:43], v[12:13]
	v_pk_mul_f16 v153, v18, v58 op_sel_hi:[0,1]
	v_pk_mul_f16 v166, v18, v59 op_sel_hi:[0,1]
	v_pack_b32_f16 v14, v72, v71
	v_pack_b32_f16 v13, v68, v67
	;; [unrolled: 1-line block ×8, first 2 shown]
	v_pk_mul_f16 v167, v64, v57 op_sel_hi:[0,1]
	v_pk_mul_f16 v168, v64, v56 op_sel_hi:[0,1]
	;; [unrolled: 1-line block ×14, first 2 shown]
	ds_write_b128 v151, v[12:15]
	ds_write_b128 v151, v[16:19] offset:512
	ds_write_b128 v145, v[8:11]
	s_waitcnt lgkmcnt(0)
	s_barrier
	ds_read2_b64 v[20:23], v148 offset1:32
	ds_read_b128 v[24:27], v144
	ds_read_b128 v[36:39], v144 offset:16
	ds_read_b128 v[40:43], v144 offset:32
	;; [unrolled: 1-line block ×3, first 2 shown]
	ds_read2_b64 v[48:51], v148 offset0:64 offset1:96
	ds_read2_b64 v[52:55], v148 offset0:128 offset1:160
	ds_read_b128 v[56:59], v144 offset:64
	ds_read_b128 v[60:63], v144 offset:80
	ds_read2_b64 v[64:67], v148 offset0:192 offset1:224
	ds_read_b128 v[68:71], v144 offset:96
	ds_read_b128 v[72:75], v144 offset:112
	ds_read2_b64 v[76:79], v152 offset1:32
	ds_read_b128 v[80:83], v144 offset:128
	ds_read_b128 v[84:87], v144 offset:144
	ds_read2_b64 v[88:91], v152 offset0:64 offset1:96
	ds_read_b128 v[92:95], v144 offset:160
	ds_read_b128 v[96:99], v144 offset:176
	ds_read2_b64 v[100:103], v152 offset0:128 offset1:160
	;; [unrolled: 3-line block ×3, first 2 shown]
	ds_read_b128 v[162:165], v144 offset:224
	ds_read_b128 v[12:15], v144 offset:240
	s_waitcnt lgkmcnt(0)
	s_barrier
	global_load_dwordx4 v[16:19], v[34:35], off
	v_pk_fma_f16 v28, v20, v24, v153 op_sel_hi:[1,0,1]
	v_pk_fma_f16 v29, v20, v24, v167 op_sel:[0,1,0]
	v_pk_fma_f16 v34, v20, v25, v169 op_sel_hi:[1,0,1]
	v_pk_fma_f16 v35, v20, v25, v171 op_sel:[0,1,0]
	v_pk_fma_f16 v153, v20, v26, v173 op_sel_hi:[1,0,1]
	v_pk_fma_f16 v167, v20, v26, v175 op_sel:[0,1,0]
	v_pk_fma_f16 v169, v20, v27, v177 op_sel_hi:[1,0,1]
	v_pk_fma_f16 v20, v20, v27, v179 op_sel:[0,1,0]
	v_pk_fma_f16 v166, v21, v24, v166 op_sel_hi:[1,0,1]
	v_pk_fma_f16 v24, v21, v24, v168 op_sel:[0,1,0]
	v_pk_fma_f16 v168, v21, v25, v170 op_sel_hi:[1,0,1]
	v_pk_fma_f16 v25, v21, v25, v172 op_sel:[0,1,0]
	v_pk_fma_f16 v170, v21, v26, v174 op_sel_hi:[1,0,1]
	v_pk_fma_f16 v26, v21, v26, v176 op_sel:[0,1,0]
	v_pk_fma_f16 v171, v21, v27, v178 op_sel_hi:[1,0,1]
	v_pk_fma_f16 v21, v21, v27, v180 op_sel:[0,1,0]
	v_pk_fma_f16 v27, v22, v36, v28 op_sel_hi:[1,0,1]
	v_pk_fma_f16 v28, v22, v36, v29 op_sel:[0,1,0]
	v_pk_fma_f16 v29, v22, v37, v34 op_sel_hi:[1,0,1]
	v_pk_fma_f16 v34, v22, v37, v35 op_sel:[0,1,0]
	v_pk_fma_f16 v35, v22, v38, v153 op_sel_hi:[1,0,1]
	v_pk_fma_f16 v153, v22, v38, v167 op_sel:[0,1,0]
	v_pk_fma_f16 v167, v22, v39, v169 op_sel_hi:[1,0,1]
	v_pk_fma_f16 v20, v22, v39, v20 op_sel:[0,1,0]
	v_pk_fma_f16 v22, v23, v36, v166 op_sel_hi:[1,0,1]
	v_pk_fma_f16 v24, v23, v36, v24 op_sel:[0,1,0]
	v_pk_fma_f16 v36, v23, v37, v168 op_sel_hi:[1,0,1]
	v_pk_fma_f16 v25, v23, v37, v25 op_sel:[0,1,0]
	v_pk_fma_f16 v37, v23, v38, v170 op_sel_hi:[1,0,1]
	v_pk_fma_f16 v26, v23, v38, v26 op_sel:[0,1,0]
	v_pk_fma_f16 v38, v23, v39, v171 op_sel_hi:[1,0,1]
	v_pk_fma_f16 v21, v23, v39, v21 op_sel:[0,1,0]
	v_pk_fma_f16 v23, v48, v40, v27 op_sel_hi:[1,0,1]
	v_pk_fma_f16 v27, v48, v40, v28 op_sel:[0,1,0]
	v_pk_fma_f16 v28, v48, v41, v29 op_sel_hi:[1,0,1]
	v_pk_fma_f16 v29, v48, v41, v34 op_sel:[0,1,0]
	v_pk_fma_f16 v34, v48, v42, v35 op_sel_hi:[1,0,1]
	v_pk_fma_f16 v35, v48, v42, v153 op_sel:[0,1,0]
	v_pk_fma_f16 v39, v48, v43, v167 op_sel_hi:[1,0,1]
	v_pk_fma_f16 v20, v48, v43, v20 op_sel:[0,1,0]
	v_pk_fma_f16 v22, v49, v40, v22 op_sel_hi:[1,0,1]
	v_pk_fma_f16 v24, v49, v40, v24 op_sel:[0,1,0]
	v_pk_fma_f16 v36, v49, v41, v36 op_sel_hi:[1,0,1]
	v_pk_fma_f16 v25, v49, v41, v25 op_sel:[0,1,0]
	v_pk_fma_f16 v37, v49, v42, v37 op_sel_hi:[1,0,1]
	v_pk_fma_f16 v26, v49, v42, v26 op_sel:[0,1,0]
	v_pk_fma_f16 v38, v49, v43, v38 op_sel_hi:[1,0,1]
	v_pk_fma_f16 v21, v49, v43, v21 op_sel:[0,1,0]
	v_pk_fma_f16 v23, v50, v44, v23 op_sel_hi:[1,0,1]
	v_pk_fma_f16 v27, v50, v44, v27 op_sel:[0,1,0]
	v_pk_fma_f16 v28, v50, v45, v28 op_sel_hi:[1,0,1]
	v_pk_fma_f16 v29, v50, v45, v29 op_sel:[0,1,0]
	v_pk_fma_f16 v34, v50, v46, v34 op_sel_hi:[1,0,1]
	v_pk_fma_f16 v35, v50, v46, v35 op_sel:[0,1,0]
	v_pk_fma_f16 v39, v50, v47, v39 op_sel_hi:[1,0,1]
	v_pk_fma_f16 v20, v50, v47, v20 op_sel:[0,1,0]
	v_pk_fma_f16 v22, v51, v44, v22 op_sel_hi:[1,0,1]
	v_pk_fma_f16 v24, v51, v44, v24 op_sel:[0,1,0]
	v_pk_fma_f16 v36, v51, v45, v36 op_sel_hi:[1,0,1]
	v_pk_fma_f16 v25, v51, v45, v25 op_sel:[0,1,0]
	v_pk_fma_f16 v37, v51, v46, v37 op_sel_hi:[1,0,1]
	v_pk_fma_f16 v26, v51, v46, v26 op_sel:[0,1,0]
	v_pk_fma_f16 v38, v51, v47, v38 op_sel_hi:[1,0,1]
	v_pk_fma_f16 v21, v51, v47, v21 op_sel:[0,1,0]
	v_pk_fma_f16 v23, v52, v56, v23 op_sel_hi:[1,0,1]
	v_pk_fma_f16 v27, v52, v56, v27 op_sel:[0,1,0]
	v_pk_fma_f16 v28, v52, v57, v28 op_sel_hi:[1,0,1]
	v_pk_fma_f16 v29, v52, v57, v29 op_sel:[0,1,0]
	v_pk_fma_f16 v34, v52, v58, v34 op_sel_hi:[1,0,1]
	v_pk_fma_f16 v35, v52, v58, v35 op_sel:[0,1,0]
	v_pk_fma_f16 v39, v52, v59, v39 op_sel_hi:[1,0,1]
	v_pk_fma_f16 v20, v52, v59, v20 op_sel:[0,1,0]
	v_pk_fma_f16 v22, v53, v56, v22 op_sel_hi:[1,0,1]
	v_pk_fma_f16 v24, v53, v56, v24 op_sel:[0,1,0]
	v_pk_fma_f16 v36, v53, v57, v36 op_sel_hi:[1,0,1]
	v_pk_fma_f16 v25, v53, v57, v25 op_sel:[0,1,0]
	v_pk_fma_f16 v37, v53, v58, v37 op_sel_hi:[1,0,1]
	v_pk_fma_f16 v26, v53, v58, v26 op_sel:[0,1,0]
	v_pk_fma_f16 v38, v53, v59, v38 op_sel_hi:[1,0,1]
	v_pk_fma_f16 v21, v53, v59, v21 op_sel:[0,1,0]
	v_pk_fma_f16 v23, v54, v60, v23 op_sel_hi:[1,0,1]
	v_pk_fma_f16 v27, v54, v60, v27 op_sel:[0,1,0]
	v_pk_fma_f16 v28, v54, v61, v28 op_sel_hi:[1,0,1]
	v_pk_fma_f16 v29, v54, v61, v29 op_sel:[0,1,0]
	v_pk_fma_f16 v34, v54, v62, v34 op_sel_hi:[1,0,1]
	v_pk_fma_f16 v35, v54, v62, v35 op_sel:[0,1,0]
	v_pk_fma_f16 v39, v54, v63, v39 op_sel_hi:[1,0,1]
	v_pk_fma_f16 v20, v54, v63, v20 op_sel:[0,1,0]
	v_pk_fma_f16 v22, v55, v60, v22 op_sel_hi:[1,0,1]
	v_pk_fma_f16 v24, v55, v60, v24 op_sel:[0,1,0]
	v_pk_fma_f16 v36, v55, v61, v36 op_sel_hi:[1,0,1]
	v_pk_fma_f16 v25, v55, v61, v25 op_sel:[0,1,0]
	v_pk_fma_f16 v37, v55, v62, v37 op_sel_hi:[1,0,1]
	v_pk_fma_f16 v26, v55, v62, v26 op_sel:[0,1,0]
	v_pk_fma_f16 v38, v55, v63, v38 op_sel_hi:[1,0,1]
	v_pk_fma_f16 v21, v55, v63, v21 op_sel:[0,1,0]
	v_pk_fma_f16 v23, v64, v68, v23 op_sel_hi:[1,0,1]
	v_pk_fma_f16 v27, v64, v68, v27 op_sel:[0,1,0]
	v_pk_fma_f16 v28, v64, v69, v28 op_sel_hi:[1,0,1]
	v_pk_fma_f16 v29, v64, v69, v29 op_sel:[0,1,0]
	v_pk_fma_f16 v34, v64, v70, v34 op_sel_hi:[1,0,1]
	v_pk_fma_f16 v35, v64, v70, v35 op_sel:[0,1,0]
	v_pk_fma_f16 v39, v64, v71, v39 op_sel_hi:[1,0,1]
	v_pk_fma_f16 v20, v64, v71, v20 op_sel:[0,1,0]
	v_pk_fma_f16 v22, v65, v68, v22 op_sel_hi:[1,0,1]
	v_pk_fma_f16 v24, v65, v68, v24 op_sel:[0,1,0]
	v_pk_fma_f16 v36, v65, v69, v36 op_sel_hi:[1,0,1]
	v_pk_fma_f16 v25, v65, v69, v25 op_sel:[0,1,0]
	v_pk_fma_f16 v37, v65, v70, v37 op_sel_hi:[1,0,1]
	v_pk_fma_f16 v26, v65, v70, v26 op_sel:[0,1,0]
	v_pk_fma_f16 v38, v65, v71, v38 op_sel_hi:[1,0,1]
	v_pk_fma_f16 v21, v65, v71, v21 op_sel:[0,1,0]
	v_pk_fma_f16 v23, v66, v72, v23 op_sel_hi:[1,0,1]
	v_pk_fma_f16 v27, v66, v72, v27 op_sel:[0,1,0]
	v_pk_fma_f16 v28, v66, v73, v28 op_sel_hi:[1,0,1]
	v_pk_fma_f16 v29, v66, v73, v29 op_sel:[0,1,0]
	v_pk_fma_f16 v34, v66, v74, v34 op_sel_hi:[1,0,1]
	v_pk_fma_f16 v35, v66, v74, v35 op_sel:[0,1,0]
	v_pk_fma_f16 v39, v66, v75, v39 op_sel_hi:[1,0,1]
	v_pk_fma_f16 v20, v66, v75, v20 op_sel:[0,1,0]
	v_pk_fma_f16 v22, v67, v72, v22 op_sel_hi:[1,0,1]
	v_pk_fma_f16 v24, v67, v72, v24 op_sel:[0,1,0]
	v_pk_fma_f16 v36, v67, v73, v36 op_sel_hi:[1,0,1]
	v_pk_fma_f16 v25, v67, v73, v25 op_sel:[0,1,0]
	v_pk_fma_f16 v37, v67, v74, v37 op_sel_hi:[1,0,1]
	v_pk_fma_f16 v26, v67, v74, v26 op_sel:[0,1,0]
	v_pk_fma_f16 v38, v67, v75, v38 op_sel_hi:[1,0,1]
	v_pk_fma_f16 v21, v67, v75, v21 op_sel:[0,1,0]
	v_pk_fma_f16 v23, v76, v80, v23 op_sel_hi:[1,0,1]
	v_pk_fma_f16 v27, v76, v80, v27 op_sel:[0,1,0]
	v_pk_fma_f16 v28, v76, v81, v28 op_sel_hi:[1,0,1]
	v_pk_fma_f16 v29, v76, v81, v29 op_sel:[0,1,0]
	v_pk_fma_f16 v34, v76, v82, v34 op_sel_hi:[1,0,1]
	v_pk_fma_f16 v35, v76, v82, v35 op_sel:[0,1,0]
	v_pk_fma_f16 v39, v76, v83, v39 op_sel_hi:[1,0,1]
	v_pk_fma_f16 v20, v76, v83, v20 op_sel:[0,1,0]
	v_pk_fma_f16 v22, v77, v80, v22 op_sel_hi:[1,0,1]
	v_pk_fma_f16 v24, v77, v80, v24 op_sel:[0,1,0]
	v_pk_fma_f16 v36, v77, v81, v36 op_sel_hi:[1,0,1]
	v_pk_fma_f16 v25, v77, v81, v25 op_sel:[0,1,0]
	v_pk_fma_f16 v37, v77, v82, v37 op_sel_hi:[1,0,1]
	v_pk_fma_f16 v26, v77, v82, v26 op_sel:[0,1,0]
	v_pk_fma_f16 v38, v77, v83, v38 op_sel_hi:[1,0,1]
	v_pk_fma_f16 v21, v77, v83, v21 op_sel:[0,1,0]
	v_pk_fma_f16 v23, v78, v84, v23 op_sel_hi:[1,0,1]
	v_pk_fma_f16 v27, v78, v84, v27 op_sel:[0,1,0]
	v_pk_fma_f16 v28, v78, v85, v28 op_sel_hi:[1,0,1]
	v_pk_fma_f16 v29, v78, v85, v29 op_sel:[0,1,0]
	v_pk_fma_f16 v34, v78, v86, v34 op_sel_hi:[1,0,1]
	v_pk_fma_f16 v35, v78, v86, v35 op_sel:[0,1,0]
	v_pk_fma_f16 v39, v78, v87, v39 op_sel_hi:[1,0,1]
	v_pk_fma_f16 v20, v78, v87, v20 op_sel:[0,1,0]
	v_pk_fma_f16 v22, v79, v84, v22 op_sel_hi:[1,0,1]
	v_pk_fma_f16 v24, v79, v84, v24 op_sel:[0,1,0]
	v_pk_fma_f16 v36, v79, v85, v36 op_sel_hi:[1,0,1]
	v_pk_fma_f16 v25, v79, v85, v25 op_sel:[0,1,0]
	v_pk_fma_f16 v37, v79, v86, v37 op_sel_hi:[1,0,1]
	v_pk_fma_f16 v26, v79, v86, v26 op_sel:[0,1,0]
	v_pk_fma_f16 v38, v79, v87, v38 op_sel_hi:[1,0,1]
	v_pk_fma_f16 v21, v79, v87, v21 op_sel:[0,1,0]
	v_pk_fma_f16 v23, v88, v92, v23 op_sel_hi:[1,0,1]
	v_pk_fma_f16 v27, v88, v92, v27 op_sel:[0,1,0]
	v_pk_fma_f16 v28, v88, v93, v28 op_sel_hi:[1,0,1]
	v_pk_fma_f16 v29, v88, v93, v29 op_sel:[0,1,0]
	v_pk_fma_f16 v34, v88, v94, v34 op_sel_hi:[1,0,1]
	v_pk_fma_f16 v35, v88, v94, v35 op_sel:[0,1,0]
	v_pk_fma_f16 v39, v88, v95, v39 op_sel_hi:[1,0,1]
	v_pk_fma_f16 v20, v88, v95, v20 op_sel:[0,1,0]
	v_pk_fma_f16 v22, v89, v92, v22 op_sel_hi:[1,0,1]
	v_pk_fma_f16 v24, v89, v92, v24 op_sel:[0,1,0]
	v_pk_fma_f16 v36, v89, v93, v36 op_sel_hi:[1,0,1]
	v_pk_fma_f16 v25, v89, v93, v25 op_sel:[0,1,0]
	v_pk_fma_f16 v37, v89, v94, v37 op_sel_hi:[1,0,1]
	v_pk_fma_f16 v26, v89, v94, v26 op_sel:[0,1,0]
	v_pk_fma_f16 v38, v89, v95, v38 op_sel_hi:[1,0,1]
	v_pk_fma_f16 v21, v89, v95, v21 op_sel:[0,1,0]
	v_pk_fma_f16 v23, v90, v96, v23 op_sel_hi:[1,0,1]
	v_pk_fma_f16 v27, v90, v96, v27 op_sel:[0,1,0]
	v_pk_fma_f16 v28, v90, v97, v28 op_sel_hi:[1,0,1]
	v_pk_fma_f16 v29, v90, v97, v29 op_sel:[0,1,0]
	v_pk_fma_f16 v34, v90, v98, v34 op_sel_hi:[1,0,1]
	v_pk_fma_f16 v35, v90, v98, v35 op_sel:[0,1,0]
	v_pk_fma_f16 v39, v90, v99, v39 op_sel_hi:[1,0,1]
	v_pk_fma_f16 v20, v90, v99, v20 op_sel:[0,1,0]
	v_pk_fma_f16 v22, v91, v96, v22 op_sel_hi:[1,0,1]
	v_pk_fma_f16 v24, v91, v96, v24 op_sel:[0,1,0]
	v_pk_fma_f16 v36, v91, v97, v36 op_sel_hi:[1,0,1]
	v_pk_fma_f16 v25, v91, v97, v25 op_sel:[0,1,0]
	v_pk_fma_f16 v37, v91, v98, v37 op_sel_hi:[1,0,1]
	v_pk_fma_f16 v26, v91, v98, v26 op_sel:[0,1,0]
	v_pk_fma_f16 v38, v91, v99, v38 op_sel_hi:[1,0,1]
	v_pk_fma_f16 v21, v91, v99, v21 op_sel:[0,1,0]
	v_pk_fma_f16 v23, v100, v154, v23 op_sel_hi:[1,0,1]
	v_pk_fma_f16 v27, v100, v154, v27 op_sel:[0,1,0]
	v_pk_fma_f16 v28, v100, v155, v28 op_sel_hi:[1,0,1]
	v_pk_fma_f16 v29, v100, v155, v29 op_sel:[0,1,0]
	v_pk_fma_f16 v34, v100, v156, v34 op_sel_hi:[1,0,1]
	v_pk_fma_f16 v35, v100, v156, v35 op_sel:[0,1,0]
	v_pk_fma_f16 v39, v100, v157, v39 op_sel_hi:[1,0,1]
	v_pk_fma_f16 v20, v100, v157, v20 op_sel:[0,1,0]
	v_pk_fma_f16 v22, v101, v154, v22 op_sel_hi:[1,0,1]
	v_pk_fma_f16 v24, v101, v154, v24 op_sel:[0,1,0]
	v_pk_fma_f16 v36, v101, v155, v36 op_sel_hi:[1,0,1]
	v_pk_fma_f16 v25, v101, v155, v25 op_sel:[0,1,0]
	v_pk_fma_f16 v37, v101, v156, v37 op_sel_hi:[1,0,1]
	v_pk_fma_f16 v26, v101, v156, v26 op_sel:[0,1,0]
	v_pk_fma_f16 v38, v101, v157, v38 op_sel_hi:[1,0,1]
	v_pk_fma_f16 v21, v101, v157, v21 op_sel:[0,1,0]
	v_pk_fma_f16 v23, v102, v158, v23 op_sel_hi:[1,0,1]
	v_pk_fma_f16 v27, v102, v158, v27 op_sel:[0,1,0]
	v_pk_fma_f16 v28, v102, v159, v28 op_sel_hi:[1,0,1]
	v_pk_fma_f16 v29, v102, v159, v29 op_sel:[0,1,0]
	v_pk_fma_f16 v34, v102, v160, v34 op_sel_hi:[1,0,1]
	v_pk_fma_f16 v35, v102, v160, v35 op_sel:[0,1,0]
	v_pk_fma_f16 v39, v102, v161, v39 op_sel_hi:[1,0,1]
	v_pk_fma_f16 v20, v102, v161, v20 op_sel:[0,1,0]
	v_pk_fma_f16 v22, v103, v158, v22 op_sel_hi:[1,0,1]
	v_pk_fma_f16 v24, v103, v158, v24 op_sel:[0,1,0]
	v_pk_fma_f16 v36, v103, v159, v36 op_sel_hi:[1,0,1]
	v_pk_fma_f16 v25, v103, v159, v25 op_sel:[0,1,0]
	v_pk_fma_f16 v37, v103, v160, v37 op_sel_hi:[1,0,1]
	v_pk_fma_f16 v26, v103, v160, v26 op_sel:[0,1,0]
	v_pk_fma_f16 v38, v103, v161, v38 op_sel_hi:[1,0,1]
	v_pk_fma_f16 v21, v103, v161, v21 op_sel:[0,1,0]
	v_pk_fma_f16 v23, v8, v162, v23 op_sel_hi:[1,0,1]
	v_pk_fma_f16 v27, v8, v162, v27 op_sel:[0,1,0]
	v_pk_fma_f16 v28, v8, v163, v28 op_sel_hi:[1,0,1]
	v_pk_fma_f16 v29, v8, v163, v29 op_sel:[0,1,0]
	v_pk_fma_f16 v34, v8, v164, v34 op_sel_hi:[1,0,1]
	v_pk_fma_f16 v35, v8, v164, v35 op_sel:[0,1,0]
	v_pk_fma_f16 v39, v8, v165, v39 op_sel_hi:[1,0,1]
	v_pk_fma_f16 v8, v8, v165, v20 op_sel:[0,1,0]
	v_pk_fma_f16 v20, v9, v162, v22 op_sel_hi:[1,0,1]
	v_pk_fma_f16 v22, v9, v162, v24 op_sel:[0,1,0]
	v_pk_fma_f16 v24, v9, v163, v36 op_sel_hi:[1,0,1]
	v_pk_fma_f16 v25, v9, v163, v25 op_sel:[0,1,0]
	v_pk_fma_f16 v36, v9, v164, v37 op_sel_hi:[1,0,1]
	v_pk_fma_f16 v26, v9, v164, v26 op_sel:[0,1,0]
	v_pk_fma_f16 v37, v9, v165, v38 op_sel_hi:[1,0,1]
	v_pk_fma_f16 v9, v9, v165, v21 op_sel:[0,1,0]
	v_pk_fma_f16 v102, v10, v12, v23 op_sel_hi:[1,0,1]
	v_pk_fma_f16 v103, v10, v12, v27 op_sel:[0,1,0]
	v_pk_fma_f16 v28, v10, v13, v28 op_sel_hi:[1,0,1]
	v_pk_fma_f16 v29, v10, v13, v29 op_sel:[0,1,0]
	v_pk_fma_f16 v153, v10, v14, v34 op_sel_hi:[1,0,1]
	v_pk_fma_f16 v166, v10, v14, v35 op_sel:[0,1,0]
	v_pk_fma_f16 v167, v10, v15, v39 op_sel_hi:[1,0,1]
	v_pk_fma_f16 v168, v10, v15, v8 op_sel:[0,1,0]
	v_pk_fma_f16 v169, v11, v12, v20 op_sel_hi:[1,0,1]
	v_pk_fma_f16 v170, v11, v12, v22 op_sel:[0,1,0]
	v_pk_fma_f16 v171, v11, v13, v24 op_sel_hi:[1,0,1]
	v_pk_fma_f16 v172, v11, v13, v25 op_sel:[0,1,0]
	v_pk_fma_f16 v173, v11, v14, v36 op_sel_hi:[1,0,1]
	v_pk_fma_f16 v174, v11, v14, v26 op_sel:[0,1,0]
	v_pk_fma_f16 v175, v11, v15, v37 op_sel_hi:[1,0,1]
	v_pk_fma_f16 v176, v11, v15, v9 op_sel:[0,1,0]
	s_waitcnt vmcnt(0)
	ds_write_b128 v145, v[16:19]
	s_waitcnt lgkmcnt(0)
	s_barrier
	ds_read2_b64 v[20:23], v148 offset1:32
	ds_read_b128 v[24:27], v144 offset:256
	ds_read_b128 v[34:37], v144 offset:272
	;; [unrolled: 1-line block ×4, first 2 shown]
	ds_read2_b64 v[46:49], v148 offset0:64 offset1:96
	ds_read2_b64 v[50:53], v148 offset0:128 offset1:160
	ds_read_b128 v[54:57], v144 offset:320
	ds_read_b128 v[58:61], v144 offset:336
	ds_read2_b64 v[62:65], v148 offset0:192 offset1:224
	ds_read_b128 v[66:69], v144 offset:352
	ds_read_b128 v[70:73], v144 offset:368
	ds_read2_b64 v[74:77], v152 offset1:32
	ds_read_b128 v[78:81], v144 offset:384
	ds_read_b128 v[82:85], v144 offset:400
	ds_read2_b64 v[86:89], v152 offset0:64 offset1:96
	ds_read_b128 v[90:93], v144 offset:416
	ds_read_b128 v[94:97], v144 offset:432
	ds_read2_b64 v[98:101], v152 offset0:128 offset1:160
	;; [unrolled: 3-line block ×3, first 2 shown]
	ds_read_b128 v[162:165], v144 offset:480
	ds_read_b128 v[12:15], v144 offset:496
	s_waitcnt lgkmcnt(0)
	s_barrier
	global_load_dwordx4 v[16:19], v[32:33], off
	v_pk_fma_f16 v32, v20, v24, v102 op_sel_hi:[1,0,1]
	v_pk_fma_f16 v33, v20, v24, v103 op_sel:[0,1,0]
	v_pk_fma_f16 v28, v20, v25, v28 op_sel_hi:[1,0,1]
	v_pk_fma_f16 v29, v20, v25, v29 op_sel:[0,1,0]
	;; [unrolled: 2-line block ×128, first 2 shown]
	s_waitcnt vmcnt(0)
	ds_write_b128 v145, v[16:19]
	s_waitcnt lgkmcnt(0)
	s_barrier
	ds_read2_b64 v[20:23], v148 offset1:32
	ds_read_b128 v[24:27], v144 offset:512
	ds_read_b128 v[32:35], v144 offset:528
	;; [unrolled: 1-line block ×4, first 2 shown]
	ds_read2_b64 v[44:47], v148 offset0:64 offset1:96
	ds_read2_b64 v[48:51], v148 offset0:128 offset1:160
	ds_read_b128 v[52:55], v144 offset:576
	ds_read_b128 v[56:59], v144 offset:592
	ds_read2_b64 v[60:63], v148 offset0:192 offset1:224
	ds_read_b128 v[64:67], v144 offset:608
	ds_read_b128 v[68:71], v144 offset:624
	ds_read2_b64 v[72:75], v152 offset1:32
	ds_read_b128 v[76:79], v144 offset:640
	ds_read_b128 v[80:83], v144 offset:656
	ds_read2_b64 v[84:87], v152 offset0:64 offset1:96
	ds_read_b128 v[88:91], v144 offset:672
	ds_read_b128 v[92:95], v144 offset:688
	ds_read2_b64 v[96:99], v152 offset0:128 offset1:160
	;; [unrolled: 3-line block ×3, first 2 shown]
	ds_read_b128 v[158:161], v144 offset:736
	ds_read_b128 v[12:15], v144 offset:752
	s_waitcnt lgkmcnt(0)
	s_barrier
	global_load_dwordx4 v[16:19], v[30:31], off
	v_pk_fma_f16 v30, v20, v24, v153 op_sel_hi:[1,0,1]
	v_pk_fma_f16 v31, v20, v24, v162 op_sel:[0,1,0]
	v_pk_fma_f16 v28, v20, v25, v28 op_sel_hi:[1,0,1]
	v_pk_fma_f16 v29, v20, v25, v29 op_sel:[0,1,0]
	;; [unrolled: 2-line block ×128, first 2 shown]
	s_waitcnt vmcnt(0)
	ds_write_b128 v145, v[16:19]
	s_waitcnt lgkmcnt(0)
	s_barrier
	ds_read2_b64 v[16:19], v148 offset1:32
	ds_read_b128 v[40:43], v144 offset:768
	ds_read_b128 v[20:23], v144 offset:784
	;; [unrolled: 1-line block ×4, first 2 shown]
	ds_read2_b64 v[24:27], v148 offset0:64 offset1:96
	ds_read2_b64 v[28:31], v148 offset0:128 offset1:160
	ds_read_b128 v[48:51], v144 offset:832
	ds_read_b128 v[52:55], v144 offset:848
	ds_read2_b64 v[32:35], v148 offset0:192 offset1:224
	ds_read_b128 v[60:63], v144 offset:864
	ds_read_b128 v[64:67], v144 offset:880
	ds_read2_b64 v[36:39], v152 offset1:32
	ds_read_b128 v[72:75], v144 offset:896
	ds_read_b128 v[76:79], v144 offset:912
	ds_read2_b64 v[44:47], v152 offset0:64 offset1:96
	ds_read_b128 v[80:83], v144 offset:928
	ds_read_b128 v[84:87], v144 offset:944
	ds_read2_b64 v[56:59], v152 offset0:128 offset1:160
	;; [unrolled: 3-line block ×3, first 2 shown]
	ds_read_b128 v[96:99], v144 offset:992
	ds_read_b128 v[100:103], v144 offset:1008
	s_waitcnt lgkmcnt(14)
	v_pk_fma_f16 v153, v16, v40, v153 op_sel_hi:[1,0,1]
	v_pk_fma_f16 v154, v16, v40, v154 op_sel:[0,1,0]
	v_pk_fma_f16 v155, v16, v41, v155 op_sel_hi:[1,0,1]
	v_pk_fma_f16 v156, v16, v41, v156 op_sel:[0,1,0]
	;; [unrolled: 2-line block ×48, first 2 shown]
	s_waitcnt lgkmcnt(13)
	v_pk_fma_f16 v15, v32, v60, v15 op_sel_hi:[1,0,1]
	v_pk_fma_f16 v17, v32, v60, v17 op_sel:[0,1,0]
	v_pk_fma_f16 v19, v32, v61, v19 op_sel_hi:[1,0,1]
	v_pk_fma_f16 v20, v32, v61, v20 op_sel:[0,1,0]
	;; [unrolled: 2-line block ×8, first 2 shown]
	s_waitcnt lgkmcnt(12)
	v_pk_fma_f16 v15, v34, v64, v15 op_sel_hi:[1,0,1]
	v_pk_fma_f16 v17, v34, v64, v17 op_sel:[0,1,0]
	v_pk_fma_f16 v19, v34, v65, v19 op_sel_hi:[1,0,1]
	v_pk_fma_f16 v20, v34, v65, v20 op_sel:[0,1,0]
	;; [unrolled: 2-line block ×8, first 2 shown]
	s_waitcnt lgkmcnt(0)
	s_barrier
	s_load_dword s0, s[50:51], 0x4
	v_pk_fma_f16 v15, v36, v72, v15 op_sel_hi:[1,0,1]
	v_pk_fma_f16 v17, v36, v72, v17 op_sel:[0,1,0]
	v_pk_fma_f16 v19, v36, v73, v19 op_sel_hi:[1,0,1]
	v_pk_fma_f16 v20, v36, v73, v20 op_sel:[0,1,0]
	;; [unrolled: 2-line block ×40, first 2 shown]
	s_waitcnt lgkmcnt(0)
	s_lshl_b32 s0, s0, 6
	v_pk_fma_f16 v15, v58, v92, v15 op_sel_hi:[1,0,1]
	v_pk_fma_f16 v17, v58, v92, v17 op_sel:[0,1,0]
	v_pk_fma_f16 v19, v58, v93, v19 op_sel_hi:[1,0,1]
	v_pk_fma_f16 v20, v58, v93, v20 op_sel:[0,1,0]
	;; [unrolled: 2-line block ×8, first 2 shown]
	s_add_i32 s54, s0, s54
	v_pk_fma_f16 v15, v68, v96, v15 op_sel_hi:[1,0,1]
	v_pk_fma_f16 v17, v68, v96, v17 op_sel:[0,1,0]
	v_pk_fma_f16 v19, v68, v97, v19 op_sel_hi:[1,0,1]
	v_pk_fma_f16 v20, v68, v97, v20 op_sel:[0,1,0]
	;; [unrolled: 2-line block ×8, first 2 shown]
	s_cmp_ge_i32 s54, s66
	v_pk_fma_f16 v58, v70, v100, v15 op_sel_hi:[1,0,1]
	v_pk_fma_f16 v57, v70, v100, v17 op_sel:[0,1,0]
	v_pk_fma_f16 v55, v70, v101, v19 op_sel_hi:[1,0,1]
	v_pk_fma_f16 v53, v70, v101, v20 op_sel:[0,1,0]
	;; [unrolled: 2-line block ×8, first 2 shown]
	s_cbranch_scc0 .LBB33_9
.LBB33_10:
	v_cmp_lt_i32_e32 vcc, v133, v129
	v_cndmask_b32_e32 v8, v128, v133, vcc
	v_lshlrev_b32_e32 v17, 2, v8
	ds_bpermute_b32 v12, v17, v110
	ds_bpermute_b32 v13, v17, v111
	v_cmp_lt_i32_e32 vcc, v134, v129
	v_cndmask_b32_e32 v10, v128, v134, vcc
	v_cmp_lt_i32_e32 vcc, v132, v129
	v_lshlrev_b32_e32 v23, 2, v10
	v_cndmask_b32_e32 v10, v128, v132, vcc
	v_cmp_lt_i32_e32 vcc, v131, v129
	v_cndmask_b32_e32 v14, v128, v131, vcc
	s_waitcnt lgkmcnt(0)
	v_pk_add_f32 v[12:13], v[110:111], v[12:13]
	v_lshlrev_b32_e32 v25, 2, v14
	ds_bpermute_b32 v14, v23, v12
	ds_bpermute_b32 v15, v23, v13
	v_lshlrev_b32_e32 v24, 2, v10
	ds_bpermute_b32 v8, v17, v108
	ds_bpermute_b32 v9, v17, v109
	;; [unrolled: 1-line block ×3, first 2 shown]
	s_waitcnt lgkmcnt(3)
	v_pk_add_f32 v[12:13], v[12:13], v[14:15]
	ds_bpermute_b32 v14, v24, v12
	ds_bpermute_b32 v15, v24, v13
	;; [unrolled: 1-line block ×3, first 2 shown]
	s_waitcnt lgkmcnt(4)
	v_pk_add_f32 v[8:9], v[108:109], v[8:9]
	v_cmp_lt_i32_e32 vcc, v130, v129
	ds_bpermute_b32 v10, v23, v8
	s_waitcnt lgkmcnt(2)
	v_pk_add_f32 v[12:13], v[12:13], v[14:15]
	ds_bpermute_b32 v14, v17, v106
	ds_bpermute_b32 v15, v17, v107
	s_waitcnt lgkmcnt(3)
	v_pk_add_f32 v[18:19], v[104:105], v[18:19]
	ds_bpermute_b32 v11, v23, v9
	v_cndmask_b32_e32 v16, v128, v130, vcc
	ds_bpermute_b32 v22, v23, v18
	s_waitcnt lgkmcnt(2)
	v_pk_add_f32 v[14:15], v[106:107], v[14:15]
	ds_bpermute_b32 v20, v23, v14
	ds_bpermute_b32 v21, v23, v15
	;; [unrolled: 1-line block ×3, first 2 shown]
	v_lshlrev_b32_e32 v29, 2, v16
	ds_bpermute_b32 v16, v25, v12
	ds_bpermute_b32 v17, v25, v13
	s_waitcnt lgkmcnt(6)
	v_pk_add_f32 v[8:9], v[8:9], v[10:11]
	s_waitcnt lgkmcnt(3)
	v_pk_add_f32 v[14:15], v[14:15], v[20:21]
	;; [unrolled: 2-line block ×3, first 2 shown]
	ds_bpermute_b32 v10, v24, v8
	ds_bpermute_b32 v11, v24, v9
	s_waitcnt lgkmcnt(2)
	v_pk_add_f32 v[12:13], v[12:13], v[16:17]
	ds_bpermute_b32 v16, v24, v14
	ds_bpermute_b32 v17, v24, v15
	ds_bpermute_b32 v20, v24, v18
	ds_bpermute_b32 v21, v24, v19
	s_waitcnt lgkmcnt(4)
	v_pk_add_f32 v[8:9], v[8:9], v[10:11]
	ds_bpermute_b32 v10, v25, v8
	s_waitcnt lgkmcnt(3)
	v_pk_add_f32 v[14:15], v[14:15], v[16:17]
	ds_bpermute_b32 v11, v25, v9
	;; [unrolled: 3-line block ×3, first 2 shown]
	ds_bpermute_b32 v17, v25, v15
	ds_bpermute_b32 v20, v25, v18
	;; [unrolled: 1-line block ×3, first 2 shown]
	s_waitcnt lgkmcnt(4)
	v_pk_add_f32 v[8:9], v[8:9], v[10:11]
	ds_bpermute_b32 v10, v29, v8
	s_waitcnt lgkmcnt(3)
	v_pk_add_f32 v[14:15], v[14:15], v[16:17]
	ds_bpermute_b32 v11, v29, v9
	;; [unrolled: 3-line block ×3, first 2 shown]
	ds_bpermute_b32 v25, v29, v13
	ds_bpermute_b32 v16, v29, v14
	ds_bpermute_b32 v17, v29, v15
	ds_bpermute_b32 v28, v29, v26
	ds_bpermute_b32 v29, v29, v27
	s_cmp_lg_u64 s[52:53], 0
	s_cselect_b64 s[0:1], -1, 0
	s_cmp_eq_u32 s7, 0
	s_cselect_b64 s[2:3], -1, 0
	s_and_b64 s[0:1], s[2:3], s[0:1]
	s_waitcnt lgkmcnt(6)
	v_pk_add_f32 v[22:23], v[8:9], v[10:11]
	s_waitcnt lgkmcnt(4)
	v_pk_add_f32 v[20:21], v[12:13], v[24:25]
	;; [unrolled: 2-line block ×4, first 2 shown]
	s_and_b64 vcc, exec, s[0:1]
	s_cbranch_vccz .LBB33_12
; %bb.11:
	s_ashr_i32 s65, s64, 31
	s_lshl_b64 s[0:1], s[64:65], 2
	s_add_u32 s0, s52, s0
	s_addc_u32 s1, s53, s1
	v_mov_b32_e32 v8, 0
	global_load_dwordx2 v[24:25], v8, s[0:1]
	v_max_f32_e32 v8, v1, v1
	v_max_f32_e32 v10, v0, v0
	s_mov_b32 s2, 0x3fb8aa3b
	v_max_f32_e32 v12, v2, v2
	v_max_f32_e32 v11, v3, v3
	s_mov_b32 s1, 0xc2ce8ed0
	s_mov_b32 s0, 0x42b17218
	v_mov_b32_e32 v26, 0x7f800000
	s_waitcnt vmcnt(0)
	v_max_f32_e32 v14, v25, v25
	v_max_f32_e32 v27, v24, v24
	;; [unrolled: 1-line block ×4, first 2 shown]
	v_pk_add_f32 v[0:1], v[0:1], v[8:9] neg_lo:[0,1] neg_hi:[0,1]
	v_mul_f32_e32 v15, 0x3fb8aa3b, v1
	v_max_f32_e32 v10, v12, v27
	v_pk_add_f32 v[12:13], v[24:25], v[8:9] neg_lo:[0,1] neg_hi:[0,1]
	v_mul_f32_e32 v28, 0x3fb8aa3b, v0
	v_fma_f32 v33, v1, s2, -v15
	v_rndne_f32_e32 v34, v15
	v_max_f32_e32 v11, v11, v14
	v_mul_f32_e32 v29, 0x3fb8aa3b, v13
	v_fma_f32 v35, v0, s2, -v28
	v_rndne_f32_e32 v36, v28
	v_fmac_f32_e32 v33, 0x32a5705f, v1
	v_sub_f32_e32 v15, v15, v34
	v_pk_add_f32 v[2:3], v[2:3], v[10:11] neg_lo:[0,1] neg_hi:[0,1]
	v_mul_f32_e32 v30, 0x3fb8aa3b, v12
	v_fma_f32 v37, v13, s2, -v29
	v_rndne_f32_e32 v38, v29
	v_fmac_f32_e32 v35, 0x32a5705f, v0
	v_sub_f32_e32 v28, v28, v36
	v_add_f32_e32 v15, v15, v33
	v_mul_f32_e32 v31, 0x3fb8aa3b, v3
	v_fma_f32 v39, v12, s2, -v30
	v_rndne_f32_e32 v40, v30
	v_cvt_i32_f32_e32 v34, v34
	v_fmac_f32_e32 v37, 0x32a5705f, v13
	v_sub_f32_e32 v29, v29, v38
	v_add_f32_e32 v28, v28, v35
	v_exp_f32_e32 v15, v15
	v_fma_f32 v41, v3, s2, -v31
	v_rndne_f32_e32 v42, v31
	v_cvt_i32_f32_e32 v36, v36
	v_fmac_f32_e32 v39, 0x32a5705f, v12
	v_sub_f32_e32 v30, v30, v40
	v_add_f32_e32 v29, v29, v37
	v_exp_f32_e32 v28, v28
	v_cvt_i32_f32_e32 v38, v38
	v_fmac_f32_e32 v41, 0x32a5705f, v3
	v_sub_f32_e32 v31, v31, v42
	v_add_f32_e32 v30, v30, v39
	v_exp_f32_e32 v29, v29
	v_cvt_i32_f32_e32 v40, v40
	v_add_f32_e32 v31, v31, v41
	v_exp_f32_e32 v30, v30
	v_cvt_i32_f32_e32 v42, v42
	v_exp_f32_e32 v31, v31
	v_ldexp_f32 v15, v15, v34
	v_cmp_ngt_f32_e32 vcc, s1, v1
	v_ldexp_f32 v28, v28, v36
	v_cndmask_b32_e32 v15, 0, v15, vcc
	v_cmp_ngt_f32_e32 vcc, s1, v0
	v_ldexp_f32 v29, v29, v38
	v_cndmask_b32_e32 v28, 0, v28, vcc
	;; [unrolled: 3-line block ×3, first 2 shown]
	v_cmp_ngt_f32_e32 vcc, s1, v12
	v_mul_f32_e32 v32, 0x3fb8aa3b, v2
	v_ldexp_f32 v31, v31, v42
	v_cndmask_b32_e32 v30, 0, v30, vcc
	v_cmp_ngt_f32_e32 vcc, s1, v3
	v_fma_f32 v43, v2, s2, -v32
	v_rndne_f32_e32 v60, v32
	v_cndmask_b32_e32 v31, 0, v31, vcc
	v_cmp_nlt_f32_e32 vcc, s0, v1
	v_fmac_f32_e32 v43, 0x32a5705f, v2
	v_sub_f32_e32 v32, v32, v60
	v_cndmask_b32_e32 v1, v26, v15, vcc
	v_cmp_nlt_f32_e32 vcc, s0, v0
	v_add_f32_e32 v32, v32, v43
	v_cndmask_b32_e32 v0, v26, v28, vcc
	v_cmp_nlt_f32_e32 vcc, s0, v13
	v_cvt_i32_f32_e32 v60, v60
	v_exp_f32_e32 v32, v32
	v_cndmask_b32_e32 v13, v26, v29, vcc
	v_cvt_f16_f32_e32 v15, v0
	v_cmp_nlt_f32_e32 vcc, s0, v12
	v_cvt_f16_f32_e32 v28, v1
	v_cndmask_b32_e32 v12, v26, v30, vcc
	v_pk_fma_f32 v[22:23], v[22:23], v[0:1], v[12:13]
	v_pk_add_f32 v[12:13], v[24:25], v[10:11] neg_lo:[0,1] neg_hi:[0,1]
	v_mul_f32_e32 v1, 0x3fb8aa3b, v13
	v_ldexp_f32 v32, v32, v60
	v_pk_mul_f16 v58, v15, v58 op_sel_hi:[0,1]
	v_pk_mul_f16 v59, v15, v59 op_sel_hi:[0,1]
	;; [unrolled: 1-line block ×4, first 2 shown]
	v_cmp_ngt_f32_e32 vcc, s1, v2
	v_fma_f32 v15, v13, s2, -v1
	v_rndne_f32_e32 v28, v1
	v_cndmask_b32_e32 v0, 0, v32, vcc
	v_cmp_nlt_f32_e32 vcc, s0, v2
	v_fmac_f32_e32 v15, 0x32a5705f, v13
	v_sub_f32_e32 v1, v1, v28
	v_cndmask_b32_e32 v0, v26, v0, vcc
	v_add_f32_e32 v1, v1, v15
	v_cvt_f16_f32_e32 v2, v0
	v_exp_f32_e32 v15, v1
	v_cvt_i32_f32_e32 v28, v28
	v_cmp_nlt_f32_e32 vcc, s0, v3
	v_mul_f32_e32 v3, 0x3fb8aa3b, v12
	v_pk_mul_f16 v55, v2, v55 op_sel_hi:[0,1]
	v_pk_mul_f16 v54, v2, v54 op_sel_hi:[0,1]
	v_ldexp_f32 v2, v15, v28
	v_fma_f32 v15, v12, s2, -v3
	v_rndne_f32_e32 v28, v3
	v_fmac_f32_e32 v15, 0x32a5705f, v12
	v_sub_f32_e32 v3, v3, v28
	v_add_f32_e32 v3, v3, v15
	v_exp_f32_e32 v15, v3
	v_cvt_i32_f32_e32 v28, v28
	v_cndmask_b32_e32 v1, v26, v31, vcc
	v_cmp_ngt_f32_e32 vcc, s1, v13
	v_cndmask_b32_e32 v2, 0, v2, vcc
	v_cmp_nlt_f32_e32 vcc, s0, v13
	v_cndmask_b32_e32 v3, v26, v2, vcc
	v_ldexp_f32 v2, v15, v28
	v_cmp_ngt_f32_e32 vcc, s1, v12
	v_cvt_f16_f32_e32 v13, v1
	v_cndmask_b32_e32 v2, 0, v2, vcc
	v_cmp_nlt_f32_e32 vcc, s0, v12
	v_cndmask_b32_e32 v2, v26, v2, vcc
	v_pk_fma_f32 v[20:21], v[20:21], v[0:1], v[2:3]
	v_max_f32_e32 v0, v5, v5
	v_pk_mul_f16 v53, v13, v53 op_sel_hi:[0,1]
	v_pk_mul_f16 v52, v13, v52 op_sel_hi:[0,1]
	v_max_f32_e32 v13, v0, v14
	v_max_f32_e32 v0, v4, v4
	;; [unrolled: 1-line block ×3, first 2 shown]
	v_pk_add_f32 v[0:1], v[4:5], v[12:13] neg_lo:[0,1] neg_hi:[0,1]
	v_mul_f32_e32 v2, 0x3fb8aa3b, v1
	v_fma_f32 v3, v1, s2, -v2
	v_rndne_f32_e32 v4, v2
	v_fmac_f32_e32 v3, 0x32a5705f, v1
	v_sub_f32_e32 v2, v2, v4
	v_add_f32_e32 v2, v2, v3
	v_cvt_i32_f32_e32 v3, v4
	v_mul_f32_e32 v4, 0x3fb8aa3b, v0
	v_fma_f32 v5, v0, s2, -v4
	v_rndne_f32_e32 v15, v4
	v_fmac_f32_e32 v5, 0x32a5705f, v0
	v_sub_f32_e32 v4, v4, v15
	v_exp_f32_e32 v2, v2
	v_add_f32_e32 v4, v4, v5
	v_exp_f32_e32 v4, v4
	v_cvt_i32_f32_e32 v5, v15
	v_ldexp_f32 v2, v2, v3
	v_cmp_ngt_f32_e32 vcc, s1, v1
	v_cndmask_b32_e32 v15, 0, v2, vcc
	v_ldexp_f32 v2, v4, v5
	v_cmp_ngt_f32_e32 vcc, s1, v0
	v_cndmask_b32_e32 v2, 0, v2, vcc
	v_cmp_nlt_f32_e32 vcc, s0, v0
	v_cndmask_b32_e32 v0, v26, v2, vcc
	v_pk_add_f32 v[2:3], v[24:25], v[12:13] neg_lo:[0,1] neg_hi:[0,1]
	v_mul_f32_e32 v5, 0x3fb8aa3b, v3
	v_fma_f32 v28, v3, s2, -v5
	v_rndne_f32_e32 v29, v5
	v_fmac_f32_e32 v28, 0x32a5705f, v3
	v_sub_f32_e32 v5, v5, v29
	v_add_f32_e32 v5, v5, v28
	v_cvt_f16_f32_e32 v4, v0
	v_exp_f32_e32 v5, v5
	v_cvt_i32_f32_e32 v28, v29
	v_cmp_nlt_f32_e32 vcc, s0, v1
	v_pk_mul_f16 v51, v4, v51 op_sel_hi:[0,1]
	v_pk_mul_f16 v50, v4, v50 op_sel_hi:[0,1]
	v_ldexp_f32 v4, v5, v28
	v_mul_f32_e32 v5, 0x3fb8aa3b, v2
	v_cndmask_b32_e32 v1, v26, v15, vcc
	v_fma_f32 v15, v2, s2, -v5
	v_rndne_f32_e32 v28, v5
	v_fmac_f32_e32 v15, 0x32a5705f, v2
	v_sub_f32_e32 v5, v5, v28
	v_add_f32_e32 v5, v5, v15
	v_exp_f32_e32 v5, v5
	v_cvt_i32_f32_e32 v15, v28
	v_cmp_ngt_f32_e32 vcc, s1, v3
	v_cndmask_b32_e32 v4, 0, v4, vcc
	v_cmp_nlt_f32_e32 vcc, s0, v3
	v_cndmask_b32_e32 v3, v26, v4, vcc
	v_ldexp_f32 v4, v5, v15
	v_cmp_ngt_f32_e32 vcc, s1, v2
	v_cndmask_b32_e32 v4, 0, v4, vcc
	v_cmp_nlt_f32_e32 vcc, s0, v2
	v_cndmask_b32_e32 v2, v26, v4, vcc
	v_pk_fma_f32 v[18:19], v[18:19], v[0:1], v[2:3]
	v_max_f32_e32 v0, v7, v7
	v_max_f32_e32 v15, v0, v14
	;; [unrolled: 1-line block ×4, first 2 shown]
	v_cvt_f16_f32_e32 v5, v1
	v_pk_add_f32 v[0:1], v[6:7], v[14:15] neg_lo:[0,1] neg_hi:[0,1]
	v_mul_f32_e32 v2, 0x3fb8aa3b, v1
	v_fma_f32 v3, v1, s2, -v2
	v_rndne_f32_e32 v4, v2
	v_fmac_f32_e32 v3, 0x32a5705f, v1
	v_sub_f32_e32 v2, v2, v4
	v_add_f32_e32 v2, v2, v3
	v_cvt_i32_f32_e32 v3, v4
	v_mul_f32_e32 v4, 0x3fb8aa3b, v0
	v_pk_mul_f16 v49, v5, v49 op_sel_hi:[0,1]
	v_pk_mul_f16 v48, v5, v48 op_sel_hi:[0,1]
	v_fma_f32 v5, v0, s2, -v4
	v_rndne_f32_e32 v6, v4
	v_fmac_f32_e32 v5, 0x32a5705f, v0
	v_sub_f32_e32 v4, v4, v6
	v_exp_f32_e32 v2, v2
	v_add_f32_e32 v4, v4, v5
	v_exp_f32_e32 v4, v4
	v_cvt_i32_f32_e32 v5, v6
	v_ldexp_f32 v2, v2, v3
	v_cmp_ngt_f32_e32 vcc, s1, v1
	v_cndmask_b32_e32 v6, 0, v2, vcc
	v_ldexp_f32 v2, v4, v5
	v_cmp_ngt_f32_e32 vcc, s1, v0
	v_cndmask_b32_e32 v2, 0, v2, vcc
	v_cmp_nlt_f32_e32 vcc, s0, v0
	v_cndmask_b32_e32 v0, v26, v2, vcc
	v_pk_add_f32 v[2:3], v[24:25], v[14:15] neg_lo:[0,1] neg_hi:[0,1]
	v_mul_f32_e32 v5, 0x3fb8aa3b, v3
	v_fma_f32 v7, v3, s2, -v5
	v_rndne_f32_e32 v24, v5
	v_fmac_f32_e32 v7, 0x32a5705f, v3
	v_sub_f32_e32 v5, v5, v24
	v_add_f32_e32 v5, v5, v7
	v_cvt_f16_f32_e32 v4, v0
	v_exp_f32_e32 v5, v5
	v_cvt_i32_f32_e32 v7, v24
	v_cmp_nlt_f32_e32 vcc, s0, v1
	v_pk_mul_f16 v47, v4, v47 op_sel_hi:[0,1]
	v_pk_mul_f16 v46, v4, v46 op_sel_hi:[0,1]
	v_ldexp_f32 v4, v5, v7
	v_mul_f32_e32 v5, 0x3fb8aa3b, v2
	v_cndmask_b32_e32 v1, v26, v6, vcc
	v_fma_f32 v6, v2, s2, -v5
	v_rndne_f32_e32 v7, v5
	v_fmac_f32_e32 v6, 0x32a5705f, v2
	v_sub_f32_e32 v5, v5, v7
	v_add_f32_e32 v5, v5, v6
	v_exp_f32_e32 v5, v5
	v_cvt_i32_f32_e32 v6, v7
	v_cmp_ngt_f32_e32 vcc, s1, v3
	v_cndmask_b32_e32 v4, 0, v4, vcc
	v_cmp_nlt_f32_e32 vcc, s0, v3
	v_cndmask_b32_e32 v3, v26, v4, vcc
	v_ldexp_f32 v4, v5, v6
	v_cvt_f16_f32_e32 v5, v1
	v_cmp_ngt_f32_e32 vcc, s1, v2
	v_cndmask_b32_e32 v4, 0, v4, vcc
	v_cmp_nlt_f32_e32 vcc, s0, v2
	v_cndmask_b32_e32 v2, v26, v4, vcc
	v_pk_fma_f32 v[16:17], v[16:17], v[0:1], v[2:3]
	v_pk_mul_f16 v45, v5, v45 op_sel_hi:[0,1]
	v_pk_mul_f16 v44, v5, v44 op_sel_hi:[0,1]
	v_pk_mov_b32 v[0:1], v[8:9], v[8:9] op_sel:[0,1]
	v_pk_mov_b32 v[2:3], v[10:11], v[10:11] op_sel:[0,1]
	;; [unrolled: 1-line block ×4, first 2 shown]
.LBB33_12:
	v_cmp_gt_i32_e32 vcc, s62, v127
	s_and_saveexec_b64 s[0:1], vcc
	s_cbranch_execz .LBB33_51
; %bb.13:
	s_load_dword s6, s[4:5], 0xd4
	v_mov_b32_e32 v8, 1.0
	s_waitcnt lgkmcnt(0)
	s_cmp_lg_u32 s6, 1
	s_cselect_b64 s[2:3], -1, 0
	s_cmp_eq_u32 s6, 1
	s_cselect_b64 s[4:5], -1, 0
	s_and_b64 vcc, exec, s[2:3]
	s_cbranch_vccnz .LBB33_15
; %bb.14:
	v_div_scale_f32 v8, s[0:1], v22, v22, 1.0
	v_rcp_f32_e32 v9, v8
	v_div_scale_f32 v10, vcc, 1.0, v22, 1.0
	v_fma_f32 v11, -v8, v9, 1.0
	v_fmac_f32_e32 v9, v11, v9
	v_mul_f32_e32 v11, v10, v9
	v_fma_f32 v12, -v8, v11, v10
	v_fmac_f32_e32 v11, v12, v9
	v_fma_f32 v8, -v8, v11, v10
	v_div_fmas_f32 v8, v8, v9, v11
	v_div_fixup_f32 v8, v8, v22, 1.0
.LBB33_15:
	s_mul_i32 s8, s33, s62
	s_add_i32 s8, s8, s67
	v_add_u32_e32 v9, s8, v125
	v_mul_lo_u32 v9, v9, s63
	v_add_u32_e32 v10, s64, v9
	v_mul_lo_u32 v10, s6, v10
	v_add_u32_e32 v10, s7, v10
	v_cvt_f32_f16_sdwa v15, v58 dst_sel:DWORD dst_unused:UNUSED_PAD src0_sel:WORD_1
	v_cvt_f32_f16_e32 v14, v58
	v_cvt_f32_f16_sdwa v25, v59 dst_sel:DWORD dst_unused:UNUSED_PAD src0_sel:WORD_1
	v_cvt_f32_f16_e32 v24, v59
	v_lshl_add_u32 v12, v10, 7, v120
	v_mov_b32_e32 v13, 0
	v_lshlrev_b64 v[12:13], 2, v[12:13]
	v_cmp_eq_u32_e32 vcc, 0, v126
	v_mov_b32_e32 v11, s57
	v_add_co_u32_e64 v26, s[0:1], s56, v12
	v_addc_co_u32_e64 v27, s[0:1], v11, v13, s[0:1]
	v_pk_mul_f32 v[12:13], v[8:9], v[14:15] op_sel_hi:[0,1]
	v_pk_mul_f32 v[14:15], v[8:9], v[24:25] op_sel_hi:[0,1]
	s_and_b64 s[2:3], vcc, s[2:3]
	global_store_dwordx4 v[26:27], v[12:15], off
	s_and_saveexec_b64 s[0:1], s[2:3]
	s_cbranch_execz .LBB33_17
; %bb.16:
	v_ashrrev_i32_e32 v11, 31, v10
	v_lshlrev_b64 v[10:11], 3, v[10:11]
	v_mov_b32_e32 v8, s59
	v_add_co_u32_e32 v10, vcc, s58, v10
	v_addc_co_u32_e32 v11, vcc, v8, v11, vcc
	v_mov_b32_e32 v12, v0
	v_mov_b32_e32 v13, v22
	global_store_dwordx2 v[10:11], v[12:13], off
.LBB33_17:
	s_or_b64 exec, exec, s[0:1]
	v_cndmask_b32_e64 v0, 0, 1, s[4:5]
	v_cmp_ne_u32_e64 s[0:1], 1, v0
	s_andn2_b64 vcc, exec, s[4:5]
	v_mov_b32_e32 v0, 1.0
	s_cbranch_vccnz .LBB33_19
; %bb.18:
	v_div_scale_f32 v0, s[4:5], v23, v23, 1.0
	v_rcp_f32_e32 v8, v0
	v_div_scale_f32 v10, vcc, 1.0, v23, 1.0
	v_fma_f32 v11, -v0, v8, 1.0
	v_fmac_f32_e32 v8, v11, v8
	v_mul_f32_e32 v11, v10, v8
	v_fma_f32 v12, -v0, v11, v10
	v_fmac_f32_e32 v11, v12, v8
	v_fma_f32 v0, -v0, v11, v10
	v_div_fmas_f32 v0, v0, v8, v11
	v_div_fixup_f32 v0, v0, v23, 1.0
.LBB33_19:
	s_add_i32 s9, s64, 1
	v_add_u32_e32 v8, s9, v9
	v_mul_lo_u32 v8, s6, v8
	v_add_u32_e32 v8, s7, v8
	v_cvt_f32_f16_sdwa v13, v57 dst_sel:DWORD dst_unused:UNUSED_PAD src0_sel:WORD_1
	v_cvt_f32_f16_e32 v12, v57
	v_cvt_f32_f16_sdwa v15, v56 dst_sel:DWORD dst_unused:UNUSED_PAD src0_sel:WORD_1
	v_cvt_f32_f16_e32 v14, v56
	v_lshl_add_u32 v10, v8, 7, v120
	v_mov_b32_e32 v11, 0
	v_lshlrev_b64 v[10:11], 2, v[10:11]
	v_mov_b32_e32 v9, s57
	v_add_co_u32_e32 v24, vcc, s56, v10
	v_addc_co_u32_e32 v25, vcc, v9, v11, vcc
	v_pk_mul_f32 v[10:11], v[0:1], v[12:13] op_sel_hi:[0,1]
	v_pk_mul_f32 v[12:13], v[0:1], v[14:15] op_sel_hi:[0,1]
	global_store_dwordx4 v[24:25], v[10:13], off
	s_and_saveexec_b64 s[4:5], s[2:3]
	s_cbranch_execz .LBB33_21
; %bb.20:
	v_ashrrev_i32_e32 v9, 31, v8
	v_lshlrev_b64 v[8:9], 3, v[8:9]
	v_mov_b32_e32 v0, s59
	v_add_co_u32_e32 v8, vcc, s58, v8
	v_addc_co_u32_e32 v9, vcc, v0, v9, vcc
	v_mov_b32_e32 v22, v1
	global_store_dwordx2 v[8:9], v[22:23], off
.LBB33_21:
	s_or_b64 exec, exec, s[4:5]
	v_cmp_gt_i32_e32 vcc, s62, v124
	s_and_b64 exec, exec, vcc
	s_cbranch_execz .LBB33_51
; %bb.22:
	s_and_b64 vcc, exec, s[0:1]
	v_mov_b32_e32 v8, 1.0
	s_cbranch_vccnz .LBB33_24
; %bb.23:
	v_div_scale_f32 v0, s[4:5], v20, v20, 1.0
	v_rcp_f32_e32 v1, v0
	v_div_scale_f32 v8, vcc, 1.0, v20, 1.0
	v_fma_f32 v9, -v0, v1, 1.0
	v_fmac_f32_e32 v1, v9, v1
	v_mul_f32_e32 v9, v8, v1
	v_fma_f32 v10, -v0, v9, v8
	v_fmac_f32_e32 v9, v10, v1
	v_fma_f32 v0, -v0, v9, v8
	v_div_fmas_f32 v0, v0, v1, v9
	v_div_fixup_f32 v8, v0, v20, 1.0
.LBB33_24:
	v_add_u32_e32 v0, s8, v123
	v_mul_lo_u32 v0, v0, s63
	v_add_u32_e32 v0, s64, v0
	v_mul_lo_u32 v0, s6, v0
	v_add_u32_e32 v0, s7, v0
	v_cvt_f32_f16_sdwa v13, v55 dst_sel:DWORD dst_unused:UNUSED_PAD src0_sel:WORD_1
	v_cvt_f32_f16_e32 v12, v55
	v_cvt_f32_f16_sdwa v15, v54 dst_sel:DWORD dst_unused:UNUSED_PAD src0_sel:WORD_1
	v_cvt_f32_f16_e32 v14, v54
	v_lshl_add_u32 v10, v0, 7, v120
	v_mov_b32_e32 v11, 0
	v_lshlrev_b64 v[10:11], 2, v[10:11]
	v_mov_b32_e32 v1, s57
	v_add_co_u32_e32 v22, vcc, s56, v10
	v_addc_co_u32_e32 v23, vcc, v1, v11, vcc
	v_pk_mul_f32 v[10:11], v[8:9], v[12:13] op_sel_hi:[0,1]
	v_pk_mul_f32 v[12:13], v[8:9], v[14:15] op_sel_hi:[0,1]
	global_store_dwordx4 v[22:23], v[10:13], off
	s_and_saveexec_b64 s[4:5], s[2:3]
	s_cbranch_execz .LBB33_26
; %bb.25:
	v_ashrrev_i32_e32 v1, 31, v0
	v_lshlrev_b64 v[0:1], 3, v[0:1]
	v_mov_b32_e32 v8, s59
	v_add_co_u32_e32 v0, vcc, s58, v0
	v_addc_co_u32_e32 v1, vcc, v8, v1, vcc
	v_mov_b32_e32 v8, v2
	v_mov_b32_e32 v9, v20
	global_store_dwordx2 v[0:1], v[8:9], off
.LBB33_26:
	s_or_b64 exec, exec, s[4:5]
	v_cmp_gt_i32_e32 vcc, s62, v122
	s_and_b64 exec, exec, vcc
	s_cbranch_execz .LBB33_51
; %bb.27:
	s_and_b64 vcc, exec, s[0:1]
	v_mov_b32_e32 v2, 1.0
	s_cbranch_vccnz .LBB33_29
; %bb.28:
	v_div_scale_f32 v0, s[4:5], v21, v21, 1.0
	v_rcp_f32_e32 v1, v0
	v_div_scale_f32 v2, vcc, 1.0, v21, 1.0
	v_fma_f32 v8, -v0, v1, 1.0
	v_fmac_f32_e32 v1, v8, v1
	v_mul_f32_e32 v8, v2, v1
	v_fma_f32 v9, -v0, v8, v2
	v_fmac_f32_e32 v8, v9, v1
	v_fma_f32 v0, -v0, v8, v2
	v_div_fmas_f32 v0, v0, v1, v8
	v_div_fixup_f32 v2, v0, v21, 1.0
.LBB33_29:
	v_add_u32_e32 v0, s8, v121
	v_mul_lo_u32 v0, v0, s63
	v_add_u32_e32 v0, s9, v0
	v_mul_lo_u32 v0, s6, v0
	v_add_u32_e32 v0, s7, v0
	v_cvt_f32_f16_sdwa v11, v53 dst_sel:DWORD dst_unused:UNUSED_PAD src0_sel:WORD_1
	v_cvt_f32_f16_e32 v10, v53
	v_cvt_f32_f16_sdwa v13, v52 dst_sel:DWORD dst_unused:UNUSED_PAD src0_sel:WORD_1
	v_cvt_f32_f16_e32 v12, v52
	v_lshl_add_u32 v8, v0, 7, v120
	v_mov_b32_e32 v9, 0
	v_lshlrev_b64 v[8:9], 2, v[8:9]
	v_mov_b32_e32 v1, s57
	v_add_co_u32_e32 v14, vcc, s56, v8
	v_addc_co_u32_e32 v15, vcc, v1, v9, vcc
	v_pk_mul_f32 v[8:9], v[2:3], v[10:11] op_sel_hi:[0,1]
	v_pk_mul_f32 v[10:11], v[2:3], v[12:13] op_sel_hi:[0,1]
	global_store_dwordx4 v[14:15], v[8:11], off
	s_and_saveexec_b64 s[4:5], s[2:3]
	s_cbranch_execz .LBB33_31
; %bb.30:
	v_ashrrev_i32_e32 v1, 31, v0
	v_lshlrev_b64 v[0:1], 3, v[0:1]
	v_mov_b32_e32 v2, s59
	v_add_co_u32_e32 v0, vcc, s58, v0
	v_addc_co_u32_e32 v1, vcc, v2, v1, vcc
	v_mov_b32_e32 v20, v3
	global_store_dwordx2 v[0:1], v[20:21], off
.LBB33_31:
	s_or_b64 exec, exec, s[4:5]
	v_cmp_gt_i32_e32 vcc, s62, v119
	s_and_b64 exec, exec, vcc
	s_cbranch_execz .LBB33_51
; %bb.32:
	s_and_b64 vcc, exec, s[0:1]
	v_mov_b32_e32 v2, 1.0
	s_cbranch_vccnz .LBB33_34
; %bb.33:
	v_div_scale_f32 v0, s[4:5], v18, v18, 1.0
	v_rcp_f32_e32 v1, v0
	v_div_scale_f32 v2, vcc, 1.0, v18, 1.0
	v_fma_f32 v3, -v0, v1, 1.0
	v_fmac_f32_e32 v1, v3, v1
	v_mul_f32_e32 v3, v2, v1
	v_fma_f32 v8, -v0, v3, v2
	v_fmac_f32_e32 v3, v8, v1
	v_fma_f32 v0, -v0, v3, v2
	v_div_fmas_f32 v0, v0, v1, v3
	v_div_fixup_f32 v2, v0, v18, 1.0
.LBB33_34:
	v_add_u32_e32 v0, s8, v118
	v_mul_lo_u32 v0, v0, s63
	v_add_u32_e32 v0, s64, v0
	v_mul_lo_u32 v0, s6, v0
	v_add_u32_e32 v0, s7, v0
	v_cvt_f32_f16_sdwa v11, v51 dst_sel:DWORD dst_unused:UNUSED_PAD src0_sel:WORD_1
	v_cvt_f32_f16_e32 v10, v51
	v_cvt_f32_f16_sdwa v13, v50 dst_sel:DWORD dst_unused:UNUSED_PAD src0_sel:WORD_1
	v_cvt_f32_f16_e32 v12, v50
	v_lshl_add_u32 v8, v0, 7, v120
	v_mov_b32_e32 v9, 0
	v_lshlrev_b64 v[8:9], 2, v[8:9]
	v_mov_b32_e32 v1, s57
	v_add_co_u32_e32 v14, vcc, s56, v8
	v_addc_co_u32_e32 v15, vcc, v1, v9, vcc
	v_pk_mul_f32 v[8:9], v[2:3], v[10:11] op_sel_hi:[0,1]
	v_pk_mul_f32 v[10:11], v[2:3], v[12:13] op_sel_hi:[0,1]
	global_store_dwordx4 v[14:15], v[8:11], off
	s_and_saveexec_b64 s[4:5], s[2:3]
	s_cbranch_execz .LBB33_36
; %bb.35:
	v_ashrrev_i32_e32 v1, 31, v0
	v_lshlrev_b64 v[0:1], 3, v[0:1]
	v_mov_b32_e32 v2, s59
	v_add_co_u32_e32 v0, vcc, s58, v0
	v_addc_co_u32_e32 v1, vcc, v2, v1, vcc
	v_mov_b32_e32 v2, v4
	v_mov_b32_e32 v3, v18
	global_store_dwordx2 v[0:1], v[2:3], off
.LBB33_36:
	s_or_b64 exec, exec, s[4:5]
	v_cmp_gt_i32_e32 vcc, s62, v117
	s_and_b64 exec, exec, vcc
	s_cbranch_execz .LBB33_51
; %bb.37:
	s_and_b64 vcc, exec, s[0:1]
	v_mov_b32_e32 v2, 1.0
	s_cbranch_vccnz .LBB33_39
; %bb.38:
	v_div_scale_f32 v0, s[4:5], v19, v19, 1.0
	v_rcp_f32_e32 v1, v0
	v_div_scale_f32 v2, vcc, 1.0, v19, 1.0
	v_fma_f32 v3, -v0, v1, 1.0
	v_fmac_f32_e32 v1, v3, v1
	v_mul_f32_e32 v3, v2, v1
	v_fma_f32 v4, -v0, v3, v2
	v_fmac_f32_e32 v3, v4, v1
	v_fma_f32 v0, -v0, v3, v2
	v_div_fmas_f32 v0, v0, v1, v3
	v_div_fixup_f32 v2, v0, v19, 1.0
.LBB33_39:
	v_add_u32_e32 v0, s8, v116
	v_mul_lo_u32 v0, v0, s63
	v_add_u32_e32 v0, s9, v0
	v_mul_lo_u32 v0, s6, v0
	v_add_u32_e32 v0, s7, v0
	v_cvt_f32_f16_sdwa v11, v49 dst_sel:DWORD dst_unused:UNUSED_PAD src0_sel:WORD_1
	v_cvt_f32_f16_e32 v10, v49
	v_cvt_f32_f16_sdwa v13, v48 dst_sel:DWORD dst_unused:UNUSED_PAD src0_sel:WORD_1
	v_cvt_f32_f16_e32 v12, v48
	v_lshl_add_u32 v8, v0, 7, v120
	v_mov_b32_e32 v9, 0
	v_lshlrev_b64 v[8:9], 2, v[8:9]
	v_mov_b32_e32 v1, s57
	v_add_co_u32_e32 v14, vcc, s56, v8
	v_addc_co_u32_e32 v15, vcc, v1, v9, vcc
	v_pk_mul_f32 v[8:9], v[2:3], v[10:11] op_sel_hi:[0,1]
	v_pk_mul_f32 v[10:11], v[2:3], v[12:13] op_sel_hi:[0,1]
	global_store_dwordx4 v[14:15], v[8:11], off
	s_and_saveexec_b64 s[4:5], s[2:3]
	s_cbranch_execz .LBB33_41
; %bb.40:
	v_ashrrev_i32_e32 v1, 31, v0
	v_lshlrev_b64 v[0:1], 3, v[0:1]
	v_mov_b32_e32 v2, s59
	v_add_co_u32_e32 v0, vcc, s58, v0
	v_addc_co_u32_e32 v1, vcc, v2, v1, vcc
	v_mov_b32_e32 v18, v5
	global_store_dwordx2 v[0:1], v[18:19], off
.LBB33_41:
	s_or_b64 exec, exec, s[4:5]
	v_cmp_gt_i32_e32 vcc, s62, v115
	s_and_b64 exec, exec, vcc
	s_cbranch_execz .LBB33_51
; %bb.42:
	s_and_b64 vcc, exec, s[0:1]
	v_mov_b32_e32 v2, 1.0
	s_cbranch_vccnz .LBB33_44
; %bb.43:
	v_div_scale_f32 v0, s[4:5], v16, v16, 1.0
	v_rcp_f32_e32 v1, v0
	v_div_scale_f32 v2, vcc, 1.0, v16, 1.0
	v_fma_f32 v3, -v0, v1, 1.0
	v_fmac_f32_e32 v1, v3, v1
	v_mul_f32_e32 v3, v2, v1
	v_fma_f32 v4, -v0, v3, v2
	v_fmac_f32_e32 v3, v4, v1
	v_fma_f32 v0, -v0, v3, v2
	v_div_fmas_f32 v0, v0, v1, v3
	v_div_fixup_f32 v2, v0, v16, 1.0
.LBB33_44:
	v_add_u32_e32 v0, s8, v114
	v_mul_lo_u32 v0, v0, s63
	v_add_u32_e32 v0, s64, v0
	v_mul_lo_u32 v0, s6, v0
	v_add_u32_e32 v0, s7, v0
	v_cvt_f32_f16_sdwa v9, v47 dst_sel:DWORD dst_unused:UNUSED_PAD src0_sel:WORD_1
	v_cvt_f32_f16_e32 v8, v47
	v_cvt_f32_f16_sdwa v11, v46 dst_sel:DWORD dst_unused:UNUSED_PAD src0_sel:WORD_1
	v_cvt_f32_f16_e32 v10, v46
	v_lshl_add_u32 v4, v0, 7, v120
	v_mov_b32_e32 v5, 0
	v_lshlrev_b64 v[4:5], 2, v[4:5]
	v_mov_b32_e32 v1, s57
	v_add_co_u32_e32 v4, vcc, s56, v4
	v_addc_co_u32_e32 v5, vcc, v1, v5, vcc
	v_pk_mul_f32 v[8:9], v[2:3], v[8:9] op_sel_hi:[0,1]
	v_pk_mul_f32 v[10:11], v[2:3], v[10:11] op_sel_hi:[0,1]
	global_store_dwordx4 v[4:5], v[8:11], off
	s_and_saveexec_b64 s[4:5], s[2:3]
	s_cbranch_execz .LBB33_46
; %bb.45:
	v_ashrrev_i32_e32 v1, 31, v0
	v_lshlrev_b64 v[0:1], 3, v[0:1]
	v_mov_b32_e32 v2, s59
	v_add_co_u32_e32 v0, vcc, s58, v0
	v_addc_co_u32_e32 v1, vcc, v2, v1, vcc
	v_mov_b32_e32 v2, v6
	v_mov_b32_e32 v3, v16
	global_store_dwordx2 v[0:1], v[2:3], off
.LBB33_46:
	s_or_b64 exec, exec, s[4:5]
	v_cmp_gt_i32_e32 vcc, s62, v113
	s_and_b64 exec, exec, vcc
	s_cbranch_execz .LBB33_51
; %bb.47:
	s_and_b64 vcc, exec, s[0:1]
	v_mov_b32_e32 v2, 1.0
	s_cbranch_vccnz .LBB33_49
; %bb.48:
	v_div_scale_f32 v0, s[0:1], v17, v17, 1.0
	v_rcp_f32_e32 v1, v0
	v_div_scale_f32 v2, vcc, 1.0, v17, 1.0
	v_fma_f32 v3, -v0, v1, 1.0
	v_fmac_f32_e32 v1, v3, v1
	v_mul_f32_e32 v3, v2, v1
	v_fma_f32 v4, -v0, v3, v2
	v_fmac_f32_e32 v3, v4, v1
	v_fma_f32 v0, -v0, v3, v2
	v_div_fmas_f32 v0, v0, v1, v3
	v_div_fixup_f32 v2, v0, v17, 1.0
.LBB33_49:
	v_add_u32_e32 v0, s8, v112
	v_mul_lo_u32 v0, v0, s63
	v_add_u32_e32 v0, s9, v0
	v_mul_lo_u32 v0, s6, v0
	v_add_u32_e32 v0, s7, v0
	v_cvt_f32_f16_sdwa v9, v45 dst_sel:DWORD dst_unused:UNUSED_PAD src0_sel:WORD_1
	v_cvt_f32_f16_e32 v8, v45
	v_cvt_f32_f16_sdwa v11, v44 dst_sel:DWORD dst_unused:UNUSED_PAD src0_sel:WORD_1
	v_cvt_f32_f16_e32 v10, v44
	v_lshl_add_u32 v4, v0, 7, v120
	v_mov_b32_e32 v5, 0
	v_lshlrev_b64 v[4:5], 2, v[4:5]
	v_mov_b32_e32 v1, s57
	v_add_co_u32_e32 v4, vcc, s56, v4
	v_addc_co_u32_e32 v5, vcc, v1, v5, vcc
	v_pk_mul_f32 v[8:9], v[2:3], v[8:9] op_sel_hi:[0,1]
	v_pk_mul_f32 v[10:11], v[2:3], v[10:11] op_sel_hi:[0,1]
	global_store_dwordx4 v[4:5], v[8:11], off
	s_and_b64 exec, exec, s[2:3]
	s_cbranch_execz .LBB33_51
; %bb.50:
	v_ashrrev_i32_e32 v1, 31, v0
	v_lshlrev_b64 v[0:1], 3, v[0:1]
	v_mov_b32_e32 v2, s59
	v_add_co_u32_e32 v0, vcc, s58, v0
	v_addc_co_u32_e32 v1, vcc, v2, v1, vcc
	v_mov_b32_e32 v16, v7
	global_store_dwordx2 v[0:1], v[16:17], off
.LBB33_51:
	s_endpgm
	.section	.rodata,"a",@progbits
	.p2align	6, 0x0
	.amdhsa_kernel _ZL15flash_attn_tileILi128ELi128ELi32ELi2ELb0EEvPKcS1_S1_S1_S1_PKiPfP15HIP_vector_typeIfLj2EEffffjfiS5_IjLj3EEiiiiiiiiiiiliiliiiiil
		.amdhsa_group_segment_fixed_size 29696
		.amdhsa_private_segment_fixed_size 0
		.amdhsa_kernarg_size 464
		.amdhsa_user_sgpr_count 6
		.amdhsa_user_sgpr_private_segment_buffer 1
		.amdhsa_user_sgpr_dispatch_ptr 0
		.amdhsa_user_sgpr_queue_ptr 0
		.amdhsa_user_sgpr_kernarg_segment_ptr 1
		.amdhsa_user_sgpr_dispatch_id 0
		.amdhsa_user_sgpr_flat_scratch_init 0
		.amdhsa_user_sgpr_kernarg_preload_length 0
		.amdhsa_user_sgpr_kernarg_preload_offset 0
		.amdhsa_user_sgpr_private_segment_size 0
		.amdhsa_uses_dynamic_stack 0
		.amdhsa_system_sgpr_private_segment_wavefront_offset 0
		.amdhsa_system_sgpr_workgroup_id_x 1
		.amdhsa_system_sgpr_workgroup_id_y 1
		.amdhsa_system_sgpr_workgroup_id_z 1
		.amdhsa_system_sgpr_workgroup_info 0
		.amdhsa_system_vgpr_workitem_id 1
		.amdhsa_next_free_vgpr 181
		.amdhsa_next_free_sgpr 70
		.amdhsa_accum_offset 184
		.amdhsa_reserve_vcc 1
		.amdhsa_reserve_flat_scratch 0
		.amdhsa_float_round_mode_32 0
		.amdhsa_float_round_mode_16_64 0
		.amdhsa_float_denorm_mode_32 3
		.amdhsa_float_denorm_mode_16_64 3
		.amdhsa_dx10_clamp 1
		.amdhsa_ieee_mode 1
		.amdhsa_fp16_overflow 0
		.amdhsa_tg_split 0
		.amdhsa_exception_fp_ieee_invalid_op 0
		.amdhsa_exception_fp_denorm_src 0
		.amdhsa_exception_fp_ieee_div_zero 0
		.amdhsa_exception_fp_ieee_overflow 0
		.amdhsa_exception_fp_ieee_underflow 0
		.amdhsa_exception_fp_ieee_inexact 0
		.amdhsa_exception_int_div_zero 0
	.end_amdhsa_kernel
	.section	.text._ZL15flash_attn_tileILi128ELi128ELi32ELi2ELb0EEvPKcS1_S1_S1_S1_PKiPfP15HIP_vector_typeIfLj2EEffffjfiS5_IjLj3EEiiiiiiiiiiiliiliiiiil,"axG",@progbits,_ZL15flash_attn_tileILi128ELi128ELi32ELi2ELb0EEvPKcS1_S1_S1_S1_PKiPfP15HIP_vector_typeIfLj2EEffffjfiS5_IjLj3EEiiiiiiiiiiiliiliiiiil,comdat
.Lfunc_end33:
	.size	_ZL15flash_attn_tileILi128ELi128ELi32ELi2ELb0EEvPKcS1_S1_S1_S1_PKiPfP15HIP_vector_typeIfLj2EEffffjfiS5_IjLj3EEiiiiiiiiiiiliiliiiiil, .Lfunc_end33-_ZL15flash_attn_tileILi128ELi128ELi32ELi2ELb0EEvPKcS1_S1_S1_S1_PKiPfP15HIP_vector_typeIfLj2EEffffjfiS5_IjLj3EEiiiiiiiiiiiliiliiiiil
                                        ; -- End function
	.section	.AMDGPU.csdata,"",@progbits
; Kernel info:
; codeLenInByte = 30332
; NumSgprs: 74
; NumVgprs: 181
; NumAgprs: 0
; TotalNumVgprs: 181
; ScratchSize: 0
; MemoryBound: 0
; FloatMode: 240
; IeeeMode: 1
; LDSByteSize: 29696 bytes/workgroup (compile time only)
; SGPRBlocks: 9
; VGPRBlocks: 22
; NumSGPRsForWavesPerEU: 74
; NumVGPRsForWavesPerEU: 181
; AccumOffset: 184
; Occupancy: 2
; WaveLimiterHint : 1
; COMPUTE_PGM_RSRC2:SCRATCH_EN: 0
; COMPUTE_PGM_RSRC2:USER_SGPR: 6
; COMPUTE_PGM_RSRC2:TRAP_HANDLER: 0
; COMPUTE_PGM_RSRC2:TGID_X_EN: 1
; COMPUTE_PGM_RSRC2:TGID_Y_EN: 1
; COMPUTE_PGM_RSRC2:TGID_Z_EN: 1
; COMPUTE_PGM_RSRC2:TIDIG_COMP_CNT: 1
; COMPUTE_PGM_RSRC3_GFX90A:ACCUM_OFFSET: 45
; COMPUTE_PGM_RSRC3_GFX90A:TG_SPLIT: 0
	.section	.text._ZL25flash_attn_mask_to_KV_maxILi32EEvPK7__half2Piiii,"axG",@progbits,_ZL25flash_attn_mask_to_KV_maxILi32EEvPK7__half2Piiii,comdat
	.globl	_ZL25flash_attn_mask_to_KV_maxILi32EEvPK7__half2Piiii ; -- Begin function _ZL25flash_attn_mask_to_KV_maxILi32EEvPK7__half2Piiii
	.p2align	8
	.type	_ZL25flash_attn_mask_to_KV_maxILi32EEvPK7__half2Piiii,@function
_ZL25flash_attn_mask_to_KV_maxILi32EEvPK7__half2Piiii: ; @_ZL25flash_attn_mask_to_KV_maxILi32EEvPK7__half2Piiii
; %bb.0:
	s_load_dwordx4 s[8:11], s[4:5], 0x0
	v_cmp_gt_u32_e32 vcc, 32, v0
	s_and_saveexec_b64 s[0:1], vcc
	s_cbranch_execz .LBB34_2
; %bb.1:
	v_lshlrev_b32_e32 v1, 2, v0
	v_mov_b32_e32 v2, 1
	ds_write_b32 v1, v2
.LBB34_2:
	s_or_b64 exec, exec, s[0:1]
	s_load_dwordx4 s[12:15], s[4:5], 0x10
	s_load_dword s33, s[4:5], 0x20
	v_and_b32_e32 v2, 31, v0
	v_lshlrev_b32_e32 v6, 2, v2
	v_lshrrev_b32_e32 v1, 3, v0
	s_waitcnt lgkmcnt(0)
	s_mul_i32 s1, s6, s13
	s_mul_i32 s0, s7, s14
	s_lshl_b32 s1, s1, 5
	s_add_i32 s0, s0, s1
	s_ashr_i32 s1, s0, 31
	s_lshl_b64 s[0:1], s[0:1], 2
	s_add_u32 s94, s8, s0
	s_addc_u32 s95, s9, s1
	v_cmp_eq_u32_e64 s[0:1], 0, v2
	v_mbcnt_lo_u32_b32 v2, -1, 0
	s_lshl_b32 s12, s12, 8
	s_mov_b64 s[4:5], 0
	v_mov_b32_e32 v3, 0
	s_movk_i32 s92, 0x204
	s_movk_i32 s93, 0x7fff
	;; [unrolled: 1-line block ×3, first 2 shown]
	v_mbcnt_hi_u32_b32 v7, -1, v2
	s_barrier
	s_waitcnt lgkmcnt(0)
                                        ; implicit-def: $sgpr2_sgpr3
	s_branch .LBB34_5
.LBB34_3:                               ;   in Loop: Header=BB34_5 Depth=1
	s_or_b64 exec, exec, s[8:9]
	s_waitcnt lgkmcnt(0)
	s_barrier
	ds_read_b32 v10, v6
	s_waitcnt lgkmcnt(0)
	s_barrier
	ds_bpermute_b32 v2, v2, v10
	v_cmp_ne_u32_e32 vcc, 0, v10
	s_waitcnt lgkmcnt(0)
	v_cmp_ne_u32_e64 s[2:3], 0, v2
	s_and_b64 s[2:3], vcc, s[2:3]
	v_cndmask_b32_e64 v2, 0, 1, s[2:3]
	ds_bpermute_b32 v2, v4, v2
	s_waitcnt lgkmcnt(0)
	v_cmp_ne_u32_e32 vcc, 0, v2
	s_and_b64 s[2:3], vcc, s[2:3]
	v_cndmask_b32_e64 v2, 0, 1, s[2:3]
	ds_bpermute_b32 v2, v5, v2
	s_waitcnt lgkmcnt(0)
	v_cmp_ne_u32_e32 vcc, 0, v2
	;; [unrolled: 5-line block ×3, first 2 shown]
	s_and_b64 s[2:3], vcc, s[2:3]
	v_cndmask_b32_e64 v2, 0, 1, s[2:3]
	ds_bpermute_b32 v2, v9, v2
	s_xor_b64 s[2:3], s[2:3], -1
	s_waitcnt lgkmcnt(0)
	v_cmp_eq_u32_e32 vcc, 0, v2
	s_or_b64 s[2:3], vcc, s[2:3]
.LBB34_4:                               ;   in Loop: Header=BB34_5 Depth=1
	s_and_b64 s[8:9], exec, s[2:3]
	s_or_b64 s[4:5], s[8:9], s[4:5]
	v_mov_b32_e32 v2, s12
	s_mov_b32 s12, s91
	s_andn2_b64 exec, exec, s[4:5]
	s_cbranch_execz .LBB34_132
.LBB34_5:                               ; =>This Inner Loop Header: Depth=1
	s_add_i32 s91, s12, 0xffffff00
	s_or_b64 s[2:3], s[2:3], exec
	s_cmp_lt_i32 s91, 0
	s_cbranch_scc1 .LBB34_4
; %bb.6:                                ;   in Loop: Header=BB34_5 Depth=1
	s_lshr_b32 s2, s91, 1
	v_add_u32_e32 v2, s2, v0
	v_lshlrev_b64 v[4:5], 2, v[2:3]
	v_mov_b32_e32 v8, s95
	v_add_co_u32_e32 v4, vcc, s94, v4
	v_addc_co_u32_e32 v5, vcc, v8, v5, vcc
	global_load_dword v4, v[4:5], off
	s_mov_b64 s[8:9], 0
	s_waitcnt vmcnt(0)
	v_cmp_class_f16_e64 s[2:3], v4, s92
	v_and_b32_sdwa v4, s93, v4 dst_sel:DWORD dst_unused:UNUSED_PAD src0_sel:DWORD src1_sel:WORD_1
	v_cmp_eq_f16_e32 vcc, s90, v4
	s_and_b64 s[14:15], s[2:3], vcc
	s_and_saveexec_b64 s[2:3], s[14:15]
	s_cbranch_execz .LBB34_130
; %bb.7:                                ;   in Loop: Header=BB34_5 Depth=1
	v_add_u32_e32 v4, s13, v2
	v_ashrrev_i32_e32 v5, 31, v4
	v_lshlrev_b64 v[8:9], 2, v[4:5]
	v_mov_b32_e32 v2, s95
	v_add_co_u32_e32 v8, vcc, s94, v8
	v_addc_co_u32_e32 v9, vcc, v2, v9, vcc
	global_load_dword v2, v[8:9], off
	s_mov_b64 s[14:15], 0
	s_waitcnt vmcnt(0)
	v_cmp_class_f16_e64 s[16:17], v2, s92
	s_and_saveexec_b64 s[8:9], s[16:17]
	s_cbranch_execz .LBB34_129
; %bb.8:                                ;   in Loop: Header=BB34_5 Depth=1
	v_cmp_class_f16_sdwa s[18:19], v2, s92 src0_sel:WORD_1 src1_sel:DWORD
	s_mov_b64 s[16:17], 0
	s_and_saveexec_b64 s[14:15], s[18:19]
	s_cbranch_execz .LBB34_128
; %bb.9:                                ;   in Loop: Header=BB34_5 Depth=1
	v_add_u32_e32 v4, s13, v4
	v_ashrrev_i32_e32 v5, 31, v4
	v_lshlrev_b64 v[8:9], 2, v[4:5]
	v_mov_b32_e32 v2, s95
	v_add_co_u32_e32 v8, vcc, s94, v8
	v_addc_co_u32_e32 v9, vcc, v2, v9, vcc
	global_load_dword v2, v[8:9], off
	s_mov_b64 s[18:19], 0
	s_waitcnt vmcnt(0)
	v_cmp_class_f16_e64 s[20:21], v2, s92
	s_and_saveexec_b64 s[16:17], s[20:21]
	s_cbranch_execz .LBB34_127
; %bb.10:                               ;   in Loop: Header=BB34_5 Depth=1
	v_cmp_class_f16_sdwa s[22:23], v2, s92 src0_sel:WORD_1 src1_sel:DWORD
	s_mov_b64 s[20:21], 0
	s_and_saveexec_b64 s[18:19], s[22:23]
	s_cbranch_execz .LBB34_126
; %bb.11:                               ;   in Loop: Header=BB34_5 Depth=1
	v_add_u32_e32 v4, s13, v4
	v_ashrrev_i32_e32 v5, 31, v4
	v_lshlrev_b64 v[8:9], 2, v[4:5]
	v_mov_b32_e32 v2, s95
	v_add_co_u32_e32 v8, vcc, s94, v8
	v_addc_co_u32_e32 v9, vcc, v2, v9, vcc
	global_load_dword v2, v[8:9], off
	s_mov_b64 s[22:23], 0
	s_waitcnt vmcnt(0)
	v_cmp_class_f16_e64 s[24:25], v2, s92
	s_and_saveexec_b64 s[20:21], s[24:25]
	s_cbranch_execz .LBB34_125
; %bb.12:                               ;   in Loop: Header=BB34_5 Depth=1
	v_cmp_class_f16_sdwa s[26:27], v2, s92 src0_sel:WORD_1 src1_sel:DWORD
	s_mov_b64 s[24:25], 0
	s_and_saveexec_b64 s[22:23], s[26:27]
	s_cbranch_execz .LBB34_124
; %bb.13:                               ;   in Loop: Header=BB34_5 Depth=1
	v_add_u32_e32 v4, s13, v4
	v_ashrrev_i32_e32 v5, 31, v4
	v_lshlrev_b64 v[8:9], 2, v[4:5]
	v_mov_b32_e32 v2, s95
	v_add_co_u32_e32 v8, vcc, s94, v8
	v_addc_co_u32_e32 v9, vcc, v2, v9, vcc
	global_load_dword v2, v[8:9], off
	s_mov_b64 s[26:27], 0
	s_waitcnt vmcnt(0)
	v_cmp_class_f16_e64 s[28:29], v2, s92
	s_and_saveexec_b64 s[24:25], s[28:29]
	s_cbranch_execz .LBB34_123
; %bb.14:                               ;   in Loop: Header=BB34_5 Depth=1
	v_cmp_class_f16_sdwa s[30:31], v2, s92 src0_sel:WORD_1 src1_sel:DWORD
	s_mov_b64 s[28:29], 0
	s_and_saveexec_b64 s[26:27], s[30:31]
	s_cbranch_execz .LBB34_122
; %bb.15:                               ;   in Loop: Header=BB34_5 Depth=1
	v_add_u32_e32 v4, s13, v4
	v_ashrrev_i32_e32 v5, 31, v4
	v_lshlrev_b64 v[8:9], 2, v[4:5]
	v_mov_b32_e32 v2, s95
	v_add_co_u32_e32 v8, vcc, s94, v8
	v_addc_co_u32_e32 v9, vcc, v2, v9, vcc
	global_load_dword v2, v[8:9], off
	s_mov_b64 s[30:31], 0
	s_waitcnt vmcnt(0)
	v_cmp_class_f16_e64 s[34:35], v2, s92
	s_and_saveexec_b64 s[28:29], s[34:35]
	s_cbranch_execz .LBB34_121
; %bb.16:                               ;   in Loop: Header=BB34_5 Depth=1
	v_cmp_class_f16_sdwa s[36:37], v2, s92 src0_sel:WORD_1 src1_sel:DWORD
	s_mov_b64 s[34:35], 0
	s_and_saveexec_b64 s[30:31], s[36:37]
	s_cbranch_execz .LBB34_120
; %bb.17:                               ;   in Loop: Header=BB34_5 Depth=1
	v_add_u32_e32 v4, s13, v4
	v_ashrrev_i32_e32 v5, 31, v4
	v_lshlrev_b64 v[8:9], 2, v[4:5]
	v_mov_b32_e32 v2, s95
	v_add_co_u32_e32 v8, vcc, s94, v8
	v_addc_co_u32_e32 v9, vcc, v2, v9, vcc
	global_load_dword v2, v[8:9], off
	s_mov_b64 s[36:37], 0
	s_waitcnt vmcnt(0)
	v_cmp_class_f16_e64 s[38:39], v2, s92
	s_and_saveexec_b64 s[34:35], s[38:39]
	s_cbranch_execz .LBB34_119
; %bb.18:                               ;   in Loop: Header=BB34_5 Depth=1
	v_cmp_class_f16_sdwa s[40:41], v2, s92 src0_sel:WORD_1 src1_sel:DWORD
	s_mov_b64 s[38:39], 0
	s_and_saveexec_b64 s[36:37], s[40:41]
	s_cbranch_execz .LBB34_118
; %bb.19:                               ;   in Loop: Header=BB34_5 Depth=1
	v_add_u32_e32 v4, s13, v4
	v_ashrrev_i32_e32 v5, 31, v4
	v_lshlrev_b64 v[8:9], 2, v[4:5]
	v_mov_b32_e32 v2, s95
	v_add_co_u32_e32 v8, vcc, s94, v8
	v_addc_co_u32_e32 v9, vcc, v2, v9, vcc
	global_load_dword v2, v[8:9], off
	s_mov_b64 s[40:41], 0
	s_waitcnt vmcnt(0)
	v_cmp_class_f16_e64 s[42:43], v2, s92
	s_and_saveexec_b64 s[38:39], s[42:43]
	s_cbranch_execz .LBB34_117
; %bb.20:                               ;   in Loop: Header=BB34_5 Depth=1
	v_cmp_class_f16_sdwa s[44:45], v2, s92 src0_sel:WORD_1 src1_sel:DWORD
	s_mov_b64 s[42:43], 0
	s_and_saveexec_b64 s[40:41], s[44:45]
	s_cbranch_execz .LBB34_116
; %bb.21:                               ;   in Loop: Header=BB34_5 Depth=1
	v_add_u32_e32 v4, s13, v4
	v_ashrrev_i32_e32 v5, 31, v4
	v_lshlrev_b64 v[8:9], 2, v[4:5]
	v_mov_b32_e32 v2, s95
	v_add_co_u32_e32 v8, vcc, s94, v8
	v_addc_co_u32_e32 v9, vcc, v2, v9, vcc
	global_load_dword v2, v[8:9], off
	s_mov_b64 s[44:45], 0
	s_waitcnt vmcnt(0)
	v_cmp_class_f16_e64 s[46:47], v2, s92
	s_and_saveexec_b64 s[42:43], s[46:47]
	s_cbranch_execz .LBB34_115
; %bb.22:                               ;   in Loop: Header=BB34_5 Depth=1
	v_cmp_class_f16_sdwa s[48:49], v2, s92 src0_sel:WORD_1 src1_sel:DWORD
	s_mov_b64 s[46:47], 0
	s_and_saveexec_b64 s[44:45], s[48:49]
	s_cbranch_execz .LBB34_114
; %bb.23:                               ;   in Loop: Header=BB34_5 Depth=1
	v_add_u32_e32 v4, s13, v4
	v_ashrrev_i32_e32 v5, 31, v4
	v_lshlrev_b64 v[8:9], 2, v[4:5]
	v_mov_b32_e32 v2, s95
	v_add_co_u32_e32 v8, vcc, s94, v8
	v_addc_co_u32_e32 v9, vcc, v2, v9, vcc
	global_load_dword v2, v[8:9], off
	s_mov_b64 s[48:49], 0
	s_waitcnt vmcnt(0)
	v_cmp_class_f16_e64 s[50:51], v2, s92
	s_and_saveexec_b64 s[46:47], s[50:51]
	s_cbranch_execz .LBB34_113
; %bb.24:                               ;   in Loop: Header=BB34_5 Depth=1
	v_cmp_class_f16_sdwa s[52:53], v2, s92 src0_sel:WORD_1 src1_sel:DWORD
	s_mov_b64 s[50:51], 0
	s_and_saveexec_b64 s[48:49], s[52:53]
	s_cbranch_execz .LBB34_112
; %bb.25:                               ;   in Loop: Header=BB34_5 Depth=1
	v_add_u32_e32 v4, s13, v4
	v_ashrrev_i32_e32 v5, 31, v4
	v_lshlrev_b64 v[8:9], 2, v[4:5]
	v_mov_b32_e32 v2, s95
	v_add_co_u32_e32 v8, vcc, s94, v8
	v_addc_co_u32_e32 v9, vcc, v2, v9, vcc
	global_load_dword v2, v[8:9], off
	s_mov_b64 s[52:53], 0
	s_waitcnt vmcnt(0)
	v_cmp_class_f16_e64 s[54:55], v2, s92
	s_and_saveexec_b64 s[50:51], s[54:55]
	s_cbranch_execz .LBB34_111
; %bb.26:                               ;   in Loop: Header=BB34_5 Depth=1
	v_cmp_class_f16_sdwa s[56:57], v2, s92 src0_sel:WORD_1 src1_sel:DWORD
	s_mov_b64 s[54:55], 0
	s_and_saveexec_b64 s[52:53], s[56:57]
	s_cbranch_execz .LBB34_110
; %bb.27:                               ;   in Loop: Header=BB34_5 Depth=1
	v_add_u32_e32 v4, s13, v4
	v_ashrrev_i32_e32 v5, 31, v4
	v_lshlrev_b64 v[8:9], 2, v[4:5]
	v_mov_b32_e32 v2, s95
	v_add_co_u32_e32 v8, vcc, s94, v8
	v_addc_co_u32_e32 v9, vcc, v2, v9, vcc
	global_load_dword v2, v[8:9], off
	s_mov_b64 s[56:57], 0
	s_waitcnt vmcnt(0)
	v_cmp_class_f16_e64 s[58:59], v2, s92
	s_and_saveexec_b64 s[54:55], s[58:59]
	s_cbranch_execz .LBB34_109
; %bb.28:                               ;   in Loop: Header=BB34_5 Depth=1
	v_cmp_class_f16_sdwa s[60:61], v2, s92 src0_sel:WORD_1 src1_sel:DWORD
	s_mov_b64 s[58:59], 0
	s_and_saveexec_b64 s[56:57], s[60:61]
	s_cbranch_execz .LBB34_108
; %bb.29:                               ;   in Loop: Header=BB34_5 Depth=1
	v_add_u32_e32 v4, s13, v4
	v_ashrrev_i32_e32 v5, 31, v4
	v_lshlrev_b64 v[8:9], 2, v[4:5]
	v_mov_b32_e32 v2, s95
	v_add_co_u32_e32 v8, vcc, s94, v8
	v_addc_co_u32_e32 v9, vcc, v2, v9, vcc
	global_load_dword v2, v[8:9], off
	s_mov_b64 s[60:61], 0
	s_waitcnt vmcnt(0)
	v_cmp_class_f16_e64 s[62:63], v2, s92
	s_and_saveexec_b64 s[58:59], s[62:63]
	s_cbranch_execz .LBB34_107
; %bb.30:                               ;   in Loop: Header=BB34_5 Depth=1
	v_cmp_class_f16_sdwa s[64:65], v2, s92 src0_sel:WORD_1 src1_sel:DWORD
	s_mov_b64 s[62:63], 0
	s_and_saveexec_b64 s[60:61], s[64:65]
	s_cbranch_execz .LBB34_106
; %bb.31:                               ;   in Loop: Header=BB34_5 Depth=1
	v_add_u32_e32 v4, s13, v4
	v_ashrrev_i32_e32 v5, 31, v4
	v_lshlrev_b64 v[8:9], 2, v[4:5]
	v_mov_b32_e32 v2, s95
	v_add_co_u32_e32 v8, vcc, s94, v8
	v_addc_co_u32_e32 v9, vcc, v2, v9, vcc
	global_load_dword v2, v[8:9], off
	s_mov_b64 s[64:65], 0
	s_waitcnt vmcnt(0)
	v_cmp_class_f16_e64 s[66:67], v2, s92
	s_and_saveexec_b64 s[62:63], s[66:67]
	s_cbranch_execz .LBB34_105
; %bb.32:                               ;   in Loop: Header=BB34_5 Depth=1
	v_cmp_class_f16_sdwa s[68:69], v2, s92 src0_sel:WORD_1 src1_sel:DWORD
	s_mov_b64 s[66:67], 0
	s_and_saveexec_b64 s[64:65], s[68:69]
	s_cbranch_execz .LBB34_104
; %bb.33:                               ;   in Loop: Header=BB34_5 Depth=1
	v_add_u32_e32 v4, s13, v4
	v_ashrrev_i32_e32 v5, 31, v4
	v_lshlrev_b64 v[8:9], 2, v[4:5]
	v_mov_b32_e32 v2, s95
	v_add_co_u32_e32 v8, vcc, s94, v8
	v_addc_co_u32_e32 v9, vcc, v2, v9, vcc
	global_load_dword v2, v[8:9], off
	s_mov_b64 s[68:69], 0
	s_waitcnt vmcnt(0)
	v_cmp_class_f16_e64 s[70:71], v2, s92
	s_and_saveexec_b64 s[66:67], s[70:71]
	s_cbranch_execz .LBB34_103
; %bb.34:                               ;   in Loop: Header=BB34_5 Depth=1
	v_cmp_class_f16_sdwa s[72:73], v2, s92 src0_sel:WORD_1 src1_sel:DWORD
	s_mov_b64 s[70:71], 0
	s_and_saveexec_b64 s[68:69], s[72:73]
	s_cbranch_execz .LBB34_102
; %bb.35:                               ;   in Loop: Header=BB34_5 Depth=1
	v_add_u32_e32 v4, s13, v4
	v_ashrrev_i32_e32 v5, 31, v4
	v_lshlrev_b64 v[8:9], 2, v[4:5]
	v_mov_b32_e32 v2, s95
	v_add_co_u32_e32 v8, vcc, s94, v8
	v_addc_co_u32_e32 v9, vcc, v2, v9, vcc
	global_load_dword v2, v[8:9], off
	s_mov_b64 s[72:73], 0
	s_waitcnt vmcnt(0)
	v_cmp_class_f16_e64 s[74:75], v2, s92
	s_and_saveexec_b64 s[70:71], s[74:75]
	s_cbranch_execz .LBB34_101
; %bb.36:                               ;   in Loop: Header=BB34_5 Depth=1
	v_cmp_class_f16_sdwa s[76:77], v2, s92 src0_sel:WORD_1 src1_sel:DWORD
	s_mov_b64 s[74:75], 0
	s_and_saveexec_b64 s[72:73], s[76:77]
	s_cbranch_execz .LBB34_100
; %bb.37:                               ;   in Loop: Header=BB34_5 Depth=1
	v_add_u32_e32 v4, s13, v4
	v_ashrrev_i32_e32 v5, 31, v4
	v_lshlrev_b64 v[8:9], 2, v[4:5]
	v_mov_b32_e32 v2, s95
	v_add_co_u32_e32 v8, vcc, s94, v8
	v_addc_co_u32_e32 v9, vcc, v2, v9, vcc
	global_load_dword v2, v[8:9], off
	s_mov_b64 s[76:77], 0
	s_waitcnt vmcnt(0)
	v_cmp_class_f16_e64 s[78:79], v2, s92
	s_and_saveexec_b64 s[74:75], s[78:79]
	s_cbranch_execz .LBB34_99
; %bb.38:                               ;   in Loop: Header=BB34_5 Depth=1
	v_cmp_class_f16_sdwa s[80:81], v2, s92 src0_sel:WORD_1 src1_sel:DWORD
	s_mov_b64 s[78:79], 0
	s_and_saveexec_b64 s[76:77], s[80:81]
	s_cbranch_execz .LBB34_98
; %bb.39:                               ;   in Loop: Header=BB34_5 Depth=1
	v_add_u32_e32 v4, s13, v4
	v_ashrrev_i32_e32 v5, 31, v4
	v_lshlrev_b64 v[8:9], 2, v[4:5]
	v_mov_b32_e32 v2, s95
	v_add_co_u32_e32 v8, vcc, s94, v8
	v_addc_co_u32_e32 v9, vcc, v2, v9, vcc
	global_load_dword v2, v[8:9], off
	s_mov_b64 s[80:81], 0
	s_waitcnt vmcnt(0)
	v_cmp_class_f16_e64 s[82:83], v2, s92
	s_and_saveexec_b64 s[78:79], s[82:83]
	s_cbranch_execz .LBB34_97
; %bb.40:                               ;   in Loop: Header=BB34_5 Depth=1
	v_cmp_class_f16_sdwa s[84:85], v2, s92 src0_sel:WORD_1 src1_sel:DWORD
	s_mov_b64 s[82:83], 0
	s_and_saveexec_b64 s[80:81], s[84:85]
	s_cbranch_execz .LBB34_96
; %bb.41:                               ;   in Loop: Header=BB34_5 Depth=1
	v_add_u32_e32 v4, s13, v4
	v_ashrrev_i32_e32 v5, 31, v4
	v_lshlrev_b64 v[8:9], 2, v[4:5]
	v_mov_b32_e32 v2, s95
	v_add_co_u32_e32 v8, vcc, s94, v8
	v_addc_co_u32_e32 v9, vcc, v2, v9, vcc
	global_load_dword v2, v[8:9], off
	s_mov_b64 s[84:85], 0
	s_waitcnt vmcnt(0)
	v_cmp_class_f16_e64 s[86:87], v2, s92
	s_and_saveexec_b64 s[82:83], s[86:87]
	s_cbranch_execz .LBB34_95
; %bb.42:                               ;   in Loop: Header=BB34_5 Depth=1
	v_cmp_class_f16_sdwa s[88:89], v2, s92 src0_sel:WORD_1 src1_sel:DWORD
	s_mov_b64 s[86:87], 0
	s_and_saveexec_b64 s[84:85], s[88:89]
	s_cbranch_execz .LBB34_94
; %bb.43:                               ;   in Loop: Header=BB34_5 Depth=1
	v_add_u32_e32 v4, s13, v4
	v_ashrrev_i32_e32 v5, 31, v4
	v_lshlrev_b64 v[8:9], 2, v[4:5]
	v_mov_b32_e32 v2, s95
	v_add_co_u32_e32 v8, vcc, s94, v8
	v_addc_co_u32_e32 v9, vcc, v2, v9, vcc
	global_load_dword v2, v[8:9], off
	s_mov_b64 s[88:89], 0
	s_waitcnt vmcnt(0)
	v_cmp_class_f16_e64 vcc, v2, s92
	s_mov_b64 s[86:87], exec
                                        ; implicit-def: $vgpr12 : SGPR spill to VGPR lane
	v_writelane_b32 v12, s86, 0
	s_and_b64 vcc, s[86:87], vcc
	v_writelane_b32 v12, s87, 1
	s_mov_b64 exec, vcc
	s_cbranch_execz .LBB34_93
; %bb.44:                               ;   in Loop: Header=BB34_5 Depth=1
	v_cmp_class_f16_sdwa s[88:89], v2, s92 src0_sel:WORD_1 src1_sel:DWORD
	s_mov_b64 vcc, 0
	s_mov_b64 s[86:87], exec
	v_writelane_b32 v12, s86, 2
	s_and_b64 s[88:89], s[86:87], s[88:89]
	v_writelane_b32 v12, s87, 3
	s_mov_b64 exec, s[88:89]
	s_cbranch_execz .LBB34_92
; %bb.45:                               ;   in Loop: Header=BB34_5 Depth=1
	v_add_u32_e32 v4, s13, v4
	v_ashrrev_i32_e32 v5, 31, v4
	v_lshlrev_b64 v[8:9], 2, v[4:5]
	v_mov_b32_e32 v2, s95
	v_add_co_u32_e32 v8, vcc, s94, v8
	v_addc_co_u32_e32 v9, vcc, v2, v9, vcc
	global_load_dword v2, v[8:9], off
	s_mov_b64 vcc, 0
	s_waitcnt vmcnt(0)
	v_cmp_class_f16_e64 s[88:89], v2, s92
	s_mov_b64 s[86:87], exec
	v_writelane_b32 v12, s86, 4
	s_and_b64 s[88:89], s[86:87], s[88:89]
	v_writelane_b32 v12, s87, 5
	s_mov_b64 exec, s[88:89]
	s_cbranch_execz .LBB34_91
; %bb.46:                               ;   in Loop: Header=BB34_5 Depth=1
	v_cmp_class_f16_sdwa s[88:89], v2, s92 src0_sel:WORD_1 src1_sel:DWORD
	s_mov_b64 vcc, 0
	s_mov_b64 s[86:87], exec
	v_writelane_b32 v12, s86, 6
	s_and_b64 s[88:89], s[86:87], s[88:89]
	v_writelane_b32 v12, s87, 7
	s_mov_b64 exec, s[88:89]
	s_cbranch_execz .LBB34_90
; %bb.47:                               ;   in Loop: Header=BB34_5 Depth=1
	v_add_u32_e32 v4, s13, v4
	v_ashrrev_i32_e32 v5, 31, v4
	v_lshlrev_b64 v[8:9], 2, v[4:5]
	v_mov_b32_e32 v2, s95
	v_add_co_u32_e32 v8, vcc, s94, v8
	v_addc_co_u32_e32 v9, vcc, v2, v9, vcc
	global_load_dword v2, v[8:9], off
	s_mov_b64 vcc, 0
	s_waitcnt vmcnt(0)
	v_cmp_class_f16_e64 s[88:89], v2, s92
	s_mov_b64 s[86:87], exec
	v_writelane_b32 v12, s86, 8
	s_and_b64 s[88:89], s[86:87], s[88:89]
	v_writelane_b32 v12, s87, 9
	s_mov_b64 exec, s[88:89]
	;; [unrolled: 26-line block ×11, first 2 shown]
	s_cbranch_execz .LBB34_71
; %bb.66:                               ;   in Loop: Header=BB34_5 Depth=1
	v_cmp_class_f16_sdwa s[88:89], v2, s92 src0_sel:WORD_1 src1_sel:DWORD
	s_mov_b64 vcc, 0
	s_mov_b64 s[86:87], exec
	v_writelane_b32 v12, s86, 46
	s_and_b64 s[88:89], s[86:87], s[88:89]
	v_writelane_b32 v12, s87, 47
	s_mov_b64 exec, s[88:89]
	s_cbranch_execz .LBB34_70
; %bb.67:                               ;   in Loop: Header=BB34_5 Depth=1
	v_add_u32_e32 v4, s13, v4
	v_ashrrev_i32_e32 v5, 31, v4
	v_lshlrev_b64 v[4:5], 2, v[4:5]
	v_mov_b32_e32 v2, s95
	v_add_co_u32_e32 v4, vcc, s94, v4
	v_addc_co_u32_e32 v5, vcc, v2, v5, vcc
	global_load_dword v2, v[4:5], off
	s_mov_b64 vcc, 0
	s_waitcnt vmcnt(0)
	v_cmp_class_f16_e64 s[88:89], v2, s92
	s_and_saveexec_b64 s[86:87], s[88:89]
; %bb.68:                               ;   in Loop: Header=BB34_5 Depth=1
	v_cmp_class_f16_sdwa s[88:89], v2, s92 src0_sel:WORD_1 src1_sel:DWORD
	s_and_b64 vcc, s[88:89], exec
; %bb.69:                               ;   in Loop: Header=BB34_5 Depth=1
	s_or_b64 exec, exec, s[86:87]
	s_and_b64 vcc, vcc, exec
.LBB34_70:                              ;   in Loop: Header=BB34_5 Depth=1
	v_readlane_b32 s88, v12, 46
	v_readlane_b32 s89, v12, 47
	s_or_b64 exec, exec, s[88:89]
	s_and_b64 vcc, vcc, exec
.LBB34_71:                              ;   in Loop: Header=BB34_5 Depth=1
	v_readlane_b32 s86, v12, 44
	v_readlane_b32 s87, v12, 45
	s_or_b64 exec, exec, s[86:87]
	s_and_b64 vcc, vcc, exec
.LBB34_72:                              ;   in Loop: Header=BB34_5 Depth=1
	v_readlane_b32 s88, v12, 42
	v_readlane_b32 s89, v12, 43
	s_or_b64 exec, exec, s[88:89]
	s_and_b64 vcc, vcc, exec
.LBB34_73:                              ;   in Loop: Header=BB34_5 Depth=1
	v_readlane_b32 s86, v12, 40
	v_readlane_b32 s87, v12, 41
	s_or_b64 exec, exec, s[86:87]
	s_and_b64 vcc, vcc, exec
.LBB34_74:                              ;   in Loop: Header=BB34_5 Depth=1
	v_readlane_b32 s88, v12, 38
	v_readlane_b32 s89, v12, 39
	s_or_b64 exec, exec, s[88:89]
	s_and_b64 vcc, vcc, exec
.LBB34_75:                              ;   in Loop: Header=BB34_5 Depth=1
	v_readlane_b32 s86, v12, 36
	v_readlane_b32 s87, v12, 37
	s_or_b64 exec, exec, s[86:87]
	s_and_b64 vcc, vcc, exec
.LBB34_76:                              ;   in Loop: Header=BB34_5 Depth=1
	v_readlane_b32 s88, v12, 34
	v_readlane_b32 s89, v12, 35
	s_or_b64 exec, exec, s[88:89]
	s_and_b64 vcc, vcc, exec
.LBB34_77:                              ;   in Loop: Header=BB34_5 Depth=1
	v_readlane_b32 s86, v12, 32
	v_readlane_b32 s87, v12, 33
	s_or_b64 exec, exec, s[86:87]
	s_and_b64 vcc, vcc, exec
.LBB34_78:                              ;   in Loop: Header=BB34_5 Depth=1
	v_readlane_b32 s88, v12, 30
	v_readlane_b32 s89, v12, 31
	s_or_b64 exec, exec, s[88:89]
	s_and_b64 vcc, vcc, exec
.LBB34_79:                              ;   in Loop: Header=BB34_5 Depth=1
	v_readlane_b32 s86, v12, 28
	v_readlane_b32 s87, v12, 29
	s_or_b64 exec, exec, s[86:87]
	s_and_b64 vcc, vcc, exec
.LBB34_80:                              ;   in Loop: Header=BB34_5 Depth=1
	v_readlane_b32 s88, v12, 26
	v_readlane_b32 s89, v12, 27
	s_or_b64 exec, exec, s[88:89]
	s_and_b64 vcc, vcc, exec
.LBB34_81:                              ;   in Loop: Header=BB34_5 Depth=1
	v_readlane_b32 s86, v12, 24
	v_readlane_b32 s87, v12, 25
	s_or_b64 exec, exec, s[86:87]
	s_and_b64 vcc, vcc, exec
.LBB34_82:                              ;   in Loop: Header=BB34_5 Depth=1
	v_readlane_b32 s88, v12, 22
	v_readlane_b32 s89, v12, 23
	s_or_b64 exec, exec, s[88:89]
	s_and_b64 vcc, vcc, exec
.LBB34_83:                              ;   in Loop: Header=BB34_5 Depth=1
	v_readlane_b32 s86, v12, 20
	v_readlane_b32 s87, v12, 21
	s_or_b64 exec, exec, s[86:87]
	s_and_b64 vcc, vcc, exec
.LBB34_84:                              ;   in Loop: Header=BB34_5 Depth=1
	v_readlane_b32 s88, v12, 18
	v_readlane_b32 s89, v12, 19
	s_or_b64 exec, exec, s[88:89]
	s_and_b64 vcc, vcc, exec
.LBB34_85:                              ;   in Loop: Header=BB34_5 Depth=1
	v_readlane_b32 s86, v12, 16
	v_readlane_b32 s87, v12, 17
	s_or_b64 exec, exec, s[86:87]
	s_and_b64 vcc, vcc, exec
.LBB34_86:                              ;   in Loop: Header=BB34_5 Depth=1
	v_readlane_b32 s88, v12, 14
	v_readlane_b32 s89, v12, 15
	s_or_b64 exec, exec, s[88:89]
	s_and_b64 vcc, vcc, exec
.LBB34_87:                              ;   in Loop: Header=BB34_5 Depth=1
	v_readlane_b32 s86, v12, 12
	v_readlane_b32 s87, v12, 13
	s_or_b64 exec, exec, s[86:87]
	s_and_b64 vcc, vcc, exec
.LBB34_88:                              ;   in Loop: Header=BB34_5 Depth=1
	v_readlane_b32 s88, v12, 10
	v_readlane_b32 s89, v12, 11
	s_or_b64 exec, exec, s[88:89]
	s_and_b64 vcc, vcc, exec
.LBB34_89:                              ;   in Loop: Header=BB34_5 Depth=1
	v_readlane_b32 s86, v12, 8
	v_readlane_b32 s87, v12, 9
	s_or_b64 exec, exec, s[86:87]
	s_and_b64 vcc, vcc, exec
.LBB34_90:                              ;   in Loop: Header=BB34_5 Depth=1
	v_readlane_b32 s88, v12, 6
	v_readlane_b32 s89, v12, 7
	s_or_b64 exec, exec, s[88:89]
	s_and_b64 vcc, vcc, exec
.LBB34_91:                              ;   in Loop: Header=BB34_5 Depth=1
	v_readlane_b32 s86, v12, 4
	v_readlane_b32 s87, v12, 5
	s_or_b64 exec, exec, s[86:87]
	s_and_b64 vcc, vcc, exec
.LBB34_92:                              ;   in Loop: Header=BB34_5 Depth=1
	v_readlane_b32 s88, v12, 2
	v_readlane_b32 s89, v12, 3
	s_or_b64 exec, exec, s[88:89]
	s_and_b64 s[88:89], vcc, exec
.LBB34_93:                              ;   in Loop: Header=BB34_5 Depth=1
	v_readlane_b32 s86, v12, 0
	v_readlane_b32 s87, v12, 1
	s_or_b64 exec, exec, s[86:87]
	s_and_b64 s[86:87], s[88:89], exec
.LBB34_94:                              ;   in Loop: Header=BB34_5 Depth=1
	s_or_b64 exec, exec, s[84:85]
	s_and_b64 s[84:85], s[86:87], exec
.LBB34_95:                              ;   in Loop: Header=BB34_5 Depth=1
	s_or_b64 exec, exec, s[82:83]
	s_and_b64 s[82:83], s[84:85], exec
.LBB34_96:                              ;   in Loop: Header=BB34_5 Depth=1
	s_or_b64 exec, exec, s[80:81]
	s_and_b64 s[80:81], s[82:83], exec
.LBB34_97:                              ;   in Loop: Header=BB34_5 Depth=1
	s_or_b64 exec, exec, s[78:79]
	s_and_b64 s[78:79], s[80:81], exec
.LBB34_98:                              ;   in Loop: Header=BB34_5 Depth=1
	s_or_b64 exec, exec, s[76:77]
	s_and_b64 s[76:77], s[78:79], exec
.LBB34_99:                              ;   in Loop: Header=BB34_5 Depth=1
	s_or_b64 exec, exec, s[74:75]
	s_and_b64 s[74:75], s[76:77], exec
.LBB34_100:                             ;   in Loop: Header=BB34_5 Depth=1
	s_or_b64 exec, exec, s[72:73]
	s_and_b64 s[72:73], s[74:75], exec
.LBB34_101:                             ;   in Loop: Header=BB34_5 Depth=1
	s_or_b64 exec, exec, s[70:71]
	s_and_b64 s[70:71], s[72:73], exec
.LBB34_102:                             ;   in Loop: Header=BB34_5 Depth=1
	s_or_b64 exec, exec, s[68:69]
	s_and_b64 s[68:69], s[70:71], exec
.LBB34_103:                             ;   in Loop: Header=BB34_5 Depth=1
	s_or_b64 exec, exec, s[66:67]
	s_and_b64 s[66:67], s[68:69], exec
.LBB34_104:                             ;   in Loop: Header=BB34_5 Depth=1
	s_or_b64 exec, exec, s[64:65]
	s_and_b64 s[64:65], s[66:67], exec
.LBB34_105:                             ;   in Loop: Header=BB34_5 Depth=1
	s_or_b64 exec, exec, s[62:63]
	s_and_b64 s[62:63], s[64:65], exec
.LBB34_106:                             ;   in Loop: Header=BB34_5 Depth=1
	s_or_b64 exec, exec, s[60:61]
	s_and_b64 s[60:61], s[62:63], exec
.LBB34_107:                             ;   in Loop: Header=BB34_5 Depth=1
	s_or_b64 exec, exec, s[58:59]
	s_and_b64 s[58:59], s[60:61], exec
.LBB34_108:                             ;   in Loop: Header=BB34_5 Depth=1
	s_or_b64 exec, exec, s[56:57]
	s_and_b64 s[56:57], s[58:59], exec
.LBB34_109:                             ;   in Loop: Header=BB34_5 Depth=1
	s_or_b64 exec, exec, s[54:55]
	s_and_b64 s[54:55], s[56:57], exec
.LBB34_110:                             ;   in Loop: Header=BB34_5 Depth=1
	s_or_b64 exec, exec, s[52:53]
	s_and_b64 s[52:53], s[54:55], exec
.LBB34_111:                             ;   in Loop: Header=BB34_5 Depth=1
	s_or_b64 exec, exec, s[50:51]
	s_and_b64 s[50:51], s[52:53], exec
.LBB34_112:                             ;   in Loop: Header=BB34_5 Depth=1
	s_or_b64 exec, exec, s[48:49]
	s_and_b64 s[48:49], s[50:51], exec
.LBB34_113:                             ;   in Loop: Header=BB34_5 Depth=1
	s_or_b64 exec, exec, s[46:47]
	s_and_b64 s[46:47], s[48:49], exec
.LBB34_114:                             ;   in Loop: Header=BB34_5 Depth=1
	s_or_b64 exec, exec, s[44:45]
	s_and_b64 s[44:45], s[46:47], exec
.LBB34_115:                             ;   in Loop: Header=BB34_5 Depth=1
	s_or_b64 exec, exec, s[42:43]
	s_and_b64 s[42:43], s[44:45], exec
.LBB34_116:                             ;   in Loop: Header=BB34_5 Depth=1
	s_or_b64 exec, exec, s[40:41]
	s_and_b64 s[40:41], s[42:43], exec
.LBB34_117:                             ;   in Loop: Header=BB34_5 Depth=1
	s_or_b64 exec, exec, s[38:39]
	s_and_b64 s[38:39], s[40:41], exec
.LBB34_118:                             ;   in Loop: Header=BB34_5 Depth=1
	s_or_b64 exec, exec, s[36:37]
	s_and_b64 s[36:37], s[38:39], exec
.LBB34_119:                             ;   in Loop: Header=BB34_5 Depth=1
	s_or_b64 exec, exec, s[34:35]
	s_and_b64 s[34:35], s[36:37], exec
.LBB34_120:                             ;   in Loop: Header=BB34_5 Depth=1
	s_or_b64 exec, exec, s[30:31]
	s_and_b64 s[30:31], s[34:35], exec
.LBB34_121:                             ;   in Loop: Header=BB34_5 Depth=1
	s_or_b64 exec, exec, s[28:29]
	s_and_b64 s[28:29], s[30:31], exec
.LBB34_122:                             ;   in Loop: Header=BB34_5 Depth=1
	s_or_b64 exec, exec, s[26:27]
	s_and_b64 s[26:27], s[28:29], exec
.LBB34_123:                             ;   in Loop: Header=BB34_5 Depth=1
	s_or_b64 exec, exec, s[24:25]
	s_and_b64 s[24:25], s[26:27], exec
.LBB34_124:                             ;   in Loop: Header=BB34_5 Depth=1
	s_or_b64 exec, exec, s[22:23]
	s_and_b64 s[22:23], s[24:25], exec
.LBB34_125:                             ;   in Loop: Header=BB34_5 Depth=1
	s_or_b64 exec, exec, s[20:21]
	s_and_b64 s[20:21], s[22:23], exec
.LBB34_126:                             ;   in Loop: Header=BB34_5 Depth=1
	s_or_b64 exec, exec, s[18:19]
	s_and_b64 s[18:19], s[20:21], exec
.LBB34_127:                             ;   in Loop: Header=BB34_5 Depth=1
	s_or_b64 exec, exec, s[16:17]
	s_and_b64 s[16:17], s[18:19], exec
.LBB34_128:                             ;   in Loop: Header=BB34_5 Depth=1
	s_or_b64 exec, exec, s[14:15]
	s_and_b64 s[14:15], s[16:17], exec
.LBB34_129:                             ;   in Loop: Header=BB34_5 Depth=1
	s_or_b64 exec, exec, s[8:9]
	s_and_b64 s[8:9], s[14:15], exec
.LBB34_130:                             ;   in Loop: Header=BB34_5 Depth=1
	s_or_b64 exec, exec, s[2:3]
	v_and_b32_e32 v2, 0x60, v7
	v_add_u32_e32 v9, 32, v2
	v_xor_b32_e32 v2, 16, v7
	v_cmp_lt_i32_e32 vcc, v2, v9
	v_cndmask_b32_e32 v2, v7, v2, vcc
	v_cndmask_b32_e64 v4, 0, 1, s[8:9]
	v_lshlrev_b32_e32 v2, 2, v2
	ds_bpermute_b32 v4, v2, v4
	v_xor_b32_e32 v11, 1, v7
	s_waitcnt lgkmcnt(0)
	v_cmp_ne_u32_e32 vcc, 0, v4
	v_xor_b32_e32 v4, 8, v7
	s_and_b64 s[2:3], s[8:9], vcc
	v_cmp_lt_i32_e32 vcc, v4, v9
	v_cndmask_b32_e32 v4, v7, v4, vcc
	v_cndmask_b32_e64 v5, 0, 1, s[2:3]
	v_lshlrev_b32_e32 v4, 2, v4
	ds_bpermute_b32 v5, v4, v5
	s_waitcnt lgkmcnt(0)
	v_cmp_ne_u32_e32 vcc, 0, v5
	v_xor_b32_e32 v5, 4, v7
	s_and_b64 s[2:3], vcc, s[2:3]
	v_cmp_lt_i32_e32 vcc, v5, v9
	v_cndmask_b32_e32 v5, v7, v5, vcc
	v_cndmask_b32_e64 v8, 0, 1, s[2:3]
	v_lshlrev_b32_e32 v5, 2, v5
	ds_bpermute_b32 v8, v5, v8
	s_waitcnt lgkmcnt(0)
	v_cmp_ne_u32_e32 vcc, 0, v8
	v_xor_b32_e32 v8, 2, v7
	s_and_b64 s[2:3], vcc, s[2:3]
	v_cmp_lt_i32_e32 vcc, v8, v9
	v_cndmask_b32_e32 v8, v7, v8, vcc
	v_cndmask_b32_e64 v10, 0, 1, s[2:3]
	v_lshlrev_b32_e32 v8, 2, v8
	ds_bpermute_b32 v10, v8, v10
	s_waitcnt lgkmcnt(0)
	v_cmp_ne_u32_e32 vcc, 0, v10
	s_and_b64 s[2:3], vcc, s[2:3]
	v_cmp_lt_i32_e32 vcc, v11, v9
	v_cndmask_b32_e32 v9, v7, v11, vcc
	v_cndmask_b32_e64 v10, 0, 1, s[2:3]
	v_lshlrev_b32_e32 v9, 2, v9
	ds_bpermute_b32 v10, v9, v10
	s_and_saveexec_b64 s[8:9], s[0:1]
	s_cbranch_execz .LBB34_3
; %bb.131:                              ;   in Loop: Header=BB34_5 Depth=1
	s_waitcnt lgkmcnt(0)
	v_cmp_ne_u32_e32 vcc, 0, v10
	s_and_b64 s[2:3], vcc, s[2:3]
	v_cndmask_b32_e64 v10, 0, 1, s[2:3]
	ds_write_b32 v1, v10
	s_branch .LBB34_3
.LBB34_132:
	s_or_b64 exec, exec, s[4:5]
	v_cmp_eq_u32_e32 vcc, 0, v0
	s_and_saveexec_b64 s[0:1], vcc
	s_cbranch_execz .LBB34_134
; %bb.133:
	s_mul_i32 s0, s33, s7
	s_add_i32 s0, s0, s6
	s_ashr_i32 s1, s0, 31
	s_lshl_b64 s[0:1], s[0:1], 2
	s_add_u32 s0, s10, s0
	s_addc_u32 s1, s11, s1
	v_mov_b32_e32 v0, 0
	global_store_dword v0, v2, s[0:1]
.LBB34_134:
	s_endpgm
	.section	.rodata,"a",@progbits
	.p2align	6, 0x0
	.amdhsa_kernel _ZL25flash_attn_mask_to_KV_maxILi32EEvPK7__half2Piiii
		.amdhsa_group_segment_fixed_size 128
		.amdhsa_private_segment_fixed_size 0
		.amdhsa_kernarg_size 288
		.amdhsa_user_sgpr_count 6
		.amdhsa_user_sgpr_private_segment_buffer 1
		.amdhsa_user_sgpr_dispatch_ptr 0
		.amdhsa_user_sgpr_queue_ptr 0
		.amdhsa_user_sgpr_kernarg_segment_ptr 1
		.amdhsa_user_sgpr_dispatch_id 0
		.amdhsa_user_sgpr_flat_scratch_init 0
		.amdhsa_user_sgpr_kernarg_preload_length 0
		.amdhsa_user_sgpr_kernarg_preload_offset 0
		.amdhsa_user_sgpr_private_segment_size 0
		.amdhsa_uses_dynamic_stack 0
		.amdhsa_system_sgpr_private_segment_wavefront_offset 0
		.amdhsa_system_sgpr_workgroup_id_x 1
		.amdhsa_system_sgpr_workgroup_id_y 1
		.amdhsa_system_sgpr_workgroup_id_z 0
		.amdhsa_system_sgpr_workgroup_info 0
		.amdhsa_system_vgpr_workitem_id 0
		.amdhsa_next_free_vgpr 13
		.amdhsa_next_free_sgpr 96
		.amdhsa_accum_offset 16
		.amdhsa_reserve_vcc 1
		.amdhsa_reserve_flat_scratch 0
		.amdhsa_float_round_mode_32 0
		.amdhsa_float_round_mode_16_64 0
		.amdhsa_float_denorm_mode_32 3
		.amdhsa_float_denorm_mode_16_64 3
		.amdhsa_dx10_clamp 1
		.amdhsa_ieee_mode 1
		.amdhsa_fp16_overflow 0
		.amdhsa_tg_split 0
		.amdhsa_exception_fp_ieee_invalid_op 0
		.amdhsa_exception_fp_denorm_src 0
		.amdhsa_exception_fp_ieee_div_zero 0
		.amdhsa_exception_fp_ieee_overflow 0
		.amdhsa_exception_fp_ieee_underflow 0
		.amdhsa_exception_fp_ieee_inexact 0
		.amdhsa_exception_int_div_zero 0
	.end_amdhsa_kernel
	.section	.text._ZL25flash_attn_mask_to_KV_maxILi32EEvPK7__half2Piiii,"axG",@progbits,_ZL25flash_attn_mask_to_KV_maxILi32EEvPK7__half2Piiii,comdat
.Lfunc_end34:
	.size	_ZL25flash_attn_mask_to_KV_maxILi32EEvPK7__half2Piiii, .Lfunc_end34-_ZL25flash_attn_mask_to_KV_maxILi32EEvPK7__half2Piiii
                                        ; -- End function
	.section	.AMDGPU.csdata,"",@progbits
; Kernel info:
; codeLenInByte = 4692
; NumSgprs: 100
; NumVgprs: 13
; NumAgprs: 0
; TotalNumVgprs: 13
; ScratchSize: 0
; MemoryBound: 0
; FloatMode: 240
; IeeeMode: 1
; LDSByteSize: 128 bytes/workgroup (compile time only)
; SGPRBlocks: 12
; VGPRBlocks: 1
; NumSGPRsForWavesPerEU: 100
; NumVGPRsForWavesPerEU: 13
; AccumOffset: 16
; Occupancy: 8
; WaveLimiterHint : 0
; COMPUTE_PGM_RSRC2:SCRATCH_EN: 0
; COMPUTE_PGM_RSRC2:USER_SGPR: 6
; COMPUTE_PGM_RSRC2:TRAP_HANDLER: 0
; COMPUTE_PGM_RSRC2:TGID_X_EN: 1
; COMPUTE_PGM_RSRC2:TGID_Y_EN: 1
; COMPUTE_PGM_RSRC2:TGID_Z_EN: 0
; COMPUTE_PGM_RSRC2:TIDIG_COMP_CNT: 0
; COMPUTE_PGM_RSRC3_GFX90A:ACCUM_OFFSET: 3
; COMPUTE_PGM_RSRC3_GFX90A:TG_SPLIT: 0
	.section	.text._ZL33flash_attn_stream_k_fixup_uniformILi128ELi32ELi2EEvPfPK15HIP_vector_typeIfLj2EEiiiiiiS1_IjLj3EES5_S5_,"axG",@progbits,_ZL33flash_attn_stream_k_fixup_uniformILi128ELi32ELi2EEvPfPK15HIP_vector_typeIfLj2EEiiiiiiS1_IjLj3EES5_S5_,comdat
	.globl	_ZL33flash_attn_stream_k_fixup_uniformILi128ELi32ELi2EEvPfPK15HIP_vector_typeIfLj2EEiiiiiiS1_IjLj3EES5_S5_ ; -- Begin function _ZL33flash_attn_stream_k_fixup_uniformILi128ELi32ELi2EEvPfPK15HIP_vector_typeIfLj2EEiiiiiiS1_IjLj3EES5_S5_
	.p2align	8
	.type	_ZL33flash_attn_stream_k_fixup_uniformILi128ELi32ELi2EEvPfPK15HIP_vector_typeIfLj2EEiiiiiiS1_IjLj3EES5_S5_,@function
_ZL33flash_attn_stream_k_fixup_uniformILi128ELi32ELi2EEvPfPK15HIP_vector_typeIfLj2EEiiiiiiS1_IjLj3EES5_S5_: ; @_ZL33flash_attn_stream_k_fixup_uniformILi128ELi32ELi2EEvPfPK15HIP_vector_typeIfLj2EEiiiiiiS1_IjLj3EES5_S5_
; %bb.0:
	s_load_dwordx8 s[12:19], s[4:5], 0x1c
	s_load_dwordx2 s[10:11], s[4:5], 0x10
	s_load_dwordx4 s[0:3], s[4:5], 0x3c
	s_waitcnt lgkmcnt(0)
	s_mul_hi_u32 s9, s15, s6
	s_add_i32 s9, s6, s9
	s_lshr_b32 s9, s9, s16
	s_mul_i32 s15, s9, s17
	s_sub_i32 s15, s6, s15
	s_mul_hi_u32 s16, s15, s18
	s_add_i32 s16, s15, s16
	s_lshr_b32 s16, s16, s19
	s_mul_i32 s0, s16, s0
	s_sub_i32 s0, s15, s0
	;; [unrolled: 5-line block ×3, first 2 shown]
	s_lshl_b32 s0, s17, 5
	s_lshl_b32 s15, s1, 1
	s_add_i32 s0, s0, s7
	s_cmp_lt_i32 s0, s10
	s_cselect_b64 s[0:1], -1, 0
	s_add_i32 s2, s15, s8
	s_cmp_lt_i32 s2, s13
	s_cselect_b64 s[2:3], -1, 0
	s_and_b64 s[0:1], s[0:1], s[2:3]
	s_andn2_b64 vcc, exec, s[0:1]
	s_cbranch_vccnz .LBB35_6
; %bb.1:
	s_load_dwordx4 s[0:3], s[4:5], 0x0
	s_mul_i32 s4, s9, s10
	s_add_i32 s4, s4, s7
	s_mul_i32 s4, s4, s11
	s_mul_i32 s16, s16, s13
	s_add_i32 s4, s4, s8
	s_add_i32 s4, s4, s16
	s_mul_i32 s5, s11, s17
	s_add_i32 s4, s4, s15
	s_lshl_b32 s5, s5, 12
	s_lshl_b32 s4, s4, 7
	s_add_i32 s5, s5, s4
	v_or_b32_e32 v2, s5, v0
	v_ashrrev_i32_e32 v3, 31, v2
	v_lshlrev_b64 v[2:3], 2, v[2:3]
	s_waitcnt lgkmcnt(0)
	v_mov_b32_e32 v1, s1
	v_add_co_u32_e32 v2, vcc, s0, v2
	v_addc_co_u32_e32 v3, vcc, v1, v3, vcc
	global_load_dword v8, v[2:3], off
	s_mul_i32 s9, s6, s14
	s_lshl_b32 s4, s7, 1
	s_add_i32 s11, s9, s14
	s_add_i32 s0, s4, s8
	s_lshl_b32 s1, s11, 6
	s_add_i32 s0, s0, s1
	s_sub_i32 s0, s0, 64
	s_ashr_i32 s1, s0, 31
	s_lshl_b64 s[0:1], s[0:1], 3
	s_add_u32 s0, s2, s0
	s_addc_u32 s1, s3, s1
	s_load_dword s5, s[0:1], 0x4
	s_add_i32 s10, s11, -2
	s_cmp_lt_i32 s10, s9
	s_cbranch_scc1 .LBB35_4
; %bb.2:
	s_lshl_b32 s16, s12, 8
	s_ashr_i32 s17, s16, 31
	s_lshl_b64 s[16:17], s[16:17], 2
	s_add_u32 s10, s2, s16
	s_addc_u32 s13, s3, s17
	s_add_i32 s6, s6, 1
	s_load_dword s0, s[0:1], 0x0
	s_mul_i32 s1, s14, s6
	s_lshl_b32 s7, s7, 8
	s_lshl_b32 s14, s8, 7
	;; [unrolled: 1-line block ×3, first 2 shown]
	s_add_i32 s7, s14, s7
	s_lshl_b32 s1, s1, 6
	s_add_i32 s7, s7, s6
	s_add_i32 s1, s8, s1
	s_lshl_b32 s6, s12, 6
	s_add_i32 s1, s1, s6
	v_or_b32_e32 v0, s7, v0
	s_add_i32 s1, s1, s4
	s_add_i32 s11, s11, -1
	v_add_u32_e32 v0, 0xffffc000, v0
	s_add_i32 s4, s1, 0xffffff80
	s_waitcnt lgkmcnt(0)
	v_mov_b32_e32 v7, s5
	v_mov_b32_e32 v6, s0
	;; [unrolled: 1-line block ×3, first 2 shown]
	s_mov_b32 s6, 0x3fb8aa3b
	s_mov_b32 s7, 0xc2ce8ed0
	;; [unrolled: 1-line block ×3, first 2 shown]
	v_mov_b32_e32 v5, 0x7f800000
	s_mov_b32 s12, 0xc1a00000
.LBB35_3:                               ; =>This Inner Loop Header: Depth=1
	v_ashrrev_i32_e32 v1, 31, v0
	v_lshlrev_b64 v[10:11], 2, v[0:1]
	v_add_co_u32_e32 v10, vcc, s10, v10
	v_addc_co_u32_e32 v11, vcc, v4, v11, vcc
	global_load_dword v1, v[10:11], off
	s_ashr_i32 s5, s4, 31
	s_lshl_b64 s[0:1], s[4:5], 3
	s_add_u32 s0, s2, s0
	s_addc_u32 s1, s3, s1
	s_load_dwordx2 s[14:15], s[0:1], 0x0
	s_waitcnt vmcnt(1)
	v_mov_b32_e32 v9, v8
	v_max_f32_e32 v8, v6, v6
	v_mov_b32_e32 v10, v7
	s_add_i32 s11, s11, -1
	s_waitcnt lgkmcnt(0)
	v_max_f32_e64 v7, s14, s14
	v_max_f32_e32 v7, v8, v7
	v_sub_f32_e32 v11, s14, v7
	v_sub_f32_e32 v8, v6, v7
	v_mul_f32_e32 v12, 0x3fb8aa3b, v11
	v_mov_b32_e32 v6, v7
	v_mul_f32_e32 v7, 0x3fb8aa3b, v8
	v_fma_f32 v15, v11, s6, -v12
	v_rndne_f32_e32 v16, v12
	v_fma_f32 v13, v8, s6, -v7
	v_rndne_f32_e32 v14, v7
	v_fmac_f32_e32 v15, 0x32a5705f, v11
	v_sub_f32_e32 v12, v12, v16
	v_fmac_f32_e32 v13, 0x32a5705f, v8
	v_sub_f32_e32 v7, v7, v14
	v_add_f32_e32 v12, v12, v15
	v_cvt_i32_f32_e32 v16, v16
	v_add_f32_e32 v7, v7, v13
	v_exp_f32_e32 v12, v12
	v_cvt_i32_f32_e32 v14, v14
	v_exp_f32_e32 v7, v7
	v_cmp_ngt_f32_e32 vcc, s7, v11
	v_ldexp_f32 v12, v12, v16
	v_cmp_ngt_f32_e64 s[0:1], s7, v8
	v_ldexp_f32 v7, v7, v14
	v_cndmask_b32_e32 v12, 0, v12, vcc
	v_cmp_nlt_f32_e32 vcc, s8, v11
	v_cndmask_b32_e64 v7, 0, v7, s[0:1]
	v_cmp_nlt_f32_e64 s[0:1], s8, v8
	v_cndmask_b32_e32 v12, v5, v12, vcc
	v_cmp_le_f32_e32 vcc, s12, v11
	v_cndmask_b32_e64 v7, v5, v7, s[0:1]
	v_cmp_le_f32_e64 s[0:1], s12, v8
	v_cndmask_b32_e32 v8, 0, v12, vcc
	s_sub_i32 s4, s4, 64
	v_cndmask_b32_e64 v11, 0, v7, s[0:1]
	v_mul_f32_e32 v7, s15, v8
	v_add_u32_e32 v0, 0xffffe000, v0
	s_cmp_le_i32 s11, s9
	v_fmac_f32_e32 v7, v10, v11
	s_waitcnt vmcnt(0)
	v_mul_f32_e32 v8, v1, v8
	v_fmac_f32_e32 v8, v9, v11
	s_cbranch_scc0 .LBB35_3
	s_branch .LBB35_5
.LBB35_4:
	s_waitcnt lgkmcnt(0)
	v_mov_b32_e32 v7, s5
.LBB35_5:
	s_waitcnt vmcnt(0)
	v_div_scale_f32 v0, s[0:1], v7, v7, v8
	v_rcp_f32_e32 v1, v0
	v_div_scale_f32 v4, vcc, v8, v7, v8
	v_fma_f32 v5, -v0, v1, 1.0
	v_fmac_f32_e32 v1, v5, v1
	v_mul_f32_e32 v5, v4, v1
	v_fma_f32 v6, -v0, v5, v4
	v_fmac_f32_e32 v5, v6, v1
	v_fma_f32 v0, -v0, v5, v4
	v_div_fmas_f32 v0, v0, v1, v5
	v_div_fixup_f32 v0, v0, v7, v8
	global_store_dword v[2:3], v0, off
.LBB35_6:
	s_endpgm
	.section	.rodata,"a",@progbits
	.p2align	6, 0x0
	.amdhsa_kernel _ZL33flash_attn_stream_k_fixup_uniformILi128ELi32ELi2EEvPfPK15HIP_vector_typeIfLj2EEiiiiiiS1_IjLj3EES5_S5_
		.amdhsa_group_segment_fixed_size 0
		.amdhsa_private_segment_fixed_size 0
		.amdhsa_kernarg_size 76
		.amdhsa_user_sgpr_count 6
		.amdhsa_user_sgpr_private_segment_buffer 1
		.amdhsa_user_sgpr_dispatch_ptr 0
		.amdhsa_user_sgpr_queue_ptr 0
		.amdhsa_user_sgpr_kernarg_segment_ptr 1
		.amdhsa_user_sgpr_dispatch_id 0
		.amdhsa_user_sgpr_flat_scratch_init 0
		.amdhsa_user_sgpr_kernarg_preload_length 0
		.amdhsa_user_sgpr_kernarg_preload_offset 0
		.amdhsa_user_sgpr_private_segment_size 0
		.amdhsa_uses_dynamic_stack 0
		.amdhsa_system_sgpr_private_segment_wavefront_offset 0
		.amdhsa_system_sgpr_workgroup_id_x 1
		.amdhsa_system_sgpr_workgroup_id_y 1
		.amdhsa_system_sgpr_workgroup_id_z 1
		.amdhsa_system_sgpr_workgroup_info 0
		.amdhsa_system_vgpr_workitem_id 0
		.amdhsa_next_free_vgpr 17
		.amdhsa_next_free_sgpr 20
		.amdhsa_accum_offset 20
		.amdhsa_reserve_vcc 1
		.amdhsa_reserve_flat_scratch 0
		.amdhsa_float_round_mode_32 0
		.amdhsa_float_round_mode_16_64 0
		.amdhsa_float_denorm_mode_32 3
		.amdhsa_float_denorm_mode_16_64 3
		.amdhsa_dx10_clamp 1
		.amdhsa_ieee_mode 1
		.amdhsa_fp16_overflow 0
		.amdhsa_tg_split 0
		.amdhsa_exception_fp_ieee_invalid_op 0
		.amdhsa_exception_fp_denorm_src 0
		.amdhsa_exception_fp_ieee_div_zero 0
		.amdhsa_exception_fp_ieee_overflow 0
		.amdhsa_exception_fp_ieee_underflow 0
		.amdhsa_exception_fp_ieee_inexact 0
		.amdhsa_exception_int_div_zero 0
	.end_amdhsa_kernel
	.section	.text._ZL33flash_attn_stream_k_fixup_uniformILi128ELi32ELi2EEvPfPK15HIP_vector_typeIfLj2EEiiiiiiS1_IjLj3EES5_S5_,"axG",@progbits,_ZL33flash_attn_stream_k_fixup_uniformILi128ELi32ELi2EEvPfPK15HIP_vector_typeIfLj2EEiiiiiiS1_IjLj3EES5_S5_,comdat
.Lfunc_end35:
	.size	_ZL33flash_attn_stream_k_fixup_uniformILi128ELi32ELi2EEvPfPK15HIP_vector_typeIfLj2EEiiiiiiS1_IjLj3EES5_S5_, .Lfunc_end35-_ZL33flash_attn_stream_k_fixup_uniformILi128ELi32ELi2EEvPfPK15HIP_vector_typeIfLj2EEiiiiiiS1_IjLj3EES5_S5_
                                        ; -- End function
	.section	.AMDGPU.csdata,"",@progbits
; Kernel info:
; codeLenInByte = 860
; NumSgprs: 24
; NumVgprs: 17
; NumAgprs: 0
; TotalNumVgprs: 17
; ScratchSize: 0
; MemoryBound: 0
; FloatMode: 240
; IeeeMode: 1
; LDSByteSize: 0 bytes/workgroup (compile time only)
; SGPRBlocks: 2
; VGPRBlocks: 2
; NumSGPRsForWavesPerEU: 24
; NumVGPRsForWavesPerEU: 17
; AccumOffset: 20
; Occupancy: 8
; WaveLimiterHint : 0
; COMPUTE_PGM_RSRC2:SCRATCH_EN: 0
; COMPUTE_PGM_RSRC2:USER_SGPR: 6
; COMPUTE_PGM_RSRC2:TRAP_HANDLER: 0
; COMPUTE_PGM_RSRC2:TGID_X_EN: 1
; COMPUTE_PGM_RSRC2:TGID_Y_EN: 1
; COMPUTE_PGM_RSRC2:TGID_Z_EN: 1
; COMPUTE_PGM_RSRC2:TIDIG_COMP_CNT: 0
; COMPUTE_PGM_RSRC3_GFX90A:ACCUM_OFFSET: 4
; COMPUTE_PGM_RSRC3_GFX90A:TG_SPLIT: 0
	.section	.text._ZL33flash_attn_stream_k_fixup_generalILi128ELi32ELi2EEvPfPK15HIP_vector_typeIfLj2EEiiiiS1_IjLj3EES5_S5_S5_,"axG",@progbits,_ZL33flash_attn_stream_k_fixup_generalILi128ELi32ELi2EEvPfPK15HIP_vector_typeIfLj2EEiiiiS1_IjLj3EES5_S5_S5_,comdat
	.globl	_ZL33flash_attn_stream_k_fixup_generalILi128ELi32ELi2EEvPfPK15HIP_vector_typeIfLj2EEiiiiS1_IjLj3EES5_S5_S5_ ; -- Begin function _ZL33flash_attn_stream_k_fixup_generalILi128ELi32ELi2EEvPfPK15HIP_vector_typeIfLj2EEiiiiS1_IjLj3EES5_S5_S5_
	.p2align	8
	.type	_ZL33flash_attn_stream_k_fixup_generalILi128ELi32ELi2EEvPfPK15HIP_vector_typeIfLj2EEiiiiS1_IjLj3EES5_S5_S5_,@function
_ZL33flash_attn_stream_k_fixup_generalILi128ELi32ELi2EEvPfPK15HIP_vector_typeIfLj2EEiiiiS1_IjLj3EES5_S5_S5_: ; @_ZL33flash_attn_stream_k_fixup_generalILi128ELi32ELi2EEvPfPK15HIP_vector_typeIfLj2EEiiiiS1_IjLj3EES5_S5_S5_
; %bb.0:
	s_load_dwordx4 s[12:15], s[4:5], 0x10
	s_load_dword s9, s[4:5], 0x50
	s_mov_b32 s2, 0
	s_waitcnt lgkmcnt(0)
	s_mul_hi_i32 s3, s15, s6
	s_cmp_lg_u64 s[2:3], 0
	s_mul_i32 s2, s15, s6
	s_cbranch_scc0 .LBB36_21
; %bb.1:
	v_cvt_f32_u32_e32 v1, s9
	v_cvt_f32_ubyte0_e32 v2, 0
	s_sub_u32 s10, 0, s9
	s_subb_u32 s11, 0, 0
	v_madmk_f32 v1, v2, 0x4f800000, v1
	v_rcp_f32_e32 v1, v1
	v_mul_f32_e32 v1, 0x5f7ffffc, v1
	v_mul_f32_e32 v2, 0x2f800000, v1
	v_trunc_f32_e32 v2, v2
	v_madmk_f32 v1, v2, 0xcf800000, v1
	v_cvt_u32_f32_e32 v2, v2
	v_cvt_u32_f32_e32 v1, v1
	v_readfirstlane_b32 s16, v2
	v_readfirstlane_b32 s17, v1
	s_mul_i32 s18, s10, s16
	s_mul_hi_u32 s20, s10, s17
	s_mul_i32 s19, s11, s17
	s_add_i32 s18, s20, s18
	s_add_i32 s18, s18, s19
	s_mul_i32 s21, s10, s17
	s_mul_hi_u32 s19, s17, s18
	s_mul_i32 s20, s17, s18
	s_mul_hi_u32 s17, s17, s21
	s_add_u32 s17, s17, s20
	s_addc_u32 s19, 0, s19
	s_mul_hi_u32 s22, s16, s21
	s_mul_i32 s21, s16, s21
	s_add_u32 s17, s17, s21
	s_mul_hi_u32 s20, s16, s18
	s_addc_u32 s17, s19, s22
	s_addc_u32 s19, s20, 0
	s_mul_i32 s18, s16, s18
	s_add_u32 s17, s17, s18
	s_addc_u32 s18, 0, s19
	v_add_co_u32_e32 v1, vcc, s17, v1
	s_cmp_lg_u64 vcc, 0
	s_addc_u32 s16, s16, s18
	v_readfirstlane_b32 s18, v1
	s_mul_i32 s17, s10, s16
	s_mul_hi_u32 s19, s10, s18
	s_add_i32 s17, s19, s17
	s_mul_i32 s11, s11, s18
	s_add_i32 s17, s17, s11
	s_mul_i32 s10, s10, s18
	s_mul_hi_u32 s19, s16, s10
	s_mul_i32 s20, s16, s10
	s_mul_i32 s22, s18, s17
	s_mul_hi_u32 s10, s18, s10
	s_mul_hi_u32 s21, s18, s17
	s_add_u32 s10, s10, s22
	s_addc_u32 s18, 0, s21
	s_add_u32 s10, s10, s20
	s_mul_hi_u32 s11, s16, s17
	s_addc_u32 s10, s18, s19
	s_addc_u32 s11, s11, 0
	s_mul_i32 s17, s16, s17
	s_add_u32 s10, s10, s17
	s_addc_u32 s11, 0, s11
	v_add_co_u32_e32 v1, vcc, s10, v1
	s_cmp_lg_u64 vcc, 0
	s_addc_u32 s18, s16, s11
	s_ashr_i32 s10, s3, 31
	s_add_u32 s16, s2, s10
	s_mov_b32 s11, s10
	s_addc_u32 s17, s3, s10
	s_xor_b64 s[16:17], s[16:17], s[10:11]
	v_readfirstlane_b32 s20, v1
	s_mul_i32 s19, s16, s18
	s_mul_hi_u32 s21, s16, s20
	s_mul_hi_u32 s3, s16, s18
	s_add_u32 s19, s21, s19
	s_addc_u32 s3, 0, s3
	s_mul_hi_u32 s22, s17, s20
	s_mul_i32 s20, s17, s20
	s_add_u32 s19, s19, s20
	s_mul_hi_u32 s21, s17, s18
	s_addc_u32 s3, s3, s22
	s_addc_u32 s19, s21, 0
	s_mul_i32 s18, s17, s18
	s_add_u32 s3, s3, s18
	s_addc_u32 s18, 0, s19
	s_add_u32 s19, s3, 1
	s_addc_u32 s20, s18, 0
	s_add_u32 s21, s3, 2
	s_mul_i32 s23, s9, s18
	s_mul_hi_u32 s24, s9, s3
	s_addc_u32 s22, s18, 0
	s_add_i32 s24, s24, s23
	s_mul_i32 s23, s9, s3
	v_mov_b32_e32 v1, s23
	v_sub_co_u32_e32 v1, vcc, s16, v1
	s_cmp_lg_u64 vcc, 0
	s_subb_u32 s16, s17, s24
	v_subrev_co_u32_e32 v2, vcc, s9, v1
	s_cmp_lg_u64 vcc, 0
	s_subb_u32 s17, s16, 0
	v_readfirstlane_b32 s23, v2
	s_cmp_ge_u32 s23, s9
	s_cselect_b32 s23, -1, 0
	s_cmp_eq_u32 s17, 0
	s_cselect_b32 s17, s23, -1
	s_cmp_lg_u32 s17, 0
	s_cselect_b32 s17, s22, s20
	v_readfirstlane_b32 s20, v1
	s_cselect_b32 s19, s21, s19
	s_cmp_ge_u32 s20, s9
	s_cselect_b32 s20, -1, 0
	s_cmp_eq_u32 s16, 0
	s_cselect_b32 s16, s20, -1
	s_cmp_lg_u32 s16, 0
	s_cselect_b32 s17, s17, s18
	s_cselect_b32 s16, s19, s3
	s_xor_b64 s[16:17], s[16:17], s[10:11]
	s_sub_u32 s20, s16, s10
	s_load_dwordx4 s[16:19], s[4:5], 0x44
	s_cbranch_execnz .LBB36_3
.LBB36_2:
	v_cvt_f32_u32_e32 v1, s9
	s_sub_i32 s0, 0, s9
	v_rcp_iflag_f32_e32 v1, v1
	v_mul_f32_e32 v1, 0x4f7ffffe, v1
	v_cvt_u32_f32_e32 v1, v1
	v_readfirstlane_b32 s1, v1
	s_mul_i32 s0, s0, s1
	s_mul_hi_u32 s0, s1, s0
	s_add_i32 s1, s1, s0
	s_mul_hi_u32 s0, s2, s1
	s_mul_i32 s3, s0, s9
	s_sub_i32 s2, s2, s3
	s_add_i32 s1, s0, 1
	s_sub_i32 s3, s2, s9
	s_cmp_ge_u32 s2, s9
	s_cselect_b32 s0, s1, s0
	s_cselect_b32 s2, s3, s2
	s_add_i32 s1, s0, 1
	s_cmp_ge_u32 s2, s9
	s_cselect_b32 s20, s1, s0
.LBB36_3:
	s_add_i32 s0, s6, 1
	s_mul_hi_i32 s3, s15, s0
	s_mov_b32 s2, 0
	s_cmp_lg_u64 s[2:3], 0
	s_mul_i32 s2, s15, s0
	s_cbranch_scc0 .LBB36_22
; %bb.4:
	v_cvt_f32_u32_e32 v1, s9
	v_cvt_f32_ubyte0_e32 v2, 0
	s_sub_u32 s10, 0, s9
	s_subb_u32 s11, 0, 0
	v_madmk_f32 v1, v2, 0x4f800000, v1
	v_rcp_f32_e32 v1, v1
	v_mul_f32_e32 v1, 0x5f7ffffc, v1
	v_mul_f32_e32 v2, 0x2f800000, v1
	v_trunc_f32_e32 v2, v2
	v_madmk_f32 v1, v2, 0xcf800000, v1
	v_cvt_u32_f32_e32 v2, v2
	v_cvt_u32_f32_e32 v1, v1
	s_waitcnt lgkmcnt(0)
	v_readfirstlane_b32 s19, v2
	v_readfirstlane_b32 s21, v1
	s_mul_i32 s22, s10, s19
	s_mul_hi_u32 s24, s10, s21
	s_mul_i32 s23, s11, s21
	s_add_i32 s22, s24, s22
	s_add_i32 s22, s22, s23
	s_mul_i32 s25, s10, s21
	s_mul_hi_u32 s23, s21, s22
	s_mul_i32 s24, s21, s22
	s_mul_hi_u32 s21, s21, s25
	s_add_u32 s21, s21, s24
	s_addc_u32 s23, 0, s23
	s_mul_hi_u32 s26, s19, s25
	s_mul_i32 s25, s19, s25
	s_add_u32 s21, s21, s25
	s_mul_hi_u32 s24, s19, s22
	s_addc_u32 s21, s23, s26
	s_addc_u32 s23, s24, 0
	s_mul_i32 s22, s19, s22
	s_add_u32 s21, s21, s22
	s_addc_u32 s22, 0, s23
	v_add_co_u32_e32 v1, vcc, s21, v1
	s_cmp_lg_u64 vcc, 0
	s_addc_u32 s19, s19, s22
	v_readfirstlane_b32 s22, v1
	s_mul_i32 s21, s10, s19
	s_mul_hi_u32 s23, s10, s22
	s_add_i32 s21, s23, s21
	s_mul_i32 s11, s11, s22
	s_add_i32 s21, s21, s11
	s_mul_i32 s10, s10, s22
	s_mul_hi_u32 s23, s19, s10
	s_mul_i32 s24, s19, s10
	s_mul_i32 s26, s22, s21
	s_mul_hi_u32 s10, s22, s10
	s_mul_hi_u32 s25, s22, s21
	s_add_u32 s10, s10, s26
	s_addc_u32 s22, 0, s25
	s_add_u32 s10, s10, s24
	s_mul_hi_u32 s11, s19, s21
	s_addc_u32 s10, s22, s23
	s_addc_u32 s11, s11, 0
	s_mul_i32 s21, s19, s21
	s_add_u32 s10, s10, s21
	s_addc_u32 s11, 0, s11
	v_add_co_u32_e32 v1, vcc, s10, v1
	s_cmp_lg_u64 vcc, 0
	s_addc_u32 s19, s19, s11
	s_ashr_i32 s10, s3, 31
	s_add_u32 s22, s2, s10
	s_mov_b32 s11, s10
	s_addc_u32 s23, s3, s10
	s_xor_b64 s[22:23], s[22:23], s[10:11]
	v_readfirstlane_b32 s21, v1
	s_mul_i32 s11, s22, s19
	s_mul_hi_u32 s24, s22, s21
	s_mul_hi_u32 s3, s22, s19
	s_add_u32 s11, s24, s11
	s_addc_u32 s3, 0, s3
	s_mul_hi_u32 s25, s23, s21
	s_mul_i32 s21, s23, s21
	s_add_u32 s11, s11, s21
	s_mul_hi_u32 s24, s23, s19
	s_addc_u32 s3, s3, s25
	s_addc_u32 s11, s24, 0
	s_mul_i32 s19, s23, s19
	s_add_u32 s3, s3, s19
	s_addc_u32 s11, 0, s11
	s_mul_i32 s11, s9, s11
	s_mul_hi_u32 s24, s9, s3
	s_add_i32 s24, s24, s11
	s_mul_i32 s11, s9, s3
	v_mov_b32_e32 v1, s11
	s_add_u32 s19, s3, 1
	s_add_u32 s21, s3, 2
	v_sub_co_u32_e32 v1, vcc, s22, v1
	s_cmp_lg_u64 vcc, 0
	s_subb_u32 s11, s23, s24
	v_subrev_co_u32_e32 v2, vcc, s9, v1
	s_cmp_lg_u64 vcc, 0
	s_subb_u32 s22, s11, 0
	v_cmp_le_u32_e32 vcc, s9, v2
	s_cmp_eq_u32 s22, 0
	v_cndmask_b32_e64 v2, 0, -1, vcc
	s_cselect_b64 vcc, -1, 0
	v_cndmask_b32_e32 v2, -1, v2, vcc
	v_mov_b32_e32 v3, s19
	v_mov_b32_e32 v4, s21
	v_cmp_ne_u32_e32 vcc, 0, v2
	v_cndmask_b32_e32 v2, v3, v4, vcc
	v_cmp_le_u32_e32 vcc, s9, v1
	s_cmp_eq_u32 s11, 0
	v_cndmask_b32_e64 v1, 0, -1, vcc
	s_cselect_b64 vcc, -1, 0
	v_cndmask_b32_e32 v1, -1, v1, vcc
	v_mov_b32_e32 v3, s3
	v_cmp_ne_u32_e32 vcc, 0, v1
	v_cndmask_b32_e32 v1, v3, v2, vcc
	v_xor_b32_e32 v1, s10, v1
	v_subrev_co_u32_e32 v2, vcc, s10, v1
	s_cbranch_execnz .LBB36_6
.LBB36_5:
	v_cvt_f32_u32_e32 v1, s9
	s_sub_i32 s0, 0, s9
	s_mov_b32 s1, 0
	v_rcp_iflag_f32_e32 v1, v1
	v_mul_f32_e32 v1, 0x4f7ffffe, v1
	v_cvt_u32_f32_e32 v1, v1
	v_readfirstlane_b32 s3, v1
	s_mul_i32 s0, s0, s3
	s_mul_hi_u32 s0, s3, s0
	s_add_i32 s3, s3, s0
	s_mul_hi_u32 s0, s2, s3
	s_mul_i32 s10, s0, s9
	s_sub_i32 s2, s2, s10
	s_add_i32 s3, s0, 1
	s_sub_i32 s10, s2, s9
	s_cmp_ge_u32 s2, s9
	s_cselect_b32 s0, s3, s0
	s_cselect_b32 s2, s10, s2
	s_add_i32 s3, s0, 1
	s_cmp_ge_u32 s2, s9
	s_cselect_b32 s0, s3, s0
	v_pk_mov_b32 v[2:3], s[0:1], s[0:1] op_sel:[0,1]
.LBB36_6:
	s_waitcnt lgkmcnt(0)
	s_mul_hi_u32 s0, s20, s16
	s_add_i32 s0, s0, s20
	v_mul_hi_u32 v1, v2, s16
	s_lshr_b32 s19, s0, s17
	v_add_u32_e32 v1, v1, v2
	s_mul_i32 s0, s19, s18
	v_lshrrev_b32_e32 v1, s17, v1
	s_cmp_eq_u32 s0, s20
	v_cmp_eq_u32_e64 s[0:1], s19, v1
	v_mul_lo_u32 v1, v1, s18
	v_cmp_eq_u32_e32 vcc, s20, v2
	s_cselect_b64 s[10:11], -1, 0
	v_cmp_ne_u32_e64 s[2:3], v1, v2
	s_and_b64 s[0:1], s[0:1], s[2:3]
	s_or_b64 s[2:3], vcc, s[10:11]
	s_or_b64 s[0:1], s[2:3], s[0:1]
	s_and_b64 vcc, exec, s[0:1]
	s_cbranch_vccnz .LBB36_24
; %bb.7:
	s_load_dwordx8 s[24:31], s[4:5], 0x20
	s_load_dword s0, s[4:5], 0x40
	s_mov_b32 s10, 0
	s_waitcnt lgkmcnt(0)
	s_mul_hi_u32 s1, s20, s24
	s_add_i32 s1, s1, s20
	s_lshr_b32 s11, s1, s25
	s_mul_i32 s1, s11, s26
	s_sub_i32 s1, s20, s1
	s_mul_hi_u32 s2, s1, s27
	s_add_i32 s2, s1, s2
	s_lshr_b32 s24, s2, s28
	s_mul_i32 s2, s24, s29
	s_sub_i32 s1, s1, s2
	;; [unrolled: 5-line block ×3, first 2 shown]
	s_mul_hi_u32 s1, s0, s16
	s_add_i32 s0, s0, s1
	s_lshr_b32 s26, s0, s17
	s_lshl_b32 s0, s26, 5
	s_lshl_b32 s25, s2, 1
	s_add_i32 s0, s0, s7
	s_cmp_lt_i32 s0, s12
	s_cselect_b64 s[0:1], -1, 0
	s_add_i32 s2, s25, s8
	s_cmp_lt_i32 s2, s14
	s_cselect_b64 s[2:3], -1, 0
	s_and_b64 s[0:1], s[0:1], s[2:3]
	s_andn2_b64 vcc, exec, s[0:1]
	s_cbranch_vccnz .LBB36_24
; %bb.8:
	s_load_dwordx4 s[0:3], s[4:5], 0x0
	s_lshl_b32 s21, s7, 1
	s_lshl_b32 s4, s9, 8
	s_mov_b32 s5, s10
	s_add_i32 s21, s21, s8
	s_lshl_b64 s[4:5], s[4:5], 2
	s_waitcnt lgkmcnt(0)
	s_add_u32 s22, s2, s4
	s_mul_i32 s4, s11, s12
	s_addc_u32 s23, s3, s5
	s_add_i32 s4, s4, s7
	s_mul_i32 s4, s4, s13
	s_mul_i32 s24, s24, s14
	s_add_i32 s4, s4, s8
	s_add_i32 s4, s4, s24
	s_mul_i32 s5, s13, s26
	s_add_i32 s4, s4, s25
	s_lshl_b32 s5, s5, 12
	s_lshl_b32 s4, s4, 7
	s_add_i32 s5, s5, s4
	v_or_b32_e32 v2, s5, v0
	v_ashrrev_i32_e32 v3, 31, v2
	v_lshlrev_b64 v[2:3], 2, v[2:3]
	v_mov_b32_e32 v1, s1
	v_add_co_u32_e32 v2, vcc, s0, v2
	v_addc_co_u32_e32 v3, vcc, v1, v3, vcc
	global_load_dword v5, v[2:3], off
	v_lshl_or_b32 v4, s21, 7, v0
	v_cvt_f32_u32_e32 v0, s9
	v_cvt_f32_ubyte0_e32 v1, 0
	s_lshl_b32 s0, s6, 6
	s_add_i32 s0, s21, s0
	v_mac_f32_e32 v0, 0x4f800000, v1
	v_rcp_f32_e32 v0, v0
	v_cvt_f32_u32_e32 v1, s9
	s_ashr_i32 s1, s0, 31
	s_lshl_b64 s[0:1], s[0:1], 3
	v_mul_f32_e32 v0, 0x5f7ffffc, v0
	v_rcp_iflag_f32_e32 v1, v1
	s_add_u32 s0, s2, s0
	v_mul_f32_e32 v9, 0x2f800000, v0
	s_addc_u32 s1, s3, s1
	v_trunc_f32_e32 v10, v9
	s_load_dwordx2 s[0:1], s[0:1], 0x0
	v_mac_f32_e32 v0, 0xcf800000, v10
	v_cvt_u32_f32_e32 v9, v0
	v_mul_f32_e32 v0, 0x4f7ffffe, v1
	v_cvt_u32_f32_e32 v10, v10
	v_cvt_u32_f32_e32 v11, v0
	s_add_i32 s8, s6, -1
	s_waitcnt lgkmcnt(0)
	v_mov_b32_e32 v6, s1
	v_mov_b32_e32 v7, s0
	;; [unrolled: 1-line block ×3, first 2 shown]
	s_mov_b32 s6, 0x3fb8aa3b
	s_mov_b32 s7, 0xc2ce8ed0
	;; [unrolled: 1-line block ×4, first 2 shown]
	v_mov_b32_e32 v12, 0x7f800000
	s_mul_hi_i32 s11, s8, s15
	s_cmp_lg_u64 s[10:11], 0
	s_mul_i32 s4, s8, s15
	s_cbranch_scc0 .LBB36_15
.LBB36_9:
	s_sub_u32 s0, 0, s9
	v_readfirstlane_b32 s5, v9
	v_readfirstlane_b32 s24, v10
	s_subb_u32 s1, 0, 0
	s_mul_hi_u32 s20, s0, s5
	s_mul_i32 s25, s0, s24
	s_mul_i32 s14, s1, s5
	s_add_i32 s20, s20, s25
	s_add_i32 s20, s20, s14
	s_mul_i32 s26, s0, s5
	s_mul_hi_u32 s14, s5, s20
	s_mul_i32 s25, s5, s20
	s_mul_hi_u32 s5, s5, s26
	s_add_u32 s5, s5, s25
	s_addc_u32 s14, 0, s14
	s_mul_hi_u32 s27, s24, s26
	s_mul_i32 s26, s24, s26
	s_add_u32 s5, s5, s26
	s_mul_hi_u32 s25, s24, s20
	s_addc_u32 s5, s14, s27
	s_addc_u32 s14, s25, 0
	s_mul_i32 s20, s24, s20
	s_add_u32 s5, s5, s20
	s_addc_u32 s14, 0, s14
	v_add_co_u32_e32 v0, vcc, s5, v9
	s_cmp_lg_u64 vcc, 0
	s_addc_u32 s5, s24, s14
	v_readfirstlane_b32 s20, v0
	s_mul_i32 s14, s0, s5
	s_mul_hi_u32 s24, s0, s20
	s_add_i32 s14, s24, s14
	s_mul_i32 s1, s1, s20
	s_add_i32 s14, s14, s1
	s_mul_i32 s0, s0, s20
	s_mul_hi_u32 s24, s5, s0
	s_mul_i32 s25, s5, s0
	s_mul_i32 s27, s20, s14
	s_mul_hi_u32 s0, s20, s0
	s_mul_hi_u32 s26, s20, s14
	s_add_u32 s0, s0, s27
	s_addc_u32 s20, 0, s26
	s_add_u32 s0, s0, s25
	s_mul_hi_u32 s1, s5, s14
	s_addc_u32 s0, s20, s24
	s_addc_u32 s1, s1, 0
	s_mul_i32 s14, s5, s14
	s_add_u32 s0, s0, s14
	s_addc_u32 s1, 0, s1
	v_add_co_u32_e32 v0, vcc, s0, v0
	s_cmp_lg_u64 vcc, 0
	s_addc_u32 s5, s5, s1
	s_ashr_i32 s0, s11, 31
	s_add_u32 s24, s4, s0
	s_mov_b32 s1, s0
	s_addc_u32 s25, s11, s0
	s_xor_b64 s[24:25], s[24:25], s[0:1]
	v_readfirstlane_b32 s14, v0
	s_mul_i32 s11, s24, s5
	s_mul_hi_u32 s20, s24, s14
	s_mul_hi_u32 s1, s24, s5
	s_add_u32 s11, s20, s11
	s_addc_u32 s1, 0, s1
	s_mul_hi_u32 s26, s25, s14
	s_mul_i32 s14, s25, s14
	s_add_u32 s11, s11, s14
	s_mul_hi_u32 s20, s25, s5
	s_addc_u32 s1, s1, s26
	s_addc_u32 s11, s20, 0
	s_mul_i32 s5, s25, s5
	s_add_u32 s1, s1, s5
	s_addc_u32 s5, 0, s11
	s_mul_i32 s5, s9, s5
	s_mul_hi_u32 s20, s9, s1
	s_add_i32 s20, s20, s5
	s_mul_i32 s5, s9, s1
	v_mov_b32_e32 v0, s5
	s_add_u32 s11, s1, 1
	s_add_u32 s14, s1, 2
	v_sub_co_u32_e32 v0, vcc, s24, v0
	s_cmp_lg_u64 vcc, 0
	s_subb_u32 s5, s25, s20
	v_subrev_co_u32_e32 v1, vcc, s9, v0
	s_cmp_lg_u64 vcc, 0
	s_subb_u32 s20, s5, 0
	v_cmp_le_u32_e32 vcc, s9, v1
	s_cmp_eq_u32 s20, 0
	v_cndmask_b32_e64 v1, 0, -1, vcc
	s_cselect_b64 vcc, -1, 0
	v_cndmask_b32_e32 v1, -1, v1, vcc
	v_mov_b32_e32 v13, s11
	v_mov_b32_e32 v14, s14
	v_cmp_ne_u32_e32 vcc, 0, v1
	v_cndmask_b32_e32 v1, v13, v14, vcc
	v_cmp_le_u32_e32 vcc, s9, v0
	s_cmp_eq_u32 s5, 0
	v_cndmask_b32_e64 v0, 0, -1, vcc
	s_cselect_b64 vcc, -1, 0
	v_cndmask_b32_e32 v0, -1, v0, vcc
	v_mov_b32_e32 v13, s1
	v_cmp_ne_u32_e32 vcc, 0, v0
	v_cndmask_b32_e32 v0, v13, v1, vcc
	v_xor_b32_e32 v0, s0, v0
	v_subrev_co_u32_e32 v0, vcc, s0, v0
	s_cbranch_execnz .LBB36_11
.LBB36_10:
	s_sub_i32 s0, 0, s9
	v_mul_lo_u32 v0, s0, v11
	v_mul_hi_u32 v0, v11, v0
	v_add_u32_e32 v0, v11, v0
	v_mul_hi_u32 v0, s4, v0
	v_mul_lo_u32 v13, v0, s9
	v_sub_u32_e32 v13, s4, v13
	v_add_u32_e32 v1, 1, v0
	v_subrev_u32_e32 v14, s9, v13
	v_cmp_le_u32_e32 vcc, s9, v13
	v_cndmask_b32_e32 v13, v13, v14, vcc
	v_cndmask_b32_e32 v0, v0, v1, vcc
	v_add_u32_e32 v1, 1, v0
	v_cmp_le_u32_e32 vcc, s9, v13
	v_cndmask_b32_e32 v0, v0, v1, vcc
.LBB36_11:
	v_cmp_ne_u32_e32 vcc, v8, v0
	s_cbranch_vccz .LBB36_14
; %bb.12:
	s_add_i32 s0, s8, s9
	s_lshl_b32 s0, s0, 6
	v_mul_hi_u32 v1, v0, s16
	s_add_i32 s0, s0, s21
	s_mov_b32 s1, s10
	v_add_u32_e32 v1, v1, v0
	s_lshl_b64 s[0:1], s[0:1], 3
	v_lshrrev_b32_e32 v1, s17, v1
	s_add_u32 s4, s2, s0
	v_mul_lo_u32 v13, v1, s18
	s_addc_u32 s5, s3, s1
	v_cmp_eq_u32_e32 vcc, v13, v0
	v_cmp_gt_u32_e64 s[0:1], s19, v1
	s_or_b64 s[0:1], s[0:1], vcc
	s_and_b64 vcc, exec, s[0:1]
	s_cbranch_vccnz .LBB36_16
; %bb.13:
	s_add_i32 s11, s8, -1
	s_mov_b64 s[0:1], 0
	s_branch .LBB36_17
.LBB36_14:
                                        ; implicit-def: $sgpr0_sgpr1
                                        ; implicit-def: $vgpr14
                                        ; implicit-def: $vgpr1
                                        ; implicit-def: $vgpr13
                                        ; implicit-def: $sgpr11
                                        ; implicit-def: $vgpr0
	s_branch .LBB36_18
.LBB36_15:
                                        ; implicit-def: $vgpr0_vgpr1
	s_branch .LBB36_10
.LBB36_16:
	s_mov_b64 s[0:1], -1
	s_mov_b32 s11, s8
	v_mov_b32_e32 v0, v8
.LBB36_17:
	v_lshl_add_u32 v14, s8, 13, v4
	v_ashrrev_i32_e32 v15, 31, v14
	v_lshlrev_b64 v[14:15], 2, v[14:15]
	v_mov_b32_e32 v1, s23
	v_add_co_u32_e32 v14, vcc, s22, v14
	v_addc_co_u32_e32 v15, vcc, v1, v15, vcc
	global_load_dword v14, v[14:15], off
	s_load_dwordx2 s[4:5], s[4:5], 0x0
	v_max_f32_e32 v1, v7, v7
	s_waitcnt lgkmcnt(0)
	v_max_f32_e64 v13, s4, s4
	v_max_f32_e32 v1, v1, v13
	v_sub_f32_e32 v13, v7, v1
	v_sub_f32_e32 v15, s4, v1
	v_mul_f32_e32 v16, 0x3fb8aa3b, v13
	v_mul_f32_e32 v17, 0x3fb8aa3b, v15
	v_fma_f32 v18, v13, s6, -v16
	v_rndne_f32_e32 v19, v16
	v_fma_f32 v20, v15, s6, -v17
	v_rndne_f32_e32 v21, v17
	v_fmac_f32_e32 v18, 0x32a5705f, v13
	v_sub_f32_e32 v16, v16, v19
	v_fmac_f32_e32 v20, 0x32a5705f, v15
	v_sub_f32_e32 v17, v17, v21
	v_add_f32_e32 v16, v16, v18
	v_cvt_i32_f32_e32 v19, v19
	v_add_f32_e32 v17, v17, v20
	v_exp_f32_e32 v16, v16
	v_cvt_i32_f32_e32 v21, v21
	v_exp_f32_e32 v17, v17
	v_cmp_ngt_f32_e32 vcc, s7, v13
	v_ldexp_f32 v16, v16, v19
	v_cndmask_b32_e32 v16, 0, v16, vcc
	v_ldexp_f32 v17, v17, v21
	v_cmp_ngt_f32_e32 vcc, s7, v15
	v_cndmask_b32_e32 v17, 0, v17, vcc
	v_cmp_nlt_f32_e32 vcc, s12, v13
	v_cndmask_b32_e32 v16, v12, v16, vcc
	v_cmp_nlt_f32_e32 vcc, s12, v15
	v_cndmask_b32_e32 v17, v12, v17, vcc
	v_cmp_le_f32_e32 vcc, s13, v13
	v_cndmask_b32_e32 v16, 0, v16, vcc
	v_cmp_le_f32_e32 vcc, s13, v15
	v_cndmask_b32_e32 v15, 0, v17, vcc
	v_mul_f32_e32 v13, s5, v15
	v_fmac_f32_e32 v13, v6, v16
	s_waitcnt vmcnt(0)
	v_mul_f32_e32 v14, v14, v15
	v_fmac_f32_e32 v14, v5, v16
	s_cbranch_execnz .LBB36_19
.LBB36_18:
	s_add_i32 s11, s8, -1
	s_mov_b64 s[0:1], 0
	v_mov_b32_e32 v0, v8
	v_mov_b32_e32 v13, v6
	;; [unrolled: 1-line block ×3, first 2 shown]
	s_waitcnt vmcnt(0)
	v_mov_b32_e32 v14, v5
.LBB36_19:
	s_andn2_b64 vcc, exec, s[0:1]
	s_cbranch_vccz .LBB36_23
; %bb.20:
	v_mov_b32_e32 v8, v0
	s_mov_b32 s8, s11
	v_mov_b32_e32 v6, v13
	v_mov_b32_e32 v7, v1
	s_waitcnt vmcnt(0)
	v_mov_b32_e32 v5, v14
	s_mul_hi_i32 s11, s8, s15
	s_cmp_lg_u64 s[10:11], 0
	s_mul_i32 s4, s8, s15
	s_cbranch_scc1 .LBB36_9
	s_branch .LBB36_15
.LBB36_21:
                                        ; implicit-def: $sgpr20_sgpr21
	s_load_dwordx4 s[16:19], s[4:5], 0x44
	s_branch .LBB36_2
.LBB36_22:
                                        ; implicit-def: $vgpr2_vgpr3
	s_branch .LBB36_5
.LBB36_23:
	v_div_scale_f32 v0, s[0:1], v13, v13, v14
	v_rcp_f32_e32 v1, v0
	v_div_scale_f32 v4, vcc, v14, v13, v14
	s_waitcnt vmcnt(0)
	v_fma_f32 v5, -v0, v1, 1.0
	v_fmac_f32_e32 v1, v5, v1
	v_mul_f32_e32 v5, v4, v1
	v_fma_f32 v6, -v0, v5, v4
	v_fmac_f32_e32 v5, v6, v1
	v_fma_f32 v0, -v0, v5, v4
	v_div_fmas_f32 v0, v0, v1, v5
	v_div_fixup_f32 v0, v0, v13, v14
	global_store_dword v[2:3], v0, off
.LBB36_24:
	s_endpgm
	.section	.rodata,"a",@progbits
	.p2align	6, 0x0
	.amdhsa_kernel _ZL33flash_attn_stream_k_fixup_generalILi128ELi32ELi2EEvPfPK15HIP_vector_typeIfLj2EEiiiiS1_IjLj3EES5_S5_S5_
		.amdhsa_group_segment_fixed_size 0
		.amdhsa_private_segment_fixed_size 0
		.amdhsa_kernarg_size 336
		.amdhsa_user_sgpr_count 6
		.amdhsa_user_sgpr_private_segment_buffer 1
		.amdhsa_user_sgpr_dispatch_ptr 0
		.amdhsa_user_sgpr_queue_ptr 0
		.amdhsa_user_sgpr_kernarg_segment_ptr 1
		.amdhsa_user_sgpr_dispatch_id 0
		.amdhsa_user_sgpr_flat_scratch_init 0
		.amdhsa_user_sgpr_kernarg_preload_length 0
		.amdhsa_user_sgpr_kernarg_preload_offset 0
		.amdhsa_user_sgpr_private_segment_size 0
		.amdhsa_uses_dynamic_stack 0
		.amdhsa_system_sgpr_private_segment_wavefront_offset 0
		.amdhsa_system_sgpr_workgroup_id_x 1
		.amdhsa_system_sgpr_workgroup_id_y 1
		.amdhsa_system_sgpr_workgroup_id_z 1
		.amdhsa_system_sgpr_workgroup_info 0
		.amdhsa_system_vgpr_workitem_id 0
		.amdhsa_next_free_vgpr 22
		.amdhsa_next_free_sgpr 32
		.amdhsa_accum_offset 24
		.amdhsa_reserve_vcc 1
		.amdhsa_reserve_flat_scratch 0
		.amdhsa_float_round_mode_32 0
		.amdhsa_float_round_mode_16_64 0
		.amdhsa_float_denorm_mode_32 3
		.amdhsa_float_denorm_mode_16_64 3
		.amdhsa_dx10_clamp 1
		.amdhsa_ieee_mode 1
		.amdhsa_fp16_overflow 0
		.amdhsa_tg_split 0
		.amdhsa_exception_fp_ieee_invalid_op 0
		.amdhsa_exception_fp_denorm_src 0
		.amdhsa_exception_fp_ieee_div_zero 0
		.amdhsa_exception_fp_ieee_overflow 0
		.amdhsa_exception_fp_ieee_underflow 0
		.amdhsa_exception_fp_ieee_inexact 0
		.amdhsa_exception_int_div_zero 0
	.end_amdhsa_kernel
	.section	.text._ZL33flash_attn_stream_k_fixup_generalILi128ELi32ELi2EEvPfPK15HIP_vector_typeIfLj2EEiiiiS1_IjLj3EES5_S5_S5_,"axG",@progbits,_ZL33flash_attn_stream_k_fixup_generalILi128ELi32ELi2EEvPfPK15HIP_vector_typeIfLj2EEiiiiS1_IjLj3EES5_S5_S5_,comdat
.Lfunc_end36:
	.size	_ZL33flash_attn_stream_k_fixup_generalILi128ELi32ELi2EEvPfPK15HIP_vector_typeIfLj2EEiiiiS1_IjLj3EES5_S5_S5_, .Lfunc_end36-_ZL33flash_attn_stream_k_fixup_generalILi128ELi32ELi2EEvPfPK15HIP_vector_typeIfLj2EEiiiiS1_IjLj3EES5_S5_S5_
                                        ; -- End function
	.section	.AMDGPU.csdata,"",@progbits
; Kernel info:
; codeLenInByte = 2824
; NumSgprs: 36
; NumVgprs: 22
; NumAgprs: 0
; TotalNumVgprs: 22
; ScratchSize: 0
; MemoryBound: 0
; FloatMode: 240
; IeeeMode: 1
; LDSByteSize: 0 bytes/workgroup (compile time only)
; SGPRBlocks: 4
; VGPRBlocks: 2
; NumSGPRsForWavesPerEU: 36
; NumVGPRsForWavesPerEU: 22
; AccumOffset: 24
; Occupancy: 8
; WaveLimiterHint : 0
; COMPUTE_PGM_RSRC2:SCRATCH_EN: 0
; COMPUTE_PGM_RSRC2:USER_SGPR: 6
; COMPUTE_PGM_RSRC2:TRAP_HANDLER: 0
; COMPUTE_PGM_RSRC2:TGID_X_EN: 1
; COMPUTE_PGM_RSRC2:TGID_Y_EN: 1
; COMPUTE_PGM_RSRC2:TGID_Z_EN: 1
; COMPUTE_PGM_RSRC2:TIDIG_COMP_CNT: 0
; COMPUTE_PGM_RSRC3_GFX90A:ACCUM_OFFSET: 5
; COMPUTE_PGM_RSRC3_GFX90A:TG_SPLIT: 0
	.section	.text._ZL15flash_attn_tileILi128ELi128ELi16ELi2ELb0EEvPKcS1_S1_S1_S1_PKiPfP15HIP_vector_typeIfLj2EEffffjfiS5_IjLj3EEiiiiiiiiiiiliiliiiiil,"axG",@progbits,_ZL15flash_attn_tileILi128ELi128ELi16ELi2ELb0EEvPKcS1_S1_S1_S1_PKiPfP15HIP_vector_typeIfLj2EEffffjfiS5_IjLj3EEiiiiiiiiiiiliiliiiiil,comdat
	.globl	_ZL15flash_attn_tileILi128ELi128ELi16ELi2ELb0EEvPKcS1_S1_S1_S1_PKiPfP15HIP_vector_typeIfLj2EEffffjfiS5_IjLj3EEiiiiiiiiiiiliiliiiiil ; -- Begin function _ZL15flash_attn_tileILi128ELi128ELi16ELi2ELb0EEvPKcS1_S1_S1_S1_PKiPfP15HIP_vector_typeIfLj2EEffffjfiS5_IjLj3EEiiiiiiiiiiiliiliiiiil
	.p2align	8
	.type	_ZL15flash_attn_tileILi128ELi128ELi16ELi2ELb0EEvPKcS1_S1_S1_S1_PKiPfP15HIP_vector_typeIfLj2EEffffjfiS5_IjLj3EEiiiiiiiiiiiliiliiiiil,@function
_ZL15flash_attn_tileILi128ELi128ELi16ELi2ELb0EEvPKcS1_S1_S1_S1_PKiPfP15HIP_vector_typeIfLj2EEffffjfiS5_IjLj3EEiiiiiiiiiiiliiliiiiil: ; @_ZL15flash_attn_tileILi128ELi128ELi16ELi2ELb0EEvPKcS1_S1_S1_S1_PKiPfP15HIP_vector_typeIfLj2EEffffjfiS5_IjLj3EEiiiiiiiiiiiliiliiiiil
; %bb.0:
	s_load_dwordx4 s[0:3], s[4:5], 0x5c
	s_load_dwordx2 s[30:31], s[4:5], 0x80
	s_load_dwordx2 s[36:37], s[4:5], 0xb8
	s_mov_b64 s[34:35], 0
	s_waitcnt lgkmcnt(0)
	s_lshr_b32 s9, s3, 31
	s_add_i32 s9, s3, s9
	s_ashr_i32 s9, s9, 1
	v_cvt_f32_u32_e32 v1, s9
	s_sub_i32 s10, 0, s9
	v_rcp_iflag_f32_e32 v1, v1
	v_mul_f32_e32 v1, 0x4f7ffffe, v1
	v_cvt_u32_f32_e32 v1, v1
	v_readfirstlane_b32 s11, v1
	s_mul_i32 s10, s10, s11
	s_mul_hi_u32 s10, s11, s10
	s_add_i32 s11, s11, s10
	s_mul_hi_u32 s10, s8, s11
	s_mul_i32 s11, s10, s9
	s_sub_i32 s11, s8, s11
	s_add_i32 s12, s10, 1
	s_sub_i32 s13, s11, s9
	s_cmp_ge_u32 s11, s9
	s_cselect_b32 s10, s12, s10
	s_cselect_b32 s11, s13, s11
	s_add_i32 s12, s10, 1
	s_cmp_ge_u32 s11, s9
	s_cselect_b32 s33, s12, s10
	s_abs_i32 s9, s31
	v_cvt_f32_u32_e32 v1, s9
	s_lshl_b32 s8, s8, 1
	s_mul_i32 s12, s33, s3
	s_sub_i32 s13, 0, s9
	v_rcp_iflag_f32_e32 v1, v1
	s_sub_i32 s28, s8, s12
	s_abs_i32 s11, s3
	s_xor_b32 s10, s3, s31
	v_mul_f32_e32 v1, 0x4f7ffffe, v1
	v_cvt_u32_f32_e32 v1, v1
	s_ashr_i32 s10, s10, 31
	v_readfirstlane_b32 s8, v1
	s_mul_i32 s13, s13, s8
	s_mul_hi_u32 s12, s8, s13
	s_add_i32 s8, s8, s12
	s_mul_hi_u32 s8, s11, s8
	s_mul_i32 s12, s8, s9
	s_sub_i32 s11, s11, s12
	s_add_i32 s13, s8, 1
	s_sub_i32 s12, s11, s9
	s_cmp_ge_u32 s11, s9
	s_cselect_b32 s8, s13, s8
	s_cselect_b32 s11, s12, s11
	s_add_i32 s12, s8, 1
	s_cmp_ge_u32 s11, s9
	s_cselect_b32 s8, s12, s8
	s_xor_b32 s8, s8, s10
	s_sub_i32 s31, s8, s10
	s_abs_i32 s29, s31
	v_cvt_f32_u32_e32 v1, s29
	s_load_dwordx16 s[8:23], s[4:5], 0x0
	v_rcp_iflag_f32_e32 v1, v1
	s_waitcnt lgkmcnt(0)
	s_cmp_eq_u64 s[14:15], 0
	v_mul_f32_e32 v1, 0x4f7ffffe, v1
	v_cvt_u32_f32_e32 v1, v1
	v_readfirstlane_b32 s38, v1
	s_cbranch_scc1 .LBB37_2
; %bb.1:
	s_abs_i32 s26, s36
	v_cvt_f32_u32_e32 v1, s26
	s_sub_i32 s35, 0, s26
	s_abs_i32 s34, s33
	s_ashr_i32 s27, s33, 31
	v_rcp_iflag_f32_e32 v1, v1
	s_load_dwordx2 s[24:25], s[4:5], 0xc8
	v_mul_f32_e32 v1, 0x4f7ffffe, v1
	v_cvt_u32_f32_e32 v1, v1
	v_readfirstlane_b32 s36, v1
	s_mul_i32 s35, s35, s36
	s_mul_hi_u32 s35, s36, s35
	s_add_i32 s36, s36, s35
	s_mul_hi_u32 s35, s34, s36
	s_mul_i32 s35, s35, s26
	s_sub_i32 s34, s34, s35
	s_sub_i32 s35, s34, s26
	s_cmp_ge_u32 s34, s26
	s_cselect_b32 s34, s35, s34
	s_sub_i32 s35, s34, s26
	s_cmp_ge_u32 s34, s26
	s_cselect_b32 s26, s35, s34
	s_xor_b32 s26, s26, s27
	s_sub_i32 s26, s26, s27
	s_ashr_i32 s27, s26, 31
	s_waitcnt lgkmcnt(0)
	s_mul_i32 s25, s26, s25
	s_mul_hi_u32 s34, s26, s24
	s_add_i32 s25, s34, s25
	s_mul_i32 s27, s27, s24
	s_add_i32 s25, s25, s27
	s_mul_i32 s26, s26, s24
	s_add_u32 s34, s14, s26
	s_addc_u32 s35, s15, s25
.LBB37_2:
	s_load_dwordx4 s[24:27], s[4:5], 0x70
	v_bfe_u32 v8, v0, 10, 10
	s_lshl_b32 s14, s6, 4
	v_lshlrev_b32_e32 v33, 1, v8
	v_add_u32_e32 v35, s14, v33
	s_waitcnt lgkmcnt(0)
	s_mul_i32 s15, s33, s26
	s_ashr_i32 s27, s15, 31
	v_and_b32_e32 v34, 0x3ff, v0
	v_mul_hi_u32 v0, v35, s0
	s_mul_i32 s26, s28, s25
	s_add_u32 s8, s8, s15
	v_add_u32_e32 v0, v35, v0
	s_addc_u32 s9, s9, s27
	s_ashr_i32 s15, s26, 31
	v_lshrrev_b32_e32 v0, s1, v0
	s_add_u32 s26, s8, s26
	v_mul_lo_u32 v0, v0, s2
	s_addc_u32 s15, s9, s15
	s_ashr_i32 s36, s24, 31
	v_sub_u32_e32 v9, v35, v0
	v_mov_b32_e32 v0, s24
	v_alignbit_b32 v11, s36, v0, 2
	v_mad_u64_u32 v[0:1], s[8:9], v11, v9, 0
	v_mov_b32_e32 v2, v1
	s_lshr_b32 s24, s36, 2
	v_mad_u64_u32 v[2:3], s[8:9], s24, v9, v[2:3]
	v_mov_b32_e32 v1, v2
	v_lshlrev_b64 v[0:1], 2, v[0:1]
	v_mov_b32_e32 v2, s15
	v_add_co_u32_e32 v3, vcc, s26, v0
	s_ashr_i32 s27, s25, 31
	v_addc_co_u32_e32 v2, vcc, v2, v1, vcc
	v_lshlrev_b32_e32 v20, 4, v34
	s_and_b32 s8, s25, -4
	v_add_co_u32_e32 v12, vcc, v3, v20
	s_add_u32 s25, s26, s8
	v_lshlrev_b32_e32 v10, 2, v8
	v_addc_co_u32_e32 v13, vcc, 0, v2, vcc
	s_addc_u32 s27, s15, s27
	v_mov_b32_e32 v2, s27
	v_add_co_u32_e32 v0, vcc, s25, v0
	v_or_b32_e32 v21, 2, v10
	v_addc_co_u32_e32 v1, vcc, v2, v1, vcc
	v_lshrrev_b32_e32 v30, 1, v21
	v_add_co_u32_e32 v14, vcc, v0, v20
	v_add_u32_e32 v31, s14, v30
	v_addc_co_u32_e32 v15, vcc, 0, v1, vcc
	global_load_dwordx4 v[0:3], v[12:13], off
	global_load_dwordx4 v[4:7], v[14:15], off
	v_mul_hi_u32 v12, v31, s0
	v_add_u32_e32 v12, v31, v12
	v_lshrrev_b32_e32 v12, s1, v12
	v_mul_lo_u32 v12, v12, s2
	v_or_b32_e32 v22, 3, v10
	v_sub_u32_e32 v15, v31, v12
	v_lshrrev_b32_e32 v28, 1, v22
	v_mad_u64_u32 v[12:13], s[8:9], v11, v15, 0
	v_add_u32_e32 v29, s14, v28
	v_mov_b32_e32 v14, v13
	v_mul_hi_u32 v16, v29, s0
	v_mad_u64_u32 v[14:15], s[8:9], s24, v15, v[14:15]
	v_add_u32_e32 v16, v29, v16
	v_mov_b32_e32 v13, v14
	v_lshrrev_b32_e32 v16, s1, v16
	v_lshlrev_b64 v[12:13], 2, v[12:13]
	v_mul_lo_u32 v16, v16, s2
	v_mov_b32_e32 v14, s15
	v_add_co_u32_e32 v12, vcc, s26, v12
	v_sub_u32_e32 v19, v29, v16
	v_addc_co_u32_e32 v13, vcc, v14, v13, vcc
	v_mad_u64_u32 v[16:17], s[8:9], v11, v19, 0
	v_add_co_u32_e32 v12, vcc, v12, v20
	v_mov_b32_e32 v18, v17
	v_addc_co_u32_e32 v13, vcc, 0, v13, vcc
	v_mad_u64_u32 v[18:19], s[8:9], s24, v19, v[18:19]
	global_load_dwordx4 v[12:15], v[12:13], off
	v_mov_b32_e32 v17, v18
	v_lshlrev_b64 v[16:17], 2, v[16:17]
	v_mov_b32_e32 v11, s27
	v_add_co_u32_e32 v16, vcc, s25, v16
	v_addc_co_u32_e32 v11, vcc, v11, v17, vcc
	v_add_co_u32_e32 v16, vcc, v16, v20
	v_addc_co_u32_e32 v17, vcc, 0, v11, vcc
	global_load_dwordx4 v[16:19], v[16:17], off
	s_load_dword s8, s[4:5], 0x40
	v_lshlrev_b32_e32 v11, 1, v34
	s_cmp_eq_u64 s[18:19], 0
	s_waitcnt vmcnt(3) lgkmcnt(0)
	v_pk_mul_f32 v[0:1], v[0:1], s[8:9] op_sel_hi:[1,0]
	v_cvt_f16_f32_e32 v20, v1
	v_cvt_f16_f32_e32 v23, v0
	v_pk_mul_f32 v[0:1], v[2:3], s[8:9] op_sel_hi:[1,0]
	v_cvt_f16_f32_e32 v25, v0
	v_lshlrev_b32_e32 v0, 8, v8
	v_cvt_f16_f32_e32 v24, v1
	v_add_lshl_u32 v26, v0, v11, 2
	s_waitcnt vmcnt(2)
	v_pk_mul_f32 v[0:1], v[4:5], s[8:9] op_sel_hi:[1,0]
	v_pk_mul_f32 v[2:3], v[6:7], s[8:9] op_sel_hi:[1,0]
	v_cvt_f16_f32_e32 v4, v1
	v_cvt_f16_f32_e32 v3, v3
	;; [unrolled: 1-line block ×4, first 2 shown]
	v_pack_b32_f16 v1, v25, v24
	v_pack_b32_f16 v0, v23, v20
	;; [unrolled: 1-line block ×4, first 2 shown]
	v_add_u32_e32 v4, 0x2000, v26
	ds_write2_b64 v4, v[0:1], v[2:3] offset0:128 offset1:160
	s_waitcnt vmcnt(1)
	v_pk_mul_f32 v[0:1], v[12:13], s[8:9] op_sel_hi:[1,0]
	v_pk_mul_f32 v[2:3], v[14:15], s[8:9] op_sel_hi:[1,0]
	v_cvt_f16_f32_e32 v4, v1
	v_cvt_f16_f32_e32 v1, v3
	;; [unrolled: 1-line block ×4, first 2 shown]
	v_lshlrev_b32_e32 v3, 6, v21
	v_add_lshl_u32 v3, v3, v11, 2
	v_pack_b32_f16 v1, v2, v1
	v_pack_b32_f16 v0, v0, v4
	ds_write_b64 v3, v[0:1] offset:9216
	s_waitcnt vmcnt(0)
	v_pk_mul_f32 v[0:1], v[16:17], s[8:9] op_sel_hi:[1,0]
	v_pk_mul_f32 v[2:3], v[18:19], s[8:9] op_sel_hi:[1,0]
	v_cvt_f16_f32_e32 v4, v1
	v_cvt_f16_f32_e32 v1, v3
	;; [unrolled: 1-line block ×4, first 2 shown]
	v_lshlrev_b32_e32 v3, 6, v22
	v_add_lshl_u32 v3, v3, v11, 2
	v_pack_b32_f16 v1, v2, v1
	v_pack_b32_f16 v0, v0, v4
	ds_write_b64 v3, v[0:1] offset:9216
	s_waitcnt lgkmcnt(0)
	s_barrier
	s_cbranch_scc1 .LBB37_4
; %bb.3:
	s_load_dword s8, s[4:5], 0xd0
	s_mov_b32 s9, 0
	s_waitcnt lgkmcnt(0)
	s_mul_i32 s8, s8, s33
	s_add_i32 s8, s8, s6
	s_lshl_b64 s[8:9], s[8:9], 2
	s_add_u32 s8, s18, s8
	s_addc_u32 s9, s19, s9
	s_load_dword s30, s[8:9], 0x0
.LBB37_4:
	s_lshl_b32 s15, s7, 6
	s_waitcnt lgkmcnt(0)
	s_cmp_lt_i32 s15, s30
	v_mbcnt_lo_u32_b32 v12, -1, 0
	s_cbranch_scc1 .LBB37_6
; %bb.5:
	v_mbcnt_hi_u32_b32 v36, -1, v12
	v_and_b32_e32 v0, 0x60, v36
	s_mov_b32 s6, 0
	v_add_u32_e32 v37, 32, v0
	v_xor_b32_e32 v40, 16, v36
	v_xor_b32_e32 v41, 8, v36
	;; [unrolled: 1-line block ×5, first 2 shown]
	s_mov_b64 s[8:9], 0
	s_mov_b32 s18, 0xfeffffff
	s_branch .LBB37_7
.LBB37_6:
	s_mov_b64 s[8:9], -1
                                        ; implicit-def: $sgpr18
                                        ; implicit-def: $sgpr6
                                        ; implicit-def: $vgpr36
                                        ; implicit-def: $vgpr37
                                        ; implicit-def: $vgpr40
                                        ; implicit-def: $vgpr41
                                        ; implicit-def: $vgpr42
                                        ; implicit-def: $vgpr39
                                        ; implicit-def: $vgpr38
.LBB37_7:
	v_lshlrev_b32_e32 v32, 2, v34
	s_andn2_b64 vcc, exec, s[8:9]
	v_mov_b32_e32 v3, s18
	v_mov_b32_e32 v5, s6
	;; [unrolled: 1-line block ×16, first 2 shown]
	s_cbranch_vccnz .LBB37_10
; %bb.8:
	s_load_dwordx2 s[18:19], s[4:5], 0x8c
	s_load_dwordx4 s[24:27], s[4:5], 0x98
	s_sub_i32 s6, 0, s29
	s_mul_i32 s6, s6, s38
	s_mul_hi_u32 s6, s38, s6
	s_waitcnt lgkmcnt(0)
	s_ashr_i32 s9, s18, 2
	s_ashr_i32 s8, s26, 2
	;; [unrolled: 1-line block ×4, first 2 shown]
	s_mul_i32 s25, s33, s25
	s_mul_hi_u32 s37, s33, s24
	s_add_i32 s25, s37, s25
	s_mul_i32 s37, s18, s24
	s_abs_i32 s36, s28
	s_add_i32 s38, s38, s6
	s_ashr_i32 s40, s28, 31
	s_ashr_i32 s31, s31, 31
	s_add_i32 s25, s25, s37
	s_mul_i32 s24, s33, s24
	s_mul_hi_u32 s6, s36, s38
	s_add_u32 s10, s10, s24
	s_addc_u32 s11, s11, s25
	s_mul_i32 s25, s6, s29
	s_sub_i32 s25, s36, s25
	s_xor_b32 s24, s40, s31
	s_add_i32 s31, s6, 1
	s_sub_i32 s36, s25, s29
	s_cmp_ge_u32 s25, s29
	s_cselect_b32 s6, s31, s6
	s_cselect_b32 s25, s36, s25
	s_add_i32 s31, s6, 1
	s_cmp_ge_u32 s25, s29
	s_cselect_b32 s6, s31, s6
	s_load_dwordx2 s[38:39], s[4:5], 0xa8
	s_xor_b32 s6, s6, s24
	s_sub_i32 s6, s6, s24
	s_mul_i32 s19, s6, s19
	s_ashr_i32 s24, s19, 31
	s_add_u32 s10, s10, s19
	s_addc_u32 s11, s11, s24
	s_waitcnt lgkmcnt(0)
	s_mul_i32 s19, s33, s39
	s_mul_hi_u32 s24, s33, s38
	s_add_i32 s19, s24, s19
	s_mul_i32 s18, s18, s38
	s_add_i32 s19, s19, s18
	s_mul_i32 s18, s33, s38
	s_add_u32 s12, s12, s18
	s_mul_i32 s6, s6, s27
	s_addc_u32 s13, s13, s19
	s_ashr_i32 s18, s6, 31
	v_lshrrev_b32_e32 v0, 3, v34
	v_and_b32_e32 v2, 28, v32
	s_add_u32 s12, s12, s6
	v_add_u32_e32 v0, v0, v10
	v_lshlrev_b32_e32 v1, 2, v2
	s_movk_i32 s6, 0x90
	v_mad_u32_u24 v43, v0, s6, v1
	v_mul_lo_u32 v4, s9, v0
	v_mov_b32_e32 v0, 0x2400
	v_lshl_add_u32 v46, v8, 10, v0
	v_add3_u32 v0, s14, v33, 1
	v_mul_hi_u32 v1, s0, v0
	v_add_u32_e32 v1, v0, v1
	v_lshrrev_b32_e32 v1, s1, v1
	v_mul_lo_u32 v1, v1, s2
	v_sub_u32_e32 v0, v0, v1
	v_mul_lo_u32 v48, v0, s26
	v_mov_b32_e32 v0, 0x4400
	v_lshl_add_u32 v49, v8, 9, v0
	v_lshrrev_b32_e32 v0, 4, v34
	v_add_u32_e32 v0, v0, v33
	v_and_b32_e32 v14, 60, v32
	v_mul_lo_u32 v16, s8, v0
	s_addc_u32 s13, s13, s18
	v_lshl_add_u32 v6, s9, 5, v4
	v_lshlrev_b32_e32 v1, 2, v14
	v_lshl_add_u32 v18, s8, 4, v16
	v_mbcnt_hi_u32_b32 v36, -1, v12
	v_mov_b32_e32 v65, 0
	v_ashrrev_i32_e32 v5, 31, v4
	v_ashrrev_i32_e32 v7, 31, v6
	v_lshlrev_b32_e32 v50, 3, v34
	v_lshl_or_b32 v51, v0, 8, v1
	v_ashrrev_i32_e32 v17, 31, v16
	v_ashrrev_i32_e32 v19, 31, v18
	s_add_u32 s0, s4, 0xd0
	v_mov_b32_e32 v0, 0xfeffffff
	v_and_b32_e32 v1, 0x60, v36
	v_add_u32_e32 v44, 0x1200, v43
	v_mul_u32_u24_e32 v45, 0x90, v34
	v_mul_lo_u32 v47, v9, s26
	v_add_u32_e32 v52, 0x1000, v51
	s_addc_u32 s1, s5, 0
	v_lshlrev_b64 v[8:9], 2, v[4:5]
	v_lshlrev_b32_e32 v53, 2, v2
	v_lshlrev_b64 v[10:11], 2, v[6:7]
	v_add_u32_e32 v37, 32, v1
	v_xor_b32_e32 v40, 16, v36
	v_xor_b32_e32 v41, 8, v36
	;; [unrolled: 1-line block ×5, first 2 shown]
	v_mov_b32_e32 v54, s35
	s_mov_b32 s6, 0x40051340
	s_mov_b32 s18, 0x3fb8aa3b
	;; [unrolled: 1-line block ×4, first 2 shown]
	v_mov_b32_e32 v55, 0x7f800000
	v_add_u32_e32 v56, v49, v50
	v_lshlrev_b64 v[12:13], 2, v[16:17]
	v_lshlrev_b32_e32 v57, 2, v14
	v_lshlrev_b64 v[14:15], 2, v[18:19]
	v_add_u32_e32 v58, 0x800, v50
	v_add_u32_e32 v59, 0x1000, v50
	;; [unrolled: 1-line block ×3, first 2 shown]
	v_mov_b32_e32 v67, 0
	v_mov_b32_e32 v68, 0
	;; [unrolled: 1-line block ×14, first 2 shown]
.LBB37_9:                               ; =>This Inner Loop Header: Depth=1
	s_mul_hi_i32 s27, s15, s9
	s_mul_i32 s26, s15, s9
	s_lshl_b64 s[26:27], s[26:27], 2
	s_add_u32 s25, s10, s26
	s_addc_u32 s26, s11, s27
	v_add_co_u32_e32 v16, vcc, s25, v8
	v_mov_b32_e32 v17, s26
	v_addc_co_u32_e32 v17, vcc, v17, v9, vcc
	v_add_co_u32_e32 v22, vcc, v16, v53
	v_addc_co_u32_e32 v23, vcc, 0, v17, vcc
	global_load_dwordx4 v[16:19], v[22:23], off
	v_mov_b32_e32 v26, 0
	v_mov_b32_e32 v20, 0
	;; [unrolled: 1-line block ×4, first 2 shown]
	s_mul_hi_i32 s27, s15, s8
	s_waitcnt vmcnt(0)
	ds_write_b128 v43, v[16:19]
	v_add_co_u32_e32 v16, vcc, s25, v10
	v_mov_b32_e32 v17, s26
	v_addc_co_u32_e32 v17, vcc, v17, v11, vcc
	v_add_co_u32_e32 v24, vcc, v16, v53
	v_addc_co_u32_e32 v25, vcc, 0, v17, vcc
	global_load_dwordx4 v[16:19], v[24:25], off
	v_cmp_lt_i32_e32 vcc, v40, v37
	s_mul_i32 s26, s15, s8
	s_lshl_b64 s[26:27], s[26:27], 2
	s_add_u32 s25, s12, s26
	s_addc_u32 s26, s13, s27
	s_waitcnt vmcnt(0)
	ds_write_b128 v44, v[16:19]
	s_waitcnt lgkmcnt(0)
	s_barrier
	ds_read_b128 v[70:73], v45
	ds_read_b128 v[74:77], v45 offset:4608
	ds_read_b128 v[78:81], v46
	ds_read_b128 v[82:85], v46 offset:256
	ds_read_b128 v[86:89], v46 offset:512
	;; [unrolled: 1-line block ×3, first 2 shown]
	v_mov_b32_e32 v18, 0
	s_waitcnt lgkmcnt(3)
	;;#ASMSTART
	v_dot2_f32_f16 v18, v70, v78, v18
	;;#ASMEND
	;;#ASMSTART
	v_dot2_f32_f16 v18, v71, v79, v18
	;;#ASMEND
	;; [unrolled: 3-line block ×3, first 2 shown]
	v_mov_b32_e32 v19, 0
	;;#ASMSTART
	v_dot2_f32_f16 v18, v73, v81, v18
	;;#ASMEND
	s_waitcnt lgkmcnt(2)
	;;#ASMSTART
	v_dot2_f32_f16 v19, v70, v82, v19
	;;#ASMEND
	;;#ASMSTART
	v_dot2_f32_f16 v19, v71, v83, v19
	;;#ASMEND
	;;#ASMSTART
	v_dot2_f32_f16 v19, v72, v84, v19
	;;#ASMEND
	;;#ASMSTART
	v_dot2_f32_f16 v19, v73, v85, v19
	;;#ASMEND
	s_waitcnt lgkmcnt(1)
	;;#ASMSTART
	v_dot2_f32_f16 v26, v70, v86, v26
	;;#ASMEND
	;;#ASMSTART
	v_dot2_f32_f16 v26, v71, v87, v26
	;;#ASMEND
	;;#ASMSTART
	v_dot2_f32_f16 v26, v72, v88, v26
	;;#ASMEND
	;; [unrolled: 13-line block ×3, first 2 shown]
	v_mov_b32_e32 v16, 0
	;;#ASMSTART
	v_dot2_f32_f16 v20, v73, v93, v20
	;;#ASMEND
	;;#ASMSTART
	v_dot2_f32_f16 v16, v74, v78, v16
	;;#ASMEND
	;; [unrolled: 3-line block ×4, first 2 shown]
	v_mov_b32_e32 v17, 0
	;;#ASMSTART
	v_dot2_f32_f16 v16, v77, v81, v16
	;;#ASMEND
	;;#ASMSTART
	v_dot2_f32_f16 v17, v74, v82, v17
	;;#ASMEND
	;; [unrolled: 3-line block ×13, first 2 shown]
	ds_read_b128 v[70:73], v45 offset:16
	ds_read_b128 v[74:77], v45 offset:4624
	;; [unrolled: 1-line block ×6, first 2 shown]
	s_waitcnt lgkmcnt(3)
	;;#ASMSTART
	v_dot2_f32_f16 v18, v70, v78, v18
	;;#ASMEND
	;;#ASMSTART
	v_dot2_f32_f16 v18, v71, v79, v18
	;;#ASMEND
	;;#ASMSTART
	v_dot2_f32_f16 v18, v72, v80, v18
	;;#ASMEND
	;;#ASMSTART
	v_dot2_f32_f16 v18, v73, v81, v18
	;;#ASMEND
	s_waitcnt lgkmcnt(2)
	;;#ASMSTART
	v_dot2_f32_f16 v19, v70, v82, v19
	;;#ASMEND
	;;#ASMSTART
	v_dot2_f32_f16 v19, v71, v83, v19
	;;#ASMEND
	;;#ASMSTART
	v_dot2_f32_f16 v19, v72, v84, v19
	;;#ASMEND
	;;#ASMSTART
	v_dot2_f32_f16 v19, v73, v85, v19
	;;#ASMEND
	s_waitcnt lgkmcnt(1)
	;;#ASMSTART
	v_dot2_f32_f16 v26, v70, v86, v26
	;;#ASMEND
	;;#ASMSTART
	v_dot2_f32_f16 v26, v71, v87, v26
	;;#ASMEND
	;;#ASMSTART
	v_dot2_f32_f16 v26, v72, v88, v26
	;;#ASMEND
	;;#ASMSTART
	v_dot2_f32_f16 v26, v73, v89, v26
	;;#ASMEND
	s_waitcnt lgkmcnt(0)
	;;#ASMSTART
	v_dot2_f32_f16 v20, v70, v90, v20
	;;#ASMEND
	;;#ASMSTART
	v_dot2_f32_f16 v20, v71, v91, v20
	;;#ASMEND
	;;#ASMSTART
	v_dot2_f32_f16 v20, v72, v92, v20
	;;#ASMEND
	;;#ASMSTART
	v_dot2_f32_f16 v20, v73, v93, v20
	;;#ASMEND
	;;#ASMSTART
	v_dot2_f32_f16 v16, v74, v78, v16
	;;#ASMEND
	;;#ASMSTART
	v_dot2_f32_f16 v16, v75, v79, v16
	;;#ASMEND
	;; [unrolled: 3-line block ×16, first 2 shown]
	ds_read_b128 v[70:73], v45 offset:32
	ds_read_b128 v[74:77], v45 offset:4640
	ds_read_b128 v[78:81], v46 offset:32
	ds_read_b128 v[82:85], v46 offset:288
	ds_read_b128 v[86:89], v46 offset:544
	ds_read_b128 v[90:93], v46 offset:800
	s_waitcnt lgkmcnt(3)
	;;#ASMSTART
	v_dot2_f32_f16 v18, v70, v78, v18
	;;#ASMEND
	;;#ASMSTART
	v_dot2_f32_f16 v18, v71, v79, v18
	;;#ASMEND
	;;#ASMSTART
	v_dot2_f32_f16 v18, v72, v80, v18
	;;#ASMEND
	;;#ASMSTART
	v_dot2_f32_f16 v18, v73, v81, v18
	;;#ASMEND
	s_waitcnt lgkmcnt(2)
	;;#ASMSTART
	v_dot2_f32_f16 v19, v70, v82, v19
	;;#ASMEND
	;;#ASMSTART
	v_dot2_f32_f16 v19, v71, v83, v19
	;;#ASMEND
	;;#ASMSTART
	v_dot2_f32_f16 v19, v72, v84, v19
	;;#ASMEND
	;;#ASMSTART
	v_dot2_f32_f16 v19, v73, v85, v19
	;;#ASMEND
	;; [unrolled: 13-line block ×4, first 2 shown]
	;;#ASMSTART
	v_dot2_f32_f16 v16, v74, v78, v16
	;;#ASMEND
	;;#ASMSTART
	v_dot2_f32_f16 v16, v75, v79, v16
	;;#ASMEND
	;; [unrolled: 3-line block ×16, first 2 shown]
	ds_read_b128 v[70:73], v45 offset:48
	ds_read_b128 v[74:77], v45 offset:4656
	;; [unrolled: 1-line block ×6, first 2 shown]
	s_waitcnt lgkmcnt(3)
	;;#ASMSTART
	v_dot2_f32_f16 v18, v70, v78, v18
	;;#ASMEND
	;;#ASMSTART
	v_dot2_f32_f16 v18, v71, v79, v18
	;;#ASMEND
	;;#ASMSTART
	v_dot2_f32_f16 v18, v72, v80, v18
	;;#ASMEND
	;;#ASMSTART
	v_dot2_f32_f16 v18, v73, v81, v18
	;;#ASMEND
	s_waitcnt lgkmcnt(2)
	;;#ASMSTART
	v_dot2_f32_f16 v19, v70, v82, v19
	;;#ASMEND
	;;#ASMSTART
	v_dot2_f32_f16 v19, v71, v83, v19
	;;#ASMEND
	;;#ASMSTART
	v_dot2_f32_f16 v19, v72, v84, v19
	;;#ASMEND
	;;#ASMSTART
	v_dot2_f32_f16 v19, v73, v85, v19
	;;#ASMEND
	;; [unrolled: 13-line block ×4, first 2 shown]
	;;#ASMSTART
	v_dot2_f32_f16 v16, v74, v78, v16
	;;#ASMEND
	;;#ASMSTART
	v_dot2_f32_f16 v16, v75, v79, v16
	;;#ASMEND
	;; [unrolled: 3-line block ×16, first 2 shown]
	ds_read_b128 v[70:73], v45 offset:64
	ds_read_b128 v[74:77], v45 offset:4672
	;; [unrolled: 1-line block ×6, first 2 shown]
	s_waitcnt lgkmcnt(3)
	;;#ASMSTART
	v_dot2_f32_f16 v18, v70, v78, v18
	;;#ASMEND
	;;#ASMSTART
	v_dot2_f32_f16 v18, v71, v79, v18
	;;#ASMEND
	;;#ASMSTART
	v_dot2_f32_f16 v18, v72, v80, v18
	;;#ASMEND
	;;#ASMSTART
	v_dot2_f32_f16 v18, v73, v81, v18
	;;#ASMEND
	s_waitcnt lgkmcnt(2)
	;;#ASMSTART
	v_dot2_f32_f16 v19, v70, v82, v19
	;;#ASMEND
	;;#ASMSTART
	v_dot2_f32_f16 v19, v71, v83, v19
	;;#ASMEND
	;;#ASMSTART
	v_dot2_f32_f16 v19, v72, v84, v19
	;;#ASMEND
	;;#ASMSTART
	v_dot2_f32_f16 v19, v73, v85, v19
	;;#ASMEND
	;; [unrolled: 13-line block ×4, first 2 shown]
	;;#ASMSTART
	v_dot2_f32_f16 v16, v74, v78, v16
	;;#ASMEND
	;;#ASMSTART
	v_dot2_f32_f16 v16, v75, v79, v16
	;;#ASMEND
	;; [unrolled: 3-line block ×16, first 2 shown]
	ds_read_b128 v[70:73], v45 offset:80
	ds_read_b128 v[74:77], v45 offset:4688
	;; [unrolled: 1-line block ×6, first 2 shown]
	s_waitcnt lgkmcnt(3)
	;;#ASMSTART
	v_dot2_f32_f16 v18, v70, v78, v18
	;;#ASMEND
	;;#ASMSTART
	v_dot2_f32_f16 v18, v71, v79, v18
	;;#ASMEND
	;;#ASMSTART
	v_dot2_f32_f16 v18, v72, v80, v18
	;;#ASMEND
	;;#ASMSTART
	v_dot2_f32_f16 v18, v73, v81, v18
	;;#ASMEND
	s_waitcnt lgkmcnt(2)
	;;#ASMSTART
	v_dot2_f32_f16 v19, v70, v82, v19
	;;#ASMEND
	;;#ASMSTART
	v_dot2_f32_f16 v19, v71, v83, v19
	;;#ASMEND
	;;#ASMSTART
	v_dot2_f32_f16 v19, v72, v84, v19
	;;#ASMEND
	;;#ASMSTART
	v_dot2_f32_f16 v19, v73, v85, v19
	;;#ASMEND
	;; [unrolled: 13-line block ×4, first 2 shown]
	;;#ASMSTART
	v_dot2_f32_f16 v16, v74, v78, v16
	;;#ASMEND
	;;#ASMSTART
	v_dot2_f32_f16 v16, v75, v79, v16
	;;#ASMEND
	;; [unrolled: 3-line block ×16, first 2 shown]
	ds_read_b128 v[70:73], v45 offset:96
	ds_read_b128 v[74:77], v45 offset:4704
	;; [unrolled: 1-line block ×6, first 2 shown]
	s_waitcnt lgkmcnt(3)
	;;#ASMSTART
	v_dot2_f32_f16 v18, v70, v78, v18
	;;#ASMEND
	;;#ASMSTART
	v_dot2_f32_f16 v18, v71, v79, v18
	;;#ASMEND
	;;#ASMSTART
	v_dot2_f32_f16 v18, v72, v80, v18
	;;#ASMEND
	;;#ASMSTART
	v_dot2_f32_f16 v18, v73, v81, v18
	;;#ASMEND
	s_waitcnt lgkmcnt(2)
	;;#ASMSTART
	v_dot2_f32_f16 v19, v70, v82, v19
	;;#ASMEND
	;;#ASMSTART
	v_dot2_f32_f16 v19, v71, v83, v19
	;;#ASMEND
	;;#ASMSTART
	v_dot2_f32_f16 v19, v72, v84, v19
	;;#ASMEND
	;;#ASMSTART
	v_dot2_f32_f16 v19, v73, v85, v19
	;;#ASMEND
	;; [unrolled: 13-line block ×4, first 2 shown]
	;;#ASMSTART
	v_dot2_f32_f16 v16, v74, v78, v16
	;;#ASMEND
	;;#ASMSTART
	v_dot2_f32_f16 v16, v75, v79, v16
	;;#ASMEND
	;; [unrolled: 3-line block ×16, first 2 shown]
	ds_read_b128 v[70:73], v45 offset:112
	ds_read_b128 v[74:77], v45 offset:4720
	;; [unrolled: 1-line block ×6, first 2 shown]
	s_waitcnt lgkmcnt(3)
	;;#ASMSTART
	v_dot2_f32_f16 v18, v70, v78, v18
	;;#ASMEND
	;;#ASMSTART
	v_dot2_f32_f16 v18, v71, v79, v18
	;;#ASMEND
	;;#ASMSTART
	v_dot2_f32_f16 v18, v72, v80, v18
	;;#ASMEND
	;;#ASMSTART
	v_dot2_f32_f16 v18, v73, v81, v18
	;;#ASMEND
	s_waitcnt lgkmcnt(2)
	;;#ASMSTART
	v_dot2_f32_f16 v19, v70, v82, v19
	;;#ASMEND
	;;#ASMSTART
	v_dot2_f32_f16 v19, v71, v83, v19
	;;#ASMEND
	;;#ASMSTART
	v_dot2_f32_f16 v19, v72, v84, v19
	;;#ASMEND
	;;#ASMSTART
	v_dot2_f32_f16 v19, v73, v85, v19
	;;#ASMEND
	;; [unrolled: 13-line block ×4, first 2 shown]
	;;#ASMSTART
	v_dot2_f32_f16 v16, v74, v78, v16
	;;#ASMEND
	;;#ASMSTART
	v_dot2_f32_f16 v16, v75, v79, v16
	;;#ASMEND
	;; [unrolled: 3-line block ×16, first 2 shown]
	s_barrier
	global_load_dwordx4 v[70:73], v[22:23], off offset:128
	s_waitcnt vmcnt(0)
	ds_write_b128 v43, v[70:73]
	global_load_dwordx4 v[22:25], v[24:25], off offset:128
	s_waitcnt vmcnt(0)
	ds_write_b128 v44, v[22:25]
	s_waitcnt lgkmcnt(0)
	s_barrier
	ds_read_b128 v[22:25], v45
	ds_read_b128 v[70:73], v45 offset:4608
	ds_read_b128 v[74:77], v46 offset:128
	;; [unrolled: 1-line block ×5, first 2 shown]
	s_waitcnt lgkmcnt(3)
	;;#ASMSTART
	v_dot2_f32_f16 v18, v22, v74, v18
	;;#ASMEND
	;;#ASMSTART
	v_dot2_f32_f16 v18, v23, v75, v18
	;;#ASMEND
	;;#ASMSTART
	v_dot2_f32_f16 v18, v24, v76, v18
	;;#ASMEND
	;;#ASMSTART
	v_dot2_f32_f16 v18, v25, v77, v18
	;;#ASMEND
	s_waitcnt lgkmcnt(2)
	;;#ASMSTART
	v_dot2_f32_f16 v19, v22, v78, v19
	;;#ASMEND
	;;#ASMSTART
	v_dot2_f32_f16 v19, v23, v79, v19
	;;#ASMEND
	;;#ASMSTART
	v_dot2_f32_f16 v19, v24, v80, v19
	;;#ASMEND
	;;#ASMSTART
	v_dot2_f32_f16 v19, v25, v81, v19
	;;#ASMEND
	;; [unrolled: 13-line block ×4, first 2 shown]
	;;#ASMSTART
	v_dot2_f32_f16 v16, v70, v74, v16
	;;#ASMEND
	;;#ASMSTART
	v_dot2_f32_f16 v16, v71, v75, v16
	;;#ASMEND
	;; [unrolled: 3-line block ×16, first 2 shown]
	ds_read_b128 v[22:25], v45 offset:16
	ds_read_b128 v[70:73], v45 offset:4624
	;; [unrolled: 1-line block ×6, first 2 shown]
	s_waitcnt lgkmcnt(3)
	;;#ASMSTART
	v_dot2_f32_f16 v18, v22, v74, v18
	;;#ASMEND
	;;#ASMSTART
	v_dot2_f32_f16 v18, v23, v75, v18
	;;#ASMEND
	;;#ASMSTART
	v_dot2_f32_f16 v18, v24, v76, v18
	;;#ASMEND
	;;#ASMSTART
	v_dot2_f32_f16 v18, v25, v77, v18
	;;#ASMEND
	s_waitcnt lgkmcnt(2)
	;;#ASMSTART
	v_dot2_f32_f16 v19, v22, v78, v19
	;;#ASMEND
	;;#ASMSTART
	v_dot2_f32_f16 v19, v23, v79, v19
	;;#ASMEND
	;;#ASMSTART
	v_dot2_f32_f16 v19, v24, v80, v19
	;;#ASMEND
	;;#ASMSTART
	v_dot2_f32_f16 v19, v25, v81, v19
	;;#ASMEND
	;; [unrolled: 13-line block ×4, first 2 shown]
	;;#ASMSTART
	v_dot2_f32_f16 v16, v70, v74, v16
	;;#ASMEND
	;;#ASMSTART
	v_dot2_f32_f16 v16, v71, v75, v16
	;;#ASMEND
	;; [unrolled: 3-line block ×16, first 2 shown]
	ds_read_b128 v[22:25], v45 offset:32
	ds_read_b128 v[70:73], v45 offset:4640
	;; [unrolled: 1-line block ×6, first 2 shown]
	s_waitcnt lgkmcnt(3)
	;;#ASMSTART
	v_dot2_f32_f16 v18, v22, v74, v18
	;;#ASMEND
	;;#ASMSTART
	v_dot2_f32_f16 v18, v23, v75, v18
	;;#ASMEND
	;;#ASMSTART
	v_dot2_f32_f16 v18, v24, v76, v18
	;;#ASMEND
	;;#ASMSTART
	v_dot2_f32_f16 v18, v25, v77, v18
	;;#ASMEND
	s_waitcnt lgkmcnt(2)
	;;#ASMSTART
	v_dot2_f32_f16 v19, v22, v78, v19
	;;#ASMEND
	;;#ASMSTART
	v_dot2_f32_f16 v19, v23, v79, v19
	;;#ASMEND
	;;#ASMSTART
	v_dot2_f32_f16 v19, v24, v80, v19
	;;#ASMEND
	;;#ASMSTART
	v_dot2_f32_f16 v19, v25, v81, v19
	;;#ASMEND
	;; [unrolled: 13-line block ×4, first 2 shown]
	;;#ASMSTART
	v_dot2_f32_f16 v16, v70, v74, v16
	;;#ASMEND
	;;#ASMSTART
	v_dot2_f32_f16 v16, v71, v75, v16
	;;#ASMEND
	;; [unrolled: 3-line block ×16, first 2 shown]
	ds_read_b128 v[22:25], v45 offset:48
	ds_read_b128 v[70:73], v45 offset:4656
	;; [unrolled: 1-line block ×6, first 2 shown]
	s_waitcnt lgkmcnt(3)
	;;#ASMSTART
	v_dot2_f32_f16 v18, v22, v74, v18
	;;#ASMEND
	;;#ASMSTART
	v_dot2_f32_f16 v18, v23, v75, v18
	;;#ASMEND
	;;#ASMSTART
	v_dot2_f32_f16 v18, v24, v76, v18
	;;#ASMEND
	;;#ASMSTART
	v_dot2_f32_f16 v18, v25, v77, v18
	;;#ASMEND
	s_waitcnt lgkmcnt(2)
	;;#ASMSTART
	v_dot2_f32_f16 v19, v22, v78, v19
	;;#ASMEND
	;;#ASMSTART
	v_dot2_f32_f16 v19, v23, v79, v19
	;;#ASMEND
	;;#ASMSTART
	v_dot2_f32_f16 v19, v24, v80, v19
	;;#ASMEND
	;;#ASMSTART
	v_dot2_f32_f16 v19, v25, v81, v19
	;;#ASMEND
	;; [unrolled: 13-line block ×4, first 2 shown]
	;;#ASMSTART
	v_dot2_f32_f16 v16, v70, v74, v16
	;;#ASMEND
	;;#ASMSTART
	v_dot2_f32_f16 v16, v71, v75, v16
	;;#ASMEND
	;; [unrolled: 3-line block ×16, first 2 shown]
	ds_read_b128 v[22:25], v45 offset:64
	ds_read_b128 v[70:73], v45 offset:4672
	;; [unrolled: 1-line block ×6, first 2 shown]
	s_waitcnt lgkmcnt(3)
	;;#ASMSTART
	v_dot2_f32_f16 v18, v22, v74, v18
	;;#ASMEND
	;;#ASMSTART
	v_dot2_f32_f16 v18, v23, v75, v18
	;;#ASMEND
	;;#ASMSTART
	v_dot2_f32_f16 v18, v24, v76, v18
	;;#ASMEND
	;;#ASMSTART
	v_dot2_f32_f16 v18, v25, v77, v18
	;;#ASMEND
	s_waitcnt lgkmcnt(2)
	;;#ASMSTART
	v_dot2_f32_f16 v19, v22, v78, v19
	;;#ASMEND
	;;#ASMSTART
	v_dot2_f32_f16 v19, v23, v79, v19
	;;#ASMEND
	;;#ASMSTART
	v_dot2_f32_f16 v19, v24, v80, v19
	;;#ASMEND
	;;#ASMSTART
	v_dot2_f32_f16 v19, v25, v81, v19
	;;#ASMEND
	;; [unrolled: 13-line block ×4, first 2 shown]
	;;#ASMSTART
	v_dot2_f32_f16 v16, v70, v74, v16
	;;#ASMEND
	;;#ASMSTART
	v_dot2_f32_f16 v16, v71, v75, v16
	;;#ASMEND
	;; [unrolled: 3-line block ×16, first 2 shown]
	ds_read_b128 v[22:25], v45 offset:80
	ds_read_b128 v[70:73], v45 offset:4688
	;; [unrolled: 1-line block ×6, first 2 shown]
	s_waitcnt lgkmcnt(3)
	;;#ASMSTART
	v_dot2_f32_f16 v18, v22, v74, v18
	;;#ASMEND
	;;#ASMSTART
	v_dot2_f32_f16 v18, v23, v75, v18
	;;#ASMEND
	;;#ASMSTART
	v_dot2_f32_f16 v18, v24, v76, v18
	;;#ASMEND
	;;#ASMSTART
	v_dot2_f32_f16 v18, v25, v77, v18
	;;#ASMEND
	s_waitcnt lgkmcnt(2)
	;;#ASMSTART
	v_dot2_f32_f16 v19, v22, v78, v19
	;;#ASMEND
	;;#ASMSTART
	v_dot2_f32_f16 v19, v23, v79, v19
	;;#ASMEND
	;;#ASMSTART
	v_dot2_f32_f16 v19, v24, v80, v19
	;;#ASMEND
	;;#ASMSTART
	v_dot2_f32_f16 v19, v25, v81, v19
	;;#ASMEND
	;; [unrolled: 13-line block ×4, first 2 shown]
	;;#ASMSTART
	v_dot2_f32_f16 v16, v70, v74, v16
	;;#ASMEND
	;;#ASMSTART
	v_dot2_f32_f16 v16, v71, v75, v16
	;;#ASMEND
	;; [unrolled: 3-line block ×16, first 2 shown]
	ds_read_b128 v[22:25], v45 offset:96
	ds_read_b128 v[70:73], v45 offset:4704
	;; [unrolled: 1-line block ×6, first 2 shown]
	s_waitcnt lgkmcnt(3)
	;;#ASMSTART
	v_dot2_f32_f16 v18, v22, v74, v18
	;;#ASMEND
	;;#ASMSTART
	v_dot2_f32_f16 v18, v23, v75, v18
	;;#ASMEND
	;;#ASMSTART
	v_dot2_f32_f16 v18, v24, v76, v18
	;;#ASMEND
	;;#ASMSTART
	v_dot2_f32_f16 v18, v25, v77, v18
	;;#ASMEND
	s_waitcnt lgkmcnt(2)
	;;#ASMSTART
	v_dot2_f32_f16 v19, v22, v78, v19
	;;#ASMEND
	;;#ASMSTART
	v_dot2_f32_f16 v19, v23, v79, v19
	;;#ASMEND
	;;#ASMSTART
	v_dot2_f32_f16 v19, v24, v80, v19
	;;#ASMEND
	;;#ASMSTART
	v_dot2_f32_f16 v19, v25, v81, v19
	;;#ASMEND
	s_waitcnt lgkmcnt(1)
	;;#ASMSTART
	v_dot2_f32_f16 v26, v22, v82, v26
	;;#ASMEND
	;;#ASMSTART
	v_dot2_f32_f16 v26, v23, v83, v26
	;;#ASMEND
	;;#ASMSTART
	v_dot2_f32_f16 v26, v24, v84, v26
	;;#ASMEND
	;;#ASMSTART
	v_dot2_f32_f16 v26, v25, v85, v26
	;;#ASMEND
	s_waitcnt lgkmcnt(0)
	;;#ASMSTART
	v_dot2_f32_f16 v20, v22, v86, v20
	;;#ASMEND
	;;#ASMSTART
	v_dot2_f32_f16 v20, v23, v87, v20
	;;#ASMEND
	;;#ASMSTART
	v_dot2_f32_f16 v20, v24, v88, v20
	;;#ASMEND
	;;#ASMSTART
	v_dot2_f32_f16 v20, v25, v89, v20
	;;#ASMEND
	;;#ASMSTART
	v_dot2_f32_f16 v16, v70, v74, v16
	;;#ASMEND
	;;#ASMSTART
	v_dot2_f32_f16 v16, v71, v75, v16
	;;#ASMEND
	;; [unrolled: 3-line block ×16, first 2 shown]
	ds_read_b128 v[22:25], v45 offset:112
	ds_read_b128 v[70:73], v45 offset:4720
	;; [unrolled: 1-line block ×6, first 2 shown]
	s_waitcnt lgkmcnt(3)
	;;#ASMSTART
	v_dot2_f32_f16 v18, v22, v74, v18
	;;#ASMEND
	;;#ASMSTART
	v_dot2_f32_f16 v18, v23, v75, v18
	;;#ASMEND
	;;#ASMSTART
	v_dot2_f32_f16 v18, v24, v76, v18
	;;#ASMEND
	;;#ASMSTART
	v_dot2_f32_f16 v18, v25, v77, v18
	;;#ASMEND
	s_waitcnt lgkmcnt(2)
	;;#ASMSTART
	v_dot2_f32_f16 v19, v22, v78, v19
	;;#ASMEND
	;;#ASMSTART
	v_dot2_f32_f16 v19, v23, v79, v19
	;;#ASMEND
	;;#ASMSTART
	v_dot2_f32_f16 v19, v24, v80, v19
	;;#ASMEND
	;;#ASMSTART
	v_dot2_f32_f16 v19, v25, v81, v19
	;;#ASMEND
	;; [unrolled: 13-line block ×4, first 2 shown]
	;;#ASMSTART
	v_dot2_f32_f16 v16, v70, v74, v16
	;;#ASMEND
	;;#ASMSTART
	v_dot2_f32_f16 v16, v71, v75, v16
	;;#ASMEND
	;; [unrolled: 3-line block ×3, first 2 shown]
	v_cndmask_b32_e32 v22, v36, v40, vcc
	v_cmp_lt_i32_e32 vcc, v41, v37
	;;#ASMSTART
	v_dot2_f32_f16 v16, v73, v77, v16
	;;#ASMEND
	;;#ASMSTART
	v_dot2_f32_f16 v17, v70, v78, v17
	;;#ASMEND
	v_lshlrev_b32_e32 v78, 2, v22
	v_cndmask_b32_e32 v22, v36, v41, vcc
	v_cmp_lt_i32_e32 vcc, v42, v37
	;;#ASMSTART
	v_dot2_f32_f16 v17, v71, v79, v17
	;;#ASMEND
	v_lshlrev_b32_e32 v79, 2, v22
	v_cndmask_b32_e32 v22, v36, v42, vcc
	v_cmp_lt_i32_e32 vcc, v39, v37
	;;#ASMSTART
	v_dot2_f32_f16 v17, v72, v80, v17
	;;#ASMEND
	v_lshlrev_b32_e32 v80, 2, v22
	v_cndmask_b32_e32 v22, v36, v39, vcc
	v_cmp_lt_i32_e32 vcc, v38, v37
	;;#ASMSTART
	v_dot2_f32_f16 v17, v73, v81, v17
	;;#ASMEND
	;;#ASMSTART
	v_dot2_f32_f16 v27, v70, v82, v27
	;;#ASMEND
	v_add_u32_e32 v25, s15, v34
	v_lshlrev_b32_e32 v81, 2, v22
	v_cndmask_b32_e32 v22, v36, v38, vcc
	;;#ASMSTART
	v_dot2_f32_f16 v27, v71, v83, v27
	;;#ASMEND
	v_lshlrev_b32_e32 v82, 2, v22
	v_add_u32_e32 v22, v25, v47
	;;#ASMSTART
	v_dot2_f32_f16 v27, v72, v84, v27
	;;#ASMEND
	v_ashrrev_i32_e32 v23, 31, v22
	;;#ASMSTART
	v_dot2_f32_f16 v27, v73, v85, v27
	;;#ASMEND
	;;#ASMSTART
	v_dot2_f32_f16 v21, v70, v86, v21
	;;#ASMEND
	v_lshlrev_b64 v[22:23], 1, v[22:23]
	;;#ASMSTART
	v_dot2_f32_f16 v21, v71, v87, v21
	;;#ASMEND
	v_add_co_u32_e32 v22, vcc, s34, v22
	;;#ASMSTART
	v_dot2_f32_f16 v21, v72, v88, v21
	;;#ASMEND
	v_addc_co_u32_e32 v23, vcc, v54, v23, vcc
	;;#ASMSTART
	v_dot2_f32_f16 v21, v73, v89, v21
	;;#ASMEND
	flat_load_ushort v24, v[22:23]
	v_mov_b32_e32 v76, v2
	flat_load_ushort v22, v[22:23] offset:64
	v_mov_b32_e32 v77, v3
	s_waitcnt vmcnt(0) lgkmcnt(0)
	v_cvt_f32_f16_e32 v70, v24
	v_cvt_f32_f16_e32 v24, v22
	v_add_u32_e32 v22, v25, v48
	v_ashrrev_i32_e32 v23, 31, v22
	v_lshlrev_b64 v[22:23], 1, v[22:23]
	v_add_co_u32_e32 v22, vcc, s34, v22
	v_addc_co_u32_e32 v23, vcc, v54, v23, vcc
	flat_load_ushort v25, v[22:23]
	flat_load_ushort v69, v[22:23] offset:64
	s_waitcnt lgkmcnt(0)
	s_barrier
	s_waitcnt vmcnt(0)
	v_cvt_f32_f16_e32 v22, v25
	v_cvt_f32_f16_e32 v23, v69
	v_add_f32_e32 v26, v26, v22
	v_pk_add_f32 v[74:75], v[20:21], v[22:23]
	v_add_f32_e32 v72, v27, v23
	v_mov_b32_e32 v27, v74
	v_mov_b32_e32 v73, v75
	v_pk_add_f32 v[20:21], v[26:27], s[6:7] op_sel_hi:[1,0]
	v_pk_add_f32 v[22:23], v[72:73], s[6:7] op_sel_hi:[1,0]
	v_max3_f32 v2, v2, v20, v22
	ds_bpermute_b32 v20, v78, v2
	v_max3_f32 v3, v3, v21, v23
	ds_bpermute_b32 v21, v78, v3
	s_waitcnt lgkmcnt(1)
	v_max_f32_e32 v20, v20, v20
	v_max_f32_e32 v2, v2, v20
	s_waitcnt lgkmcnt(0)
	v_max_f32_e32 v21, v21, v21
	ds_bpermute_b32 v20, v79, v2
	v_max_f32_e32 v3, v3, v21
	ds_bpermute_b32 v21, v79, v3
	s_waitcnt lgkmcnt(1)
	v_max_f32_e32 v20, v20, v20
	v_max_f32_e32 v2, v2, v20
	s_waitcnt lgkmcnt(0)
	v_max_f32_e32 v21, v21, v21
	ds_bpermute_b32 v20, v80, v2
	v_max_f32_e32 v3, v3, v21
	;; [unrolled: 8-line block ×4, first 2 shown]
	ds_bpermute_b32 v21, v82, v3
	s_waitcnt lgkmcnt(1)
	v_max_f32_e32 v20, v20, v20
	v_max_f32_e32 v2, v2, v20
	s_waitcnt lgkmcnt(0)
	v_max_f32_e32 v21, v21, v21
	v_sub_f32_e32 v20, v26, v2
	v_max_f32_e32 v3, v3, v21
	v_mul_f32_e32 v21, 0x3fb8aa3b, v20
	v_fma_f32 v22, v20, s18, -v21
	v_rndne_f32_e32 v23, v21
	v_fmac_f32_e32 v22, 0x32a5705f, v20
	v_sub_f32_e32 v21, v21, v23
	v_add_f32_e32 v21, v21, v22
	v_exp_f32_e32 v21, v21
	v_cvt_i32_f32_e32 v22, v23
	v_cmp_ngt_f32_e32 vcc, s19, v20
	v_pk_add_f32 v[26:27], v[76:77], v[2:3] neg_lo:[0,1] neg_hi:[0,1]
	v_ldexp_f32 v21, v21, v22
	v_cndmask_b32_e32 v21, 0, v21, vcc
	v_cmp_nlt_f32_e32 vcc, s24, v20
	v_cndmask_b32_e32 v20, v55, v21, vcc
	v_sub_f32_e32 v21, v72, v2
	v_mul_f32_e32 v22, 0x3fb8aa3b, v21
	v_fma_f32 v23, v21, s18, -v22
	v_rndne_f32_e32 v25, v22
	v_fmac_f32_e32 v23, 0x32a5705f, v21
	v_sub_f32_e32 v22, v22, v25
	v_add_f32_e32 v22, v22, v23
	v_exp_f32_e32 v22, v22
	v_cvt_i32_f32_e32 v23, v25
	v_cmp_ngt_f32_e32 vcc, s19, v21
	v_cvt_f16_f32_e32 v83, v20
	v_ldexp_f32 v22, v22, v23
	v_cndmask_b32_e32 v22, 0, v22, vcc
	v_cmp_nlt_f32_e32 vcc, s24, v21
	v_mul_f32_e32 v21, 0x3fb8aa3b, v27
	v_fma_f32 v23, v27, s18, -v21
	v_rndne_f32_e32 v25, v21
	v_fmac_f32_e32 v23, 0x32a5705f, v27
	v_sub_f32_e32 v21, v21, v25
	v_add_f32_e32 v21, v21, v23
	v_exp_f32_e32 v21, v21
	v_cvt_i32_f32_e32 v23, v25
	v_cndmask_b32_e32 v22, v55, v22, vcc
	v_cmp_ngt_f32_e32 vcc, s19, v27
	v_cvt_f16_f32_e32 v84, v22
	v_ldexp_f32 v21, v21, v23
	v_cndmask_b32_e32 v21, 0, v21, vcc
	v_cmp_nlt_f32_e32 vcc, s24, v27
	v_cndmask_b32_e32 v27, v55, v21, vcc
	v_mul_f32_e32 v21, 0x3fb8aa3b, v26
	v_fma_f32 v23, v26, s18, -v21
	v_rndne_f32_e32 v25, v21
	v_fmac_f32_e32 v23, 0x32a5705f, v26
	v_sub_f32_e32 v21, v21, v25
	v_add_f32_e32 v21, v21, v23
	v_exp_f32_e32 v21, v21
	v_cvt_i32_f32_e32 v23, v25
	v_cmp_ngt_f32_e32 vcc, s19, v26
	v_ldexp_f32 v21, v21, v23
	v_cndmask_b32_e32 v21, 0, v21, vcc
	v_cmp_nlt_f32_e32 vcc, s24, v26
	v_cndmask_b32_e32 v26, v55, v21, vcc
	v_cvt_f16_f32_e32 v69, v26
	v_pk_mul_f16 v25, v69, v68 op_sel_hi:[0,1]
	v_mov_b32_e32 v68, v3
	v_pk_add_f32 v[72:73], v[74:75], v[68:69] op_sel_hi:[1,0] neg_lo:[0,1] neg_hi:[0,1]
	v_mul_f32_e32 v21, 0x3fb8aa3b, v73
	v_fma_f32 v23, v73, s18, -v21
	v_rndne_f32_e32 v68, v21
	v_fmac_f32_e32 v23, 0x32a5705f, v73
	v_sub_f32_e32 v21, v21, v68
	v_add_f32_e32 v21, v21, v23
	v_exp_f32_e32 v21, v21
	v_cvt_i32_f32_e32 v23, v68
	v_cmp_ngt_f32_e32 vcc, s19, v73
	v_pk_add_f32 v[16:17], v[16:17], v[24:25] op_sel_hi:[1,0]
	v_pk_add_f32 v[74:75], v[16:17], s[6:7] op_sel_hi:[1,0]
	v_ldexp_f32 v21, v21, v23
	v_cndmask_b32_e32 v21, 0, v21, vcc
	v_cmp_nlt_f32_e32 vcc, s24, v73
	v_cndmask_b32_e32 v23, v55, v21, vcc
	v_mul_f32_e32 v21, 0x3fb8aa3b, v72
	v_fma_f32 v68, v72, s18, -v21
	v_rndne_f32_e32 v71, v21
	v_fmac_f32_e32 v68, 0x32a5705f, v72
	v_sub_f32_e32 v21, v21, v71
	v_add_f32_e32 v21, v21, v68
	v_cvt_i32_f32_e32 v68, v71
	v_cvt_f16_f32_e32 v71, v27
	v_exp_f32_e32 v21, v21
	v_cmp_ngt_f32_e32 vcc, s19, v72
	v_mov_b32_e32 v73, v1
	v_pk_add_f32 v[18:19], v[18:19], v[70:71] op_sel_hi:[1,0]
	v_ldexp_f32 v21, v21, v68
	v_pk_mul_f16 v85, v71, v67 op_sel_hi:[0,1]
	v_pk_mul_f16 v86, v71, v65 op_sel_hi:[0,1]
	v_pk_add_f32 v[70:71], v[18:19], s[6:7] op_sel_hi:[1,0]
	v_cndmask_b32_e32 v21, 0, v21, vcc
	v_cmp_nlt_f32_e32 vcc, s24, v72
	v_mov_b32_e32 v72, v0
	v_max3_f32 v1, v1, v71, v75
	v_max3_f32 v0, v0, v70, v74
	ds_bpermute_b32 v24, v78, v0
	ds_bpermute_b32 v65, v78, v1
	v_cndmask_b32_e32 v21, v55, v21, vcc
	v_cvt_f16_f32_e32 v68, v21
	v_cvt_f16_f32_e32 v76, v23
	s_waitcnt lgkmcnt(1)
	v_max_f32_e32 v24, v24, v24
	s_waitcnt lgkmcnt(0)
	v_max_f32_e32 v65, v65, v65
	v_max_f32_e32 v1, v1, v65
	v_max_f32_e32 v0, v0, v24
	ds_bpermute_b32 v24, v79, v0
	ds_bpermute_b32 v65, v79, v1
	s_waitcnt lgkmcnt(1)
	v_max_f32_e32 v24, v24, v24
	s_waitcnt lgkmcnt(0)
	v_max_f32_e32 v65, v65, v65
	v_max_f32_e32 v1, v1, v65
	v_max_f32_e32 v0, v0, v24
	ds_bpermute_b32 v24, v80, v0
	ds_bpermute_b32 v65, v80, v1
	;; [unrolled: 8-line block ×4, first 2 shown]
	s_waitcnt lgkmcnt(1)
	v_max_f32_e32 v24, v24, v24
	s_waitcnt lgkmcnt(0)
	v_max_f32_e32 v65, v65, v65
	v_max_f32_e32 v1, v1, v65
	;; [unrolled: 1-line block ×3, first 2 shown]
	v_pk_add_f32 v[18:19], v[18:19], v[0:1] neg_lo:[0,1] neg_hi:[0,1]
	v_mul_f32_e32 v24, 0x3fb8aa3b, v19
	v_fma_f32 v65, v19, s18, -v24
	v_rndne_f32_e32 v67, v24
	v_fmac_f32_e32 v65, 0x32a5705f, v19
	v_sub_f32_e32 v24, v24, v67
	v_add_f32_e32 v24, v24, v65
	v_exp_f32_e32 v24, v24
	v_cvt_i32_f32_e32 v65, v67
	v_cmp_ngt_f32_e32 vcc, s19, v19
	v_pk_add_f32 v[16:17], v[16:17], v[0:1] neg_lo:[0,1] neg_hi:[0,1]
	v_ldexp_f32 v24, v24, v65
	v_cndmask_b32_e32 v24, 0, v24, vcc
	v_cmp_nlt_f32_e32 vcc, s24, v19
	v_cndmask_b32_e32 v19, v55, v24, vcc
	v_mul_f32_e32 v24, 0x3fb8aa3b, v18
	v_fma_f32 v65, v18, s18, -v24
	v_rndne_f32_e32 v67, v24
	v_fmac_f32_e32 v65, 0x32a5705f, v18
	v_sub_f32_e32 v24, v24, v67
	v_add_f32_e32 v24, v24, v65
	v_cvt_i32_f32_e32 v65, v67
	v_mul_f32_e32 v67, 0x3fb8aa3b, v17
	v_fma_f32 v70, v17, s18, -v67
	v_rndne_f32_e32 v71, v67
	v_exp_f32_e32 v24, v24
	v_fmac_f32_e32 v70, 0x32a5705f, v17
	v_sub_f32_e32 v67, v67, v71
	v_add_f32_e32 v67, v67, v70
	v_exp_f32_e32 v67, v67
	v_cvt_i32_f32_e32 v70, v71
	v_ldexp_f32 v24, v24, v65
	v_cmp_ngt_f32_e32 vcc, s19, v18
	v_cndmask_b32_e32 v24, 0, v24, vcc
	v_cmp_nlt_f32_e32 vcc, s24, v18
	v_cndmask_b32_e32 v18, v55, v24, vcc
	v_ldexp_f32 v67, v67, v70
	v_cmp_ngt_f32_e32 vcc, s19, v17
	v_cndmask_b32_e32 v67, 0, v67, vcc
	v_cmp_nlt_f32_e32 vcc, s24, v17
	v_cndmask_b32_e32 v17, v55, v67, vcc
	v_mul_f32_e32 v67, 0x3fb8aa3b, v16
	v_fma_f32 v70, v16, s18, -v67
	v_rndne_f32_e32 v71, v67
	v_fmac_f32_e32 v70, 0x32a5705f, v16
	v_sub_f32_e32 v67, v67, v71
	v_add_f32_e32 v67, v67, v70
	v_exp_f32_e32 v67, v67
	v_cvt_i32_f32_e32 v70, v71
	v_cmp_ngt_f32_e32 vcc, s19, v16
	v_cvt_f16_f32_e32 v24, v19
	v_cvt_f16_f32_e32 v65, v18
	v_ldexp_f32 v67, v67, v70
	v_pk_add_f32 v[70:71], v[72:73], v[0:1] neg_lo:[0,1] neg_hi:[0,1]
	v_mul_f32_e32 v72, 0x3fb8aa3b, v71
	v_fma_f32 v73, v71, s18, -v72
	v_rndne_f32_e32 v74, v72
	v_fmac_f32_e32 v73, 0x32a5705f, v71
	v_sub_f32_e32 v72, v72, v74
	v_add_f32_e32 v72, v72, v73
	v_exp_f32_e32 v72, v72
	v_cvt_i32_f32_e32 v73, v74
	v_cndmask_b32_e32 v67, 0, v67, vcc
	v_cmp_nlt_f32_e32 vcc, s24, v16
	v_cndmask_b32_e32 v16, v55, v67, vcc
	v_ldexp_f32 v72, v72, v73
	v_cmp_ngt_f32_e32 vcc, s19, v71
	v_cndmask_b32_e32 v72, 0, v72, vcc
	v_cmp_nlt_f32_e32 vcc, s24, v71
	v_cndmask_b32_e32 v71, v55, v72, vcc
	v_mul_f32_e32 v72, 0x3fb8aa3b, v70
	v_fma_f32 v73, v70, s18, -v72
	v_rndne_f32_e32 v74, v72
	v_fmac_f32_e32 v73, 0x32a5705f, v70
	v_sub_f32_e32 v72, v72, v74
	v_add_f32_e32 v72, v72, v73
	v_exp_f32_e32 v72, v72
	v_cvt_i32_f32_e32 v73, v74
	v_cmp_ngt_f32_e32 vcc, s19, v70
	v_cvt_f16_f32_e32 v67, v16
	v_cvt_f16_f32_e32 v80, v71
	v_ldexp_f32 v72, v72, v73
	v_cndmask_b32_e32 v72, 0, v72, vcc
	v_cmp_nlt_f32_e32 vcc, s24, v70
	v_cndmask_b32_e32 v70, v55, v72, vcc
	v_cvt_f16_f32_e32 v78, v70
	v_pk_mul_f16 v81, v80, v64 op_sel_hi:[0,1]
	v_pk_mul_f16 v79, v78, v66 op_sel_hi:[0,1]
	v_cvt_f16_f32_e32 v66, v17
	v_pk_add_f32 v[16:17], v[18:19], v[16:17]
	v_pk_add_f32 v[18:19], v[20:21], v[22:23]
	v_pk_fma_f32 v[4:5], v[4:5], v[26:27], v[18:19]
	v_pk_fma_f32 v[6:7], v[6:7], v[70:71], v[16:17]
	v_pack_b32_f16 v16, v65, v24
	v_pack_b32_f16 v17, v83, v68
	;; [unrolled: 1-line block ×4, first 2 shown]
	ds_write2_b64 v56, v[16:17], v[18:19] offset1:32
	v_add_co_u32_e32 v16, vcc, s25, v12
	v_mov_b32_e32 v17, s26
	v_addc_co_u32_e32 v17, vcc, v17, v13, vcc
	v_add_co_u32_e32 v16, vcc, v16, v57
	v_addc_co_u32_e32 v17, vcc, 0, v17, vcc
	global_load_dwordx4 v[16:19], v[16:17], off
	s_waitcnt vmcnt(0)
	ds_write_b128 v51, v[16:19]
	v_add_co_u32_e32 v16, vcc, s25, v14
	v_mov_b32_e32 v17, s26
	v_addc_co_u32_e32 v17, vcc, v17, v15, vcc
	v_add_co_u32_e32 v16, vcc, v16, v57
	v_addc_co_u32_e32 v17, vcc, 0, v17, vcc
	global_load_dwordx4 v[16:19], v[16:17], off
	s_or_b32 s25, s15, 32
	s_mul_hi_i32 s27, s25, s8
	s_mul_i32 s26, s25, s8
	s_lshl_b64 s[26:27], s[26:27], 2
	s_add_u32 s25, s12, s26
	s_addc_u32 s26, s13, s27
	s_waitcnt vmcnt(0)
	ds_write_b128 v52, v[16:19]
	s_waitcnt lgkmcnt(0)
	s_barrier
	ds_read2_b64 v[16:19], v50 offset1:32
	ds_read_b128 v[20:23], v49
	ds_read_b128 v[64:67], v49 offset:16
	ds_read_b128 v[70:73], v49 offset:32
	;; [unrolled: 1-line block ×3, first 2 shown]
	s_waitcnt lgkmcnt(3)
	v_pk_mul_f16 v24, v16, v20 op_sel_hi:[1,0]
	v_pk_mul_f16 v26, v16, v20 op_sel:[0,1]
	v_pk_mul_f16 v27, v16, v21 op_sel_hi:[1,0]
	v_pk_fma_f16 v24, v78, v63, v24 op_sel_hi:[0,1,1]
	v_pk_fma_f16 v26, v80, v62, v26 op_sel_hi:[0,1,1]
	;; [unrolled: 1-line block ×3, first 2 shown]
	v_pk_fma_f16 v16, v16, v21, v85 op_sel:[0,1,0]
	v_pk_fma_f16 v61, v17, v20, v79 op_sel_hi:[1,0,1]
	v_pk_fma_f16 v20, v17, v20, v81 op_sel:[0,1,0]
	v_pk_fma_f16 v25, v17, v21, v25 op_sel_hi:[1,0,1]
	v_pk_fma_f16 v17, v17, v21, v86 op_sel:[0,1,0]
	v_pk_fma_f16 v21, v18, v22, v24 op_sel_hi:[1,0,1]
	v_pk_fma_f16 v24, v18, v22, v26 op_sel:[0,1,0]
	v_pk_fma_f16 v26, v18, v23, v27 op_sel_hi:[1,0,1]
	v_pk_fma_f16 v27, v18, v23, v16 op_sel:[0,1,0]
	v_pk_fma_f16 v61, v19, v22, v61 op_sel_hi:[1,0,1]
	v_pk_fma_f16 v20, v19, v22, v20 op_sel:[0,1,0]
	v_pk_fma_f16 v22, v19, v23, v25 op_sel_hi:[1,0,1]
	v_pk_fma_f16 v23, v19, v23, v17 op_sel:[0,1,0]
	ds_read2_b64 v[16:19], v50 offset0:64 offset1:96
	s_waitcnt lgkmcnt(0)
	v_pk_fma_f16 v21, v16, v64, v21 op_sel_hi:[1,0,1]
	v_pk_fma_f16 v24, v16, v64, v24 op_sel:[0,1,0]
	v_pk_fma_f16 v25, v16, v65, v26 op_sel_hi:[1,0,1]
	v_pk_fma_f16 v16, v16, v65, v27 op_sel:[0,1,0]
	v_pk_fma_f16 v26, v17, v64, v61 op_sel_hi:[1,0,1]
	v_pk_fma_f16 v20, v17, v64, v20 op_sel:[0,1,0]
	v_pk_fma_f16 v22, v17, v65, v22 op_sel_hi:[1,0,1]
	v_pk_fma_f16 v17, v17, v65, v23 op_sel:[0,1,0]
	v_pk_fma_f16 v21, v18, v66, v21 op_sel_hi:[1,0,1]
	v_pk_fma_f16 v23, v18, v66, v24 op_sel:[0,1,0]
	v_pk_fma_f16 v24, v18, v67, v25 op_sel_hi:[1,0,1]
	v_pk_fma_f16 v25, v18, v67, v16 op_sel:[0,1,0]
	v_pk_fma_f16 v26, v19, v66, v26 op_sel_hi:[1,0,1]
	v_pk_fma_f16 v20, v19, v66, v20 op_sel:[0,1,0]
	v_pk_fma_f16 v22, v19, v67, v22 op_sel_hi:[1,0,1]
	v_pk_fma_f16 v27, v19, v67, v17 op_sel:[0,1,0]
	ds_read2_b64 v[16:19], v50 offset0:128 offset1:160
	s_waitcnt lgkmcnt(0)
	v_pk_fma_f16 v21, v16, v70, v21 op_sel_hi:[1,0,1]
	v_pk_fma_f16 v23, v16, v70, v23 op_sel:[0,1,0]
	v_pk_fma_f16 v24, v16, v71, v24 op_sel_hi:[1,0,1]
	;; [unrolled: 18-line block ×3, first 2 shown]
	v_pk_fma_f16 v16, v16, v75, v26 op_sel:[0,1,0]
	v_pk_fma_f16 v25, v17, v74, v25 op_sel_hi:[1,0,1]
	v_pk_fma_f16 v20, v17, v74, v20 op_sel:[0,1,0]
	v_pk_fma_f16 v22, v17, v75, v22 op_sel_hi:[1,0,1]
	;; [unrolled: 2-line block ×6, first 2 shown]
	v_pk_fma_f16 v64, v19, v77, v17 op_sel:[0,1,0]
	ds_read2_b64 v[16:19], v58 offset1:32
	ds_read_b128 v[20:23], v49 offset:64
	s_waitcnt lgkmcnt(0)
	v_pk_fma_f16 v26, v16, v20, v26 op_sel_hi:[1,0,1]
	v_pk_fma_f16 v27, v16, v20, v27 op_sel:[0,1,0]
	v_pk_fma_f16 v24, v16, v21, v24 op_sel_hi:[1,0,1]
	v_pk_fma_f16 v16, v16, v21, v61 op_sel:[0,1,0]
	v_pk_fma_f16 v25, v17, v20, v25 op_sel_hi:[1,0,1]
	v_pk_fma_f16 v20, v17, v20, v62 op_sel:[0,1,0]
	v_pk_fma_f16 v61, v17, v21, v63 op_sel_hi:[1,0,1]
	v_pk_fma_f16 v17, v17, v21, v64 op_sel:[0,1,0]
	v_pk_fma_f16 v26, v18, v22, v26 op_sel_hi:[1,0,1]
	v_pk_fma_f16 v27, v18, v22, v27 op_sel:[0,1,0]
	v_pk_fma_f16 v24, v18, v23, v24 op_sel_hi:[1,0,1]
	v_pk_fma_f16 v62, v18, v23, v16 op_sel:[0,1,0]
	v_pk_fma_f16 v25, v19, v22, v25 op_sel_hi:[1,0,1]
	v_pk_fma_f16 v63, v19, v22, v20 op_sel:[0,1,0]
	v_pk_fma_f16 v61, v19, v23, v61 op_sel_hi:[1,0,1]
	v_pk_fma_f16 v64, v19, v23, v17 op_sel:[0,1,0]
	ds_read2_b64 v[16:19], v58 offset0:64 offset1:96
	ds_read_b128 v[20:23], v49 offset:80
	s_waitcnt lgkmcnt(0)
	v_pk_fma_f16 v26, v16, v20, v26 op_sel_hi:[1,0,1]
	v_pk_fma_f16 v27, v16, v20, v27 op_sel:[0,1,0]
	v_pk_fma_f16 v24, v16, v21, v24 op_sel_hi:[1,0,1]
	v_pk_fma_f16 v16, v16, v21, v62 op_sel:[0,1,0]
	v_pk_fma_f16 v25, v17, v20, v25 op_sel_hi:[1,0,1]
	v_pk_fma_f16 v20, v17, v20, v63 op_sel:[0,1,0]
	v_pk_fma_f16 v61, v17, v21, v61 op_sel_hi:[1,0,1]
	v_pk_fma_f16 v17, v17, v21, v64 op_sel:[0,1,0]
	v_pk_fma_f16 v26, v18, v22, v26 op_sel_hi:[1,0,1]
	v_pk_fma_f16 v27, v18, v22, v27 op_sel:[0,1,0]
	v_pk_fma_f16 v24, v18, v23, v24 op_sel_hi:[1,0,1]
	v_pk_fma_f16 v62, v18, v23, v16 op_sel:[0,1,0]
	v_pk_fma_f16 v25, v19, v22, v25 op_sel_hi:[1,0,1]
	v_pk_fma_f16 v63, v19, v22, v20 op_sel:[0,1,0]
	v_pk_fma_f16 v61, v19, v23, v61 op_sel_hi:[1,0,1]
	v_pk_fma_f16 v64, v19, v23, v17 op_sel:[0,1,0]
	ds_read2_b64 v[16:19], v58 offset0:128 offset1:160
	;; [unrolled: 19-line block ×3, first 2 shown]
	ds_read_b128 v[20:23], v49 offset:112
	s_waitcnt lgkmcnt(0)
	v_pk_fma_f16 v26, v16, v20, v26 op_sel_hi:[1,0,1]
	v_pk_fma_f16 v27, v16, v20, v27 op_sel:[0,1,0]
	v_pk_fma_f16 v24, v16, v21, v24 op_sel_hi:[1,0,1]
	v_pk_fma_f16 v16, v16, v21, v62 op_sel:[0,1,0]
	;; [unrolled: 2-line block ×8, first 2 shown]
	ds_read2_b64 v[16:19], v59 offset1:32
	ds_read_b128 v[20:23], v49 offset:128
	s_waitcnt lgkmcnt(0)
	v_pk_fma_f16 v26, v16, v20, v26 op_sel_hi:[1,0,1]
	v_pk_fma_f16 v27, v16, v20, v27 op_sel:[0,1,0]
	v_pk_fma_f16 v24, v16, v21, v24 op_sel_hi:[1,0,1]
	v_pk_fma_f16 v16, v16, v21, v62 op_sel:[0,1,0]
	v_pk_fma_f16 v25, v17, v20, v25 op_sel_hi:[1,0,1]
	v_pk_fma_f16 v20, v17, v20, v63 op_sel:[0,1,0]
	v_pk_fma_f16 v61, v17, v21, v61 op_sel_hi:[1,0,1]
	v_pk_fma_f16 v17, v17, v21, v64 op_sel:[0,1,0]
	v_pk_fma_f16 v26, v18, v22, v26 op_sel_hi:[1,0,1]
	v_pk_fma_f16 v27, v18, v22, v27 op_sel:[0,1,0]
	v_pk_fma_f16 v24, v18, v23, v24 op_sel_hi:[1,0,1]
	v_pk_fma_f16 v62, v18, v23, v16 op_sel:[0,1,0]
	v_pk_fma_f16 v25, v19, v22, v25 op_sel_hi:[1,0,1]
	v_pk_fma_f16 v63, v19, v22, v20 op_sel:[0,1,0]
	v_pk_fma_f16 v61, v19, v23, v61 op_sel_hi:[1,0,1]
	v_pk_fma_f16 v64, v19, v23, v17 op_sel:[0,1,0]
	ds_read2_b64 v[16:19], v59 offset0:64 offset1:96
	ds_read_b128 v[20:23], v49 offset:144
	s_waitcnt lgkmcnt(0)
	v_pk_fma_f16 v26, v16, v20, v26 op_sel_hi:[1,0,1]
	v_pk_fma_f16 v27, v16, v20, v27 op_sel:[0,1,0]
	v_pk_fma_f16 v24, v16, v21, v24 op_sel_hi:[1,0,1]
	v_pk_fma_f16 v16, v16, v21, v62 op_sel:[0,1,0]
	v_pk_fma_f16 v25, v17, v20, v25 op_sel_hi:[1,0,1]
	v_pk_fma_f16 v20, v17, v20, v63 op_sel:[0,1,0]
	v_pk_fma_f16 v61, v17, v21, v61 op_sel_hi:[1,0,1]
	v_pk_fma_f16 v17, v17, v21, v64 op_sel:[0,1,0]
	v_pk_fma_f16 v26, v18, v22, v26 op_sel_hi:[1,0,1]
	v_pk_fma_f16 v27, v18, v22, v27 op_sel:[0,1,0]
	v_pk_fma_f16 v24, v18, v23, v24 op_sel_hi:[1,0,1]
	v_pk_fma_f16 v62, v18, v23, v16 op_sel:[0,1,0]
	v_pk_fma_f16 v25, v19, v22, v25 op_sel_hi:[1,0,1]
	v_pk_fma_f16 v63, v19, v22, v20 op_sel:[0,1,0]
	v_pk_fma_f16 v61, v19, v23, v61 op_sel_hi:[1,0,1]
	v_pk_fma_f16 v64, v19, v23, v17 op_sel:[0,1,0]
	ds_read2_b64 v[16:19], v59 offset0:128 offset1:160
	;; [unrolled: 19-line block ×3, first 2 shown]
	ds_read_b128 v[20:23], v49 offset:176
	s_waitcnt lgkmcnt(0)
	v_pk_fma_f16 v26, v16, v20, v26 op_sel_hi:[1,0,1]
	v_pk_fma_f16 v27, v16, v20, v27 op_sel:[0,1,0]
	v_pk_fma_f16 v24, v16, v21, v24 op_sel_hi:[1,0,1]
	v_pk_fma_f16 v16, v16, v21, v62 op_sel:[0,1,0]
	;; [unrolled: 2-line block ×8, first 2 shown]
	ds_read2_b64 v[16:19], v60 offset1:32
	ds_read_b128 v[20:23], v49 offset:192
	s_waitcnt lgkmcnt(0)
	v_pk_fma_f16 v26, v16, v20, v26 op_sel_hi:[1,0,1]
	v_pk_fma_f16 v27, v16, v20, v27 op_sel:[0,1,0]
	v_pk_fma_f16 v24, v16, v21, v24 op_sel_hi:[1,0,1]
	v_pk_fma_f16 v16, v16, v21, v62 op_sel:[0,1,0]
	v_pk_fma_f16 v25, v17, v20, v25 op_sel_hi:[1,0,1]
	v_pk_fma_f16 v20, v17, v20, v63 op_sel:[0,1,0]
	v_pk_fma_f16 v61, v17, v21, v61 op_sel_hi:[1,0,1]
	v_pk_fma_f16 v17, v17, v21, v64 op_sel:[0,1,0]
	v_pk_fma_f16 v26, v18, v22, v26 op_sel_hi:[1,0,1]
	v_pk_fma_f16 v27, v18, v22, v27 op_sel:[0,1,0]
	v_pk_fma_f16 v24, v18, v23, v24 op_sel_hi:[1,0,1]
	v_pk_fma_f16 v62, v18, v23, v16 op_sel:[0,1,0]
	v_pk_fma_f16 v25, v19, v22, v25 op_sel_hi:[1,0,1]
	v_pk_fma_f16 v63, v19, v22, v20 op_sel:[0,1,0]
	v_pk_fma_f16 v61, v19, v23, v61 op_sel_hi:[1,0,1]
	v_pk_fma_f16 v64, v19, v23, v17 op_sel:[0,1,0]
	ds_read2_b64 v[16:19], v60 offset0:64 offset1:96
	ds_read_b128 v[20:23], v49 offset:208
	s_waitcnt lgkmcnt(0)
	v_pk_fma_f16 v26, v16, v20, v26 op_sel_hi:[1,0,1]
	v_pk_fma_f16 v27, v16, v20, v27 op_sel:[0,1,0]
	v_pk_fma_f16 v24, v16, v21, v24 op_sel_hi:[1,0,1]
	v_pk_fma_f16 v16, v16, v21, v62 op_sel:[0,1,0]
	v_pk_fma_f16 v25, v17, v20, v25 op_sel_hi:[1,0,1]
	v_pk_fma_f16 v20, v17, v20, v63 op_sel:[0,1,0]
	v_pk_fma_f16 v61, v17, v21, v61 op_sel_hi:[1,0,1]
	v_pk_fma_f16 v17, v17, v21, v64 op_sel:[0,1,0]
	v_pk_fma_f16 v26, v18, v22, v26 op_sel_hi:[1,0,1]
	v_pk_fma_f16 v27, v18, v22, v27 op_sel:[0,1,0]
	v_pk_fma_f16 v24, v18, v23, v24 op_sel_hi:[1,0,1]
	v_pk_fma_f16 v62, v18, v23, v16 op_sel:[0,1,0]
	v_pk_fma_f16 v25, v19, v22, v25 op_sel_hi:[1,0,1]
	v_pk_fma_f16 v63, v19, v22, v20 op_sel:[0,1,0]
	v_pk_fma_f16 v61, v19, v23, v61 op_sel_hi:[1,0,1]
	v_pk_fma_f16 v64, v19, v23, v17 op_sel:[0,1,0]
	ds_read2_b64 v[16:19], v60 offset0:128 offset1:160
	;; [unrolled: 19-line block ×3, first 2 shown]
	ds_read_b128 v[62:65], v49 offset:240
	s_waitcnt lgkmcnt(0)
	s_barrier
	v_pk_fma_f16 v19, v22, v62, v21 op_sel_hi:[1,0,1]
	v_pk_fma_f16 v21, v22, v62, v26 op_sel:[0,1,0]
	v_pk_fma_f16 v26, v22, v63, v27 op_sel_hi:[1,0,1]
	v_pk_fma_f16 v16, v22, v63, v16 op_sel:[0,1,0]
	;; [unrolled: 2-line block ×8, first 2 shown]
	v_add_co_u32_e32 v16, vcc, s25, v12
	v_mov_b32_e32 v17, s26
	v_addc_co_u32_e32 v17, vcc, v17, v13, vcc
	v_add_co_u32_e32 v16, vcc, v16, v57
	v_addc_co_u32_e32 v17, vcc, 0, v17, vcc
	global_load_dwordx4 v[62:65], v[16:17], off
	v_add_co_u32_e32 v16, vcc, s25, v14
	v_mov_b32_e32 v17, s26
	v_addc_co_u32_e32 v17, vcc, v17, v15, vcc
	v_add_co_u32_e32 v16, vcc, v16, v57
	v_addc_co_u32_e32 v17, vcc, 0, v17, vcc
	s_waitcnt vmcnt(0)
	ds_write_b128 v51, v[62:65]
	global_load_dwordx4 v[62:65], v[16:17], off
	s_waitcnt vmcnt(0)
	ds_write_b128 v52, v[62:65]
	s_waitcnt lgkmcnt(0)
	s_barrier
	ds_read2_b64 v[62:65], v50 offset1:32
	ds_read_b128 v[66:69], v49 offset:256
	ds_read_b128 v[70:73], v49 offset:272
	;; [unrolled: 1-line block ×4, first 2 shown]
	s_waitcnt lgkmcnt(3)
	v_pk_fma_f16 v16, v62, v66, v18 op_sel_hi:[1,0,1]
	v_pk_fma_f16 v17, v62, v66, v19 op_sel:[0,1,0]
	v_pk_fma_f16 v18, v62, v67, v20 op_sel_hi:[1,0,1]
	v_pk_fma_f16 v19, v62, v67, v21 op_sel:[0,1,0]
	;; [unrolled: 2-line block ×6, first 2 shown]
	ds_read2_b64 v[16:19], v50 offset0:64 offset1:96
	v_pk_fma_f16 v20, v65, v68, v20 op_sel_hi:[1,0,1]
	v_pk_fma_f16 v21, v65, v68, v21 op_sel:[0,1,0]
	v_pk_fma_f16 v22, v65, v69, v22 op_sel_hi:[1,0,1]
	v_pk_fma_f16 v23, v65, v69, v23 op_sel:[0,1,0]
	s_waitcnt lgkmcnt(0)
	v_pk_fma_f16 v24, v16, v70, v24 op_sel_hi:[1,0,1]
	v_pk_fma_f16 v25, v16, v70, v25 op_sel:[0,1,0]
	v_pk_fma_f16 v26, v16, v71, v26 op_sel_hi:[1,0,1]
	v_pk_fma_f16 v16, v16, v71, v27 op_sel:[0,1,0]
	;; [unrolled: 2-line block ×8, first 2 shown]
	ds_read2_b64 v[16:19], v50 offset0:128 offset1:160
	s_waitcnt lgkmcnt(0)
	v_pk_fma_f16 v23, v16, v74, v23 op_sel_hi:[1,0,1]
	v_pk_fma_f16 v24, v16, v74, v24 op_sel:[0,1,0]
	v_pk_fma_f16 v25, v16, v75, v25 op_sel_hi:[1,0,1]
	v_pk_fma_f16 v16, v16, v75, v26 op_sel:[0,1,0]
	;; [unrolled: 2-line block ×8, first 2 shown]
	ds_read2_b64 v[16:19], v50 offset0:192 offset1:224
	s_waitcnt lgkmcnt(0)
	v_pk_fma_f16 v23, v16, v78, v23 op_sel_hi:[1,0,1]
	v_pk_fma_f16 v24, v16, v78, v24 op_sel:[0,1,0]
	v_pk_fma_f16 v25, v16, v79, v25 op_sel_hi:[1,0,1]
	v_pk_fma_f16 v16, v16, v79, v26 op_sel:[0,1,0]
	;; [unrolled: 2-line block ×8, first 2 shown]
	ds_read2_b64 v[16:19], v58 offset1:32
	ds_read_b128 v[20:23], v49 offset:320
	s_waitcnt lgkmcnt(0)
	v_pk_fma_f16 v26, v16, v20, v26 op_sel_hi:[1,0,1]
	v_pk_fma_f16 v24, v16, v20, v24 op_sel:[0,1,0]
	v_pk_fma_f16 v25, v16, v21, v25 op_sel_hi:[1,0,1]
	v_pk_fma_f16 v16, v16, v21, v27 op_sel:[0,1,0]
	v_pk_fma_f16 v27, v17, v20, v61 op_sel_hi:[1,0,1]
	v_pk_fma_f16 v20, v17, v20, v62 op_sel:[0,1,0]
	v_pk_fma_f16 v61, v17, v21, v63 op_sel_hi:[1,0,1]
	v_pk_fma_f16 v17, v17, v21, v64 op_sel:[0,1,0]
	v_pk_fma_f16 v26, v18, v22, v26 op_sel_hi:[1,0,1]
	v_pk_fma_f16 v24, v18, v22, v24 op_sel:[0,1,0]
	v_pk_fma_f16 v25, v18, v23, v25 op_sel_hi:[1,0,1]
	v_pk_fma_f16 v62, v18, v23, v16 op_sel:[0,1,0]
	v_pk_fma_f16 v27, v19, v22, v27 op_sel_hi:[1,0,1]
	v_pk_fma_f16 v63, v19, v22, v20 op_sel:[0,1,0]
	v_pk_fma_f16 v61, v19, v23, v61 op_sel_hi:[1,0,1]
	v_pk_fma_f16 v64, v19, v23, v17 op_sel:[0,1,0]
	ds_read2_b64 v[16:19], v58 offset0:64 offset1:96
	ds_read_b128 v[20:23], v49 offset:336
	s_waitcnt lgkmcnt(0)
	v_pk_fma_f16 v26, v16, v20, v26 op_sel_hi:[1,0,1]
	v_pk_fma_f16 v24, v16, v20, v24 op_sel:[0,1,0]
	v_pk_fma_f16 v25, v16, v21, v25 op_sel_hi:[1,0,1]
	v_pk_fma_f16 v16, v16, v21, v62 op_sel:[0,1,0]
	v_pk_fma_f16 v27, v17, v20, v27 op_sel_hi:[1,0,1]
	v_pk_fma_f16 v20, v17, v20, v63 op_sel:[0,1,0]
	v_pk_fma_f16 v61, v17, v21, v61 op_sel_hi:[1,0,1]
	v_pk_fma_f16 v17, v17, v21, v64 op_sel:[0,1,0]
	v_pk_fma_f16 v26, v18, v22, v26 op_sel_hi:[1,0,1]
	v_pk_fma_f16 v24, v18, v22, v24 op_sel:[0,1,0]
	v_pk_fma_f16 v25, v18, v23, v25 op_sel_hi:[1,0,1]
	v_pk_fma_f16 v62, v18, v23, v16 op_sel:[0,1,0]
	v_pk_fma_f16 v27, v19, v22, v27 op_sel_hi:[1,0,1]
	v_pk_fma_f16 v63, v19, v22, v20 op_sel:[0,1,0]
	v_pk_fma_f16 v61, v19, v23, v61 op_sel_hi:[1,0,1]
	v_pk_fma_f16 v64, v19, v23, v17 op_sel:[0,1,0]
	ds_read2_b64 v[16:19], v58 offset0:128 offset1:160
	;; [unrolled: 19-line block ×3, first 2 shown]
	ds_read_b128 v[20:23], v49 offset:368
	s_waitcnt lgkmcnt(0)
	v_pk_fma_f16 v26, v16, v20, v26 op_sel_hi:[1,0,1]
	v_pk_fma_f16 v24, v16, v20, v24 op_sel:[0,1,0]
	v_pk_fma_f16 v25, v16, v21, v25 op_sel_hi:[1,0,1]
	v_pk_fma_f16 v16, v16, v21, v62 op_sel:[0,1,0]
	;; [unrolled: 2-line block ×8, first 2 shown]
	ds_read2_b64 v[16:19], v59 offset1:32
	ds_read_b128 v[20:23], v49 offset:384
	s_waitcnt lgkmcnt(0)
	v_pk_fma_f16 v26, v16, v20, v26 op_sel_hi:[1,0,1]
	v_pk_fma_f16 v24, v16, v20, v24 op_sel:[0,1,0]
	v_pk_fma_f16 v25, v16, v21, v25 op_sel_hi:[1,0,1]
	v_pk_fma_f16 v16, v16, v21, v62 op_sel:[0,1,0]
	v_pk_fma_f16 v27, v17, v20, v27 op_sel_hi:[1,0,1]
	v_pk_fma_f16 v20, v17, v20, v63 op_sel:[0,1,0]
	v_pk_fma_f16 v61, v17, v21, v61 op_sel_hi:[1,0,1]
	v_pk_fma_f16 v17, v17, v21, v64 op_sel:[0,1,0]
	v_pk_fma_f16 v26, v18, v22, v26 op_sel_hi:[1,0,1]
	v_pk_fma_f16 v24, v18, v22, v24 op_sel:[0,1,0]
	v_pk_fma_f16 v25, v18, v23, v25 op_sel_hi:[1,0,1]
	v_pk_fma_f16 v62, v18, v23, v16 op_sel:[0,1,0]
	v_pk_fma_f16 v27, v19, v22, v27 op_sel_hi:[1,0,1]
	v_pk_fma_f16 v63, v19, v22, v20 op_sel:[0,1,0]
	v_pk_fma_f16 v61, v19, v23, v61 op_sel_hi:[1,0,1]
	v_pk_fma_f16 v64, v19, v23, v17 op_sel:[0,1,0]
	ds_read2_b64 v[16:19], v59 offset0:64 offset1:96
	ds_read_b128 v[20:23], v49 offset:400
	s_waitcnt lgkmcnt(0)
	v_pk_fma_f16 v26, v16, v20, v26 op_sel_hi:[1,0,1]
	v_pk_fma_f16 v24, v16, v20, v24 op_sel:[0,1,0]
	v_pk_fma_f16 v25, v16, v21, v25 op_sel_hi:[1,0,1]
	v_pk_fma_f16 v16, v16, v21, v62 op_sel:[0,1,0]
	v_pk_fma_f16 v27, v17, v20, v27 op_sel_hi:[1,0,1]
	v_pk_fma_f16 v20, v17, v20, v63 op_sel:[0,1,0]
	v_pk_fma_f16 v61, v17, v21, v61 op_sel_hi:[1,0,1]
	v_pk_fma_f16 v17, v17, v21, v64 op_sel:[0,1,0]
	v_pk_fma_f16 v26, v18, v22, v26 op_sel_hi:[1,0,1]
	v_pk_fma_f16 v24, v18, v22, v24 op_sel:[0,1,0]
	v_pk_fma_f16 v25, v18, v23, v25 op_sel_hi:[1,0,1]
	v_pk_fma_f16 v62, v18, v23, v16 op_sel:[0,1,0]
	v_pk_fma_f16 v27, v19, v22, v27 op_sel_hi:[1,0,1]
	v_pk_fma_f16 v63, v19, v22, v20 op_sel:[0,1,0]
	v_pk_fma_f16 v61, v19, v23, v61 op_sel_hi:[1,0,1]
	v_pk_fma_f16 v64, v19, v23, v17 op_sel:[0,1,0]
	ds_read2_b64 v[16:19], v59 offset0:128 offset1:160
	;; [unrolled: 19-line block ×3, first 2 shown]
	ds_read_b128 v[20:23], v49 offset:432
	s_waitcnt lgkmcnt(0)
	v_pk_fma_f16 v26, v16, v20, v26 op_sel_hi:[1,0,1]
	v_pk_fma_f16 v24, v16, v20, v24 op_sel:[0,1,0]
	v_pk_fma_f16 v25, v16, v21, v25 op_sel_hi:[1,0,1]
	v_pk_fma_f16 v16, v16, v21, v62 op_sel:[0,1,0]
	;; [unrolled: 2-line block ×8, first 2 shown]
	ds_read2_b64 v[16:19], v60 offset1:32
	ds_read_b128 v[20:23], v49 offset:448
	s_waitcnt lgkmcnt(0)
	v_pk_fma_f16 v26, v16, v20, v26 op_sel_hi:[1,0,1]
	v_pk_fma_f16 v24, v16, v20, v24 op_sel:[0,1,0]
	v_pk_fma_f16 v25, v16, v21, v25 op_sel_hi:[1,0,1]
	v_pk_fma_f16 v16, v16, v21, v62 op_sel:[0,1,0]
	v_pk_fma_f16 v27, v17, v20, v27 op_sel_hi:[1,0,1]
	v_pk_fma_f16 v20, v17, v20, v63 op_sel:[0,1,0]
	v_pk_fma_f16 v61, v17, v21, v61 op_sel_hi:[1,0,1]
	v_pk_fma_f16 v17, v17, v21, v64 op_sel:[0,1,0]
	v_pk_fma_f16 v26, v18, v22, v26 op_sel_hi:[1,0,1]
	v_pk_fma_f16 v24, v18, v22, v24 op_sel:[0,1,0]
	v_pk_fma_f16 v25, v18, v23, v25 op_sel_hi:[1,0,1]
	v_pk_fma_f16 v62, v18, v23, v16 op_sel:[0,1,0]
	v_pk_fma_f16 v27, v19, v22, v27 op_sel_hi:[1,0,1]
	v_pk_fma_f16 v63, v19, v22, v20 op_sel:[0,1,0]
	v_pk_fma_f16 v61, v19, v23, v61 op_sel_hi:[1,0,1]
	v_pk_fma_f16 v64, v19, v23, v17 op_sel:[0,1,0]
	ds_read2_b64 v[16:19], v60 offset0:64 offset1:96
	ds_read_b128 v[20:23], v49 offset:464
	s_waitcnt lgkmcnt(0)
	v_pk_fma_f16 v26, v16, v20, v26 op_sel_hi:[1,0,1]
	v_pk_fma_f16 v24, v16, v20, v24 op_sel:[0,1,0]
	v_pk_fma_f16 v25, v16, v21, v25 op_sel_hi:[1,0,1]
	v_pk_fma_f16 v16, v16, v21, v62 op_sel:[0,1,0]
	v_pk_fma_f16 v27, v17, v20, v27 op_sel_hi:[1,0,1]
	v_pk_fma_f16 v20, v17, v20, v63 op_sel:[0,1,0]
	v_pk_fma_f16 v61, v17, v21, v61 op_sel_hi:[1,0,1]
	v_pk_fma_f16 v17, v17, v21, v64 op_sel:[0,1,0]
	v_pk_fma_f16 v26, v18, v22, v26 op_sel_hi:[1,0,1]
	v_pk_fma_f16 v24, v18, v22, v24 op_sel:[0,1,0]
	v_pk_fma_f16 v25, v18, v23, v25 op_sel_hi:[1,0,1]
	v_pk_fma_f16 v62, v18, v23, v16 op_sel:[0,1,0]
	v_pk_fma_f16 v27, v19, v22, v27 op_sel_hi:[1,0,1]
	v_pk_fma_f16 v63, v19, v22, v20 op_sel:[0,1,0]
	v_pk_fma_f16 v61, v19, v23, v61 op_sel_hi:[1,0,1]
	v_pk_fma_f16 v64, v19, v23, v17 op_sel:[0,1,0]
	ds_read2_b64 v[16:19], v60 offset0:128 offset1:160
	;; [unrolled: 19-line block ×3, first 2 shown]
	ds_read_b128 v[20:23], v49 offset:496
	s_waitcnt lgkmcnt(0)
	s_barrier
	s_load_dword s25, s[0:1], 0x4
	v_pk_fma_f16 v26, v16, v20, v26 op_sel_hi:[1,0,1]
	v_pk_fma_f16 v24, v16, v20, v24 op_sel:[0,1,0]
	v_pk_fma_f16 v25, v16, v21, v25 op_sel_hi:[1,0,1]
	v_pk_fma_f16 v16, v16, v21, v62 op_sel:[0,1,0]
	s_waitcnt lgkmcnt(0)
	s_lshl_b32 s25, s25, 6
	v_pk_fma_f16 v27, v17, v20, v27 op_sel_hi:[1,0,1]
	v_pk_fma_f16 v20, v17, v20, v63 op_sel:[0,1,0]
	v_pk_fma_f16 v65, v17, v21, v61 op_sel_hi:[1,0,1]
	v_pk_fma_f16 v17, v17, v21, v64 op_sel:[0,1,0]
	s_add_i32 s15, s25, s15
	v_pk_fma_f16 v63, v18, v22, v26 op_sel_hi:[1,0,1]
	v_pk_fma_f16 v62, v18, v22, v24 op_sel:[0,1,0]
	v_pk_fma_f16 v61, v18, v23, v25 op_sel_hi:[1,0,1]
	v_pk_fma_f16 v67, v18, v23, v16 op_sel:[0,1,0]
	;; [unrolled: 2-line block ×4, first 2 shown]
	s_cmp_ge_i32 s15, s30
	s_cbranch_scc0 .LBB37_9
.LBB37_10:
	v_cmp_lt_i32_e32 vcc, v40, v37
	v_cndmask_b32_e32 v8, v36, v40, vcc
	v_cmp_lt_i32_e32 vcc, v41, v37
	v_lshlrev_b32_e32 v11, 2, v8
	v_cndmask_b32_e32 v8, v36, v41, vcc
	v_cmp_lt_i32_e32 vcc, v42, v37
	v_lshlrev_b32_e32 v12, 2, v8
	v_cndmask_b32_e32 v8, v36, v42, vcc
	v_lshlrev_b32_e32 v13, 2, v8
	ds_bpermute_b32 v8, v11, v6
	ds_bpermute_b32 v9, v11, v7
	;; [unrolled: 1-line block ×4, first 2 shown]
	v_cmp_lt_i32_e32 vcc, v39, v37
	v_cndmask_b32_e32 v14, v36, v39, vcc
	s_waitcnt lgkmcnt(2)
	v_pk_add_f32 v[6:7], v[6:7], v[8:9]
	ds_bpermute_b32 v8, v12, v6
	s_waitcnt lgkmcnt(1)
	v_pk_add_f32 v[4:5], v[4:5], v[10:11]
	ds_bpermute_b32 v9, v12, v7
	ds_bpermute_b32 v10, v12, v4
	;; [unrolled: 1-line block ×3, first 2 shown]
	v_lshlrev_b32_e32 v12, 2, v14
	v_cmp_lt_i32_e32 vcc, v38, v37
	s_waitcnt lgkmcnt(2)
	v_pk_add_f32 v[6:7], v[6:7], v[8:9]
	ds_bpermute_b32 v8, v13, v6
	s_waitcnt lgkmcnt(1)
	v_pk_add_f32 v[4:5], v[4:5], v[10:11]
	ds_bpermute_b32 v9, v13, v7
	ds_bpermute_b32 v10, v13, v4
	;; [unrolled: 1-line block ×3, first 2 shown]
	v_cndmask_b32_e32 v13, v36, v38, vcc
	s_cmp_lg_u64 s[16:17], 0
	s_waitcnt lgkmcnt(2)
	v_pk_add_f32 v[6:7], v[6:7], v[8:9]
	ds_bpermute_b32 v8, v12, v6
	s_waitcnt lgkmcnt(1)
	v_pk_add_f32 v[4:5], v[4:5], v[10:11]
	ds_bpermute_b32 v9, v12, v7
	ds_bpermute_b32 v10, v12, v4
	;; [unrolled: 1-line block ×3, first 2 shown]
	v_lshlrev_b32_e32 v12, 2, v13
	s_cselect_b64 s[0:1], -1, 0
	s_waitcnt lgkmcnt(2)
	v_pk_add_f32 v[6:7], v[6:7], v[8:9]
	ds_bpermute_b32 v8, v12, v6
	s_waitcnt lgkmcnt(1)
	v_pk_add_f32 v[4:5], v[4:5], v[10:11]
	ds_bpermute_b32 v9, v12, v7
	ds_bpermute_b32 v10, v12, v4
	;; [unrolled: 1-line block ×3, first 2 shown]
	s_cmp_eq_u32 s7, 0
	s_cselect_b64 s[8:9], -1, 0
	s_and_b64 s[0:1], s[8:9], s[0:1]
	s_waitcnt lgkmcnt(2)
	v_pk_add_f32 v[6:7], v[6:7], v[8:9]
	s_waitcnt lgkmcnt(0)
	v_pk_add_f32 v[4:5], v[4:5], v[10:11]
	s_and_b64 vcc, exec, s[0:1]
	s_cbranch_vccz .LBB37_12
; %bb.11:
	s_ashr_i32 s29, s28, 31
	s_lshl_b64 s[0:1], s[28:29], 2
	s_add_u32 s0, s16, s0
	s_addc_u32 s1, s17, s1
	v_mov_b32_e32 v8, 0
	global_load_dwordx2 v[12:13], v8, s[0:1]
	v_max_f32_e32 v8, v1, v1
	v_max_f32_e32 v10, v0, v0
	;; [unrolled: 1-line block ×4, first 2 shown]
	s_mov_b32 s6, 0x3fb8aa3b
	s_mov_b32 s0, 0xc2ce8ed0
	;; [unrolled: 1-line block ×3, first 2 shown]
	v_mov_b32_e32 v14, 0x7f800000
	s_waitcnt vmcnt(0)
	v_max_f32_e32 v16, v13, v13
	v_max_f32_e32 v17, v12, v12
	;; [unrolled: 1-line block ×4, first 2 shown]
	v_pk_add_f32 v[0:1], v[0:1], v[8:9] neg_lo:[0,1] neg_hi:[0,1]
	v_max_f32_e32 v11, v11, v16
	v_max_f32_e32 v10, v15, v17
	v_mul_f32_e32 v17, 0x3fb8aa3b, v1
	v_pk_add_f32 v[2:3], v[2:3], v[10:11] neg_lo:[0,1] neg_hi:[0,1]
	v_mul_f32_e32 v18, 0x3fb8aa3b, v0
	v_fma_f32 v23, v1, s6, -v17
	v_rndne_f32_e32 v24, v17
	v_mul_f32_e32 v19, 0x3fb8aa3b, v3
	v_fma_f32 v25, v0, s6, -v18
	v_rndne_f32_e32 v26, v18
	v_fmac_f32_e32 v23, 0x32a5705f, v1
	v_sub_f32_e32 v17, v17, v24
	v_mul_f32_e32 v20, 0x3fb8aa3b, v2
	v_fma_f32 v27, v3, s6, -v19
	v_rndne_f32_e32 v36, v19
	v_fmac_f32_e32 v25, 0x32a5705f, v0
	v_sub_f32_e32 v18, v18, v26
	v_add_f32_e32 v17, v17, v23
	v_fma_f32 v37, v2, s6, -v20
	v_rndne_f32_e32 v38, v20
	v_cvt_i32_f32_e32 v24, v24
	v_fmac_f32_e32 v27, 0x32a5705f, v3
	v_sub_f32_e32 v19, v19, v36
	v_add_f32_e32 v18, v18, v25
	v_exp_f32_e32 v17, v17
	v_cvt_i32_f32_e32 v26, v26
	v_fmac_f32_e32 v37, 0x32a5705f, v2
	v_sub_f32_e32 v20, v20, v38
	v_add_f32_e32 v19, v19, v27
	v_exp_f32_e32 v18, v18
	v_cvt_i32_f32_e32 v36, v36
	v_add_f32_e32 v20, v20, v37
	v_exp_f32_e32 v19, v19
	v_cvt_i32_f32_e32 v38, v38
	v_exp_f32_e32 v20, v20
	v_ldexp_f32 v17, v17, v24
	v_cmp_ngt_f32_e32 vcc, s0, v1
	v_ldexp_f32 v18, v18, v26
	v_cndmask_b32_e32 v17, 0, v17, vcc
	v_cmp_ngt_f32_e32 vcc, s0, v0
	v_ldexp_f32 v19, v19, v36
	v_cndmask_b32_e32 v18, 0, v18, vcc
	;; [unrolled: 3-line block ×3, first 2 shown]
	v_cmp_ngt_f32_e32 vcc, s0, v2
	v_cndmask_b32_e32 v20, 0, v20, vcc
	v_cmp_nlt_f32_e32 vcc, s1, v1
	v_cndmask_b32_e32 v1, v14, v17, vcc
	v_cmp_nlt_f32_e32 vcc, s1, v0
	v_cndmask_b32_e32 v0, v14, v18, vcc
	v_sub_f32_e32 v15, v13, v11
	v_sub_f32_e32 v13, v13, v9
	v_cvt_f16_f32_e32 v17, v0
	v_sub_f32_e32 v16, v12, v10
	v_sub_f32_e32 v12, v12, v8
	v_mul_f32_e32 v21, 0x3fb8aa3b, v13
	v_mul_f32_e32 v22, 0x3fb8aa3b, v12
	v_fma_f32 v39, v13, s6, -v21
	v_rndne_f32_e32 v40, v21
	v_cvt_f16_f32_e32 v18, v1
	v_fma_f32 v41, v12, s6, -v22
	v_rndne_f32_e32 v42, v22
	v_fmac_f32_e32 v39, 0x32a5705f, v13
	v_sub_f32_e32 v21, v21, v40
	v_cmp_nlt_f32_e32 vcc, s1, v3
	v_fmac_f32_e32 v41, 0x32a5705f, v12
	v_add_f32_e32 v21, v21, v39
	v_cndmask_b32_e32 v3, v14, v19, vcc
	v_cmp_nlt_f32_e32 vcc, s1, v2
	v_pk_mul_f16 v63, v17, v63 op_sel_hi:[0,1]
	v_pk_mul_f16 v66, v17, v66 op_sel_hi:[0,1]
	v_sub_f32_e32 v17, v22, v42
	v_cvt_i32_f32_e32 v40, v40
	v_exp_f32_e32 v21, v21
	v_cndmask_b32_e32 v2, v14, v20, vcc
	v_add_f32_e32 v17, v17, v41
	v_cvt_f16_f32_e32 v19, v2
	v_pk_mul_f16 v62, v18, v62 op_sel_hi:[0,1]
	v_pk_mul_f16 v64, v18, v64 op_sel_hi:[0,1]
	v_exp_f32_e32 v17, v17
	v_cvt_i32_f32_e32 v18, v42
	v_cvt_f16_f32_e32 v20, v3
	v_ldexp_f32 v21, v21, v40
	v_cmp_ngt_f32_e32 vcc, s0, v13
	v_pk_mul_f16 v61, v19, v61 op_sel_hi:[0,1]
	v_pk_mul_f16 v68, v19, v68 op_sel_hi:[0,1]
	v_cndmask_b32_e32 v19, 0, v21, vcc
	v_cmp_nlt_f32_e32 vcc, s1, v13
	v_ldexp_f32 v17, v17, v18
	v_mul_f32_e32 v18, 0x3fb8aa3b, v15
	v_pk_mul_f16 v67, v20, v67 op_sel_hi:[0,1]
	v_pk_mul_f16 v65, v20, v65 op_sel_hi:[0,1]
	v_cndmask_b32_e32 v13, v14, v19, vcc
	v_fma_f32 v19, v15, s6, -v18
	v_rndne_f32_e32 v20, v18
	v_fmac_f32_e32 v19, 0x32a5705f, v15
	v_sub_f32_e32 v18, v18, v20
	v_add_f32_e32 v18, v18, v19
	v_exp_f32_e32 v18, v18
	v_cvt_i32_f32_e32 v19, v20
	v_cmp_ngt_f32_e32 vcc, s0, v12
	v_cndmask_b32_e32 v17, 0, v17, vcc
	v_cmp_nlt_f32_e32 vcc, s1, v12
	v_cndmask_b32_e32 v12, v14, v17, vcc
	v_ldexp_f32 v17, v18, v19
	v_mul_f32_e32 v18, 0x3fb8aa3b, v16
	v_fma_f32 v19, v16, s6, -v18
	v_rndne_f32_e32 v20, v18
	v_fmac_f32_e32 v19, 0x32a5705f, v16
	v_sub_f32_e32 v18, v18, v20
	v_add_f32_e32 v18, v18, v19
	v_exp_f32_e32 v18, v18
	v_cvt_i32_f32_e32 v19, v20
	v_cmp_ngt_f32_e32 vcc, s0, v15
	v_cndmask_b32_e32 v17, 0, v17, vcc
	v_cmp_nlt_f32_e32 vcc, s1, v15
	v_cndmask_b32_e32 v15, v14, v17, vcc
	v_ldexp_f32 v17, v18, v19
	v_cmp_ngt_f32_e32 vcc, s0, v16
	v_cndmask_b32_e32 v17, 0, v17, vcc
	v_cmp_nlt_f32_e32 vcc, s1, v16
	v_cndmask_b32_e32 v14, v14, v17, vcc
	v_pk_fma_f32 v[4:5], v[4:5], v[2:3], v[14:15]
	v_pk_fma_f32 v[6:7], v[6:7], v[0:1], v[12:13]
	v_pk_mov_b32 v[0:1], v[8:9], v[8:9] op_sel:[0,1]
	v_pk_mov_b32 v[2:3], v[10:11], v[10:11] op_sel:[0,1]
.LBB37_12:
	v_cmp_gt_i32_e32 vcc, s2, v35
	s_and_saveexec_b64 s[0:1], vcc
	s_cbranch_execz .LBB37_31
; %bb.13:
	s_load_dword s6, s[4:5], 0xd4
	v_mov_b32_e32 v8, 1.0
	s_waitcnt lgkmcnt(0)
	s_cmp_lg_u32 s6, 1
	s_cselect_b64 s[4:5], -1, 0
	s_cmp_eq_u32 s6, 1
	s_cselect_b64 s[8:9], -1, 0
	s_and_b64 vcc, exec, s[4:5]
	s_cbranch_vccnz .LBB37_15
; %bb.14:
	v_div_scale_f32 v8, s[0:1], v6, v6, 1.0
	v_rcp_f32_e32 v9, v8
	v_div_scale_f32 v10, vcc, 1.0, v6, 1.0
	v_fma_f32 v11, -v8, v9, 1.0
	v_fmac_f32_e32 v9, v11, v9
	v_mul_f32_e32 v11, v10, v9
	v_fma_f32 v12, -v8, v11, v10
	v_fmac_f32_e32 v11, v12, v9
	v_fma_f32 v8, -v8, v11, v10
	v_div_fmas_f32 v8, v8, v9, v11
	v_div_fixup_f32 v8, v8, v6, 1.0
.LBB37_15:
	s_mul_i32 s10, s33, s2
	s_add_i32 s10, s10, s14
	v_add_u32_e32 v9, s10, v33
	v_mul_lo_u32 v9, v9, s3
	v_add_u32_e32 v10, s28, v9
	v_mul_lo_u32 v10, s6, v10
	v_add_u32_e32 v10, s7, v10
	v_cvt_f32_f16_sdwa v15, v63 dst_sel:DWORD dst_unused:UNUSED_PAD src0_sel:WORD_1
	v_cvt_f32_f16_e32 v14, v63
	v_cvt_f32_f16_sdwa v17, v66 dst_sel:DWORD dst_unused:UNUSED_PAD src0_sel:WORD_1
	v_cvt_f32_f16_e32 v16, v66
	v_lshl_add_u32 v12, v10, 7, v32
	v_mov_b32_e32 v13, 0
	v_lshlrev_b64 v[12:13], 2, v[12:13]
	v_cmp_eq_u32_e32 vcc, 0, v34
	v_mov_b32_e32 v11, s21
	v_add_co_u32_e64 v18, s[0:1], s20, v12
	v_addc_co_u32_e64 v19, s[0:1], v11, v13, s[0:1]
	v_pk_mul_f32 v[12:13], v[8:9], v[14:15] op_sel_hi:[0,1]
	v_pk_mul_f32 v[14:15], v[8:9], v[16:17] op_sel_hi:[0,1]
	s_and_b64 s[4:5], vcc, s[4:5]
	global_store_dwordx4 v[18:19], v[12:15], off
	s_and_saveexec_b64 s[0:1], s[4:5]
	s_cbranch_execz .LBB37_17
; %bb.16:
	v_ashrrev_i32_e32 v11, 31, v10
	v_lshlrev_b64 v[10:11], 3, v[10:11]
	v_mov_b32_e32 v8, s23
	v_add_co_u32_e32 v10, vcc, s22, v10
	v_addc_co_u32_e32 v11, vcc, v8, v11, vcc
	v_mov_b32_e32 v12, v0
	v_mov_b32_e32 v13, v6
	global_store_dwordx2 v[10:11], v[12:13], off
.LBB37_17:
	s_or_b64 exec, exec, s[0:1]
	v_cndmask_b32_e64 v0, 0, 1, s[8:9]
	v_cmp_ne_u32_e64 s[0:1], 1, v0
	s_andn2_b64 vcc, exec, s[8:9]
	v_mov_b32_e32 v0, 1.0
	s_cbranch_vccnz .LBB37_19
; %bb.18:
	v_div_scale_f32 v0, s[8:9], v7, v7, 1.0
	v_rcp_f32_e32 v6, v0
	v_div_scale_f32 v8, vcc, 1.0, v7, 1.0
	v_fma_f32 v10, -v0, v6, 1.0
	v_fmac_f32_e32 v6, v10, v6
	v_mul_f32_e32 v10, v8, v6
	v_fma_f32 v11, -v0, v10, v8
	v_fmac_f32_e32 v10, v11, v6
	v_fma_f32 v0, -v0, v10, v8
	v_div_fmas_f32 v0, v0, v6, v10
	v_div_fixup_f32 v0, v0, v7, 1.0
.LBB37_19:
	s_add_i32 s11, s28, 1
	v_add_u32_e32 v6, s11, v9
	v_mul_lo_u32 v6, s6, v6
	v_add_u32_e32 v8, s7, v6
	v_cvt_f32_f16_sdwa v13, v62 dst_sel:DWORD dst_unused:UNUSED_PAD src0_sel:WORD_1
	v_cvt_f32_f16_e32 v12, v62
	v_cvt_f32_f16_sdwa v15, v64 dst_sel:DWORD dst_unused:UNUSED_PAD src0_sel:WORD_1
	v_cvt_f32_f16_e32 v14, v64
	v_lshl_add_u32 v10, v8, 7, v32
	v_mov_b32_e32 v11, 0
	v_lshlrev_b64 v[10:11], 2, v[10:11]
	v_mov_b32_e32 v6, s21
	v_add_co_u32_e32 v16, vcc, s20, v10
	v_addc_co_u32_e32 v17, vcc, v6, v11, vcc
	v_pk_mul_f32 v[10:11], v[0:1], v[12:13] op_sel_hi:[0,1]
	v_pk_mul_f32 v[12:13], v[0:1], v[14:15] op_sel_hi:[0,1]
	global_store_dwordx4 v[16:17], v[10:13], off
	s_and_saveexec_b64 s[8:9], s[4:5]
	s_cbranch_execz .LBB37_21
; %bb.20:
	v_ashrrev_i32_e32 v9, 31, v8
	v_lshlrev_b64 v[8:9], 3, v[8:9]
	v_mov_b32_e32 v0, s23
	v_add_co_u32_e32 v8, vcc, s22, v8
	v_addc_co_u32_e32 v9, vcc, v0, v9, vcc
	v_mov_b32_e32 v6, v1
	global_store_dwordx2 v[8:9], v[6:7], off
.LBB37_21:
	s_or_b64 exec, exec, s[8:9]
	v_cmp_gt_i32_e32 vcc, s2, v31
	s_and_b64 exec, exec, vcc
	s_cbranch_execz .LBB37_31
; %bb.22:
	s_and_b64 vcc, exec, s[0:1]
	v_mov_b32_e32 v6, 1.0
	s_cbranch_vccnz .LBB37_24
; %bb.23:
	v_div_scale_f32 v0, s[8:9], v4, v4, 1.0
	v_rcp_f32_e32 v1, v0
	v_div_scale_f32 v6, vcc, 1.0, v4, 1.0
	v_fma_f32 v7, -v0, v1, 1.0
	v_fmac_f32_e32 v1, v7, v1
	v_mul_f32_e32 v7, v6, v1
	v_fma_f32 v8, -v0, v7, v6
	v_fmac_f32_e32 v7, v8, v1
	v_fma_f32 v0, -v0, v7, v6
	v_div_fmas_f32 v0, v0, v1, v7
	v_div_fixup_f32 v6, v0, v4, 1.0
.LBB37_24:
	v_add_u32_e32 v0, s10, v30
	v_mul_lo_u32 v0, v0, s3
	v_add_u32_e32 v0, s28, v0
	v_mul_lo_u32 v0, s6, v0
	v_add_u32_e32 v0, s7, v0
	v_cvt_f32_f16_sdwa v11, v61 dst_sel:DWORD dst_unused:UNUSED_PAD src0_sel:WORD_1
	v_cvt_f32_f16_e32 v10, v61
	v_cvt_f32_f16_sdwa v13, v68 dst_sel:DWORD dst_unused:UNUSED_PAD src0_sel:WORD_1
	v_cvt_f32_f16_e32 v12, v68
	v_lshl_add_u32 v8, v0, 7, v32
	v_mov_b32_e32 v9, 0
	v_lshlrev_b64 v[8:9], 2, v[8:9]
	v_mov_b32_e32 v1, s21
	v_add_co_u32_e32 v14, vcc, s20, v8
	v_addc_co_u32_e32 v15, vcc, v1, v9, vcc
	v_pk_mul_f32 v[8:9], v[6:7], v[10:11] op_sel_hi:[0,1]
	v_pk_mul_f32 v[10:11], v[6:7], v[12:13] op_sel_hi:[0,1]
	global_store_dwordx4 v[14:15], v[8:11], off
	s_and_saveexec_b64 s[8:9], s[4:5]
	s_cbranch_execz .LBB37_26
; %bb.25:
	v_ashrrev_i32_e32 v1, 31, v0
	v_lshlrev_b64 v[0:1], 3, v[0:1]
	v_mov_b32_e32 v6, s23
	v_add_co_u32_e32 v0, vcc, s22, v0
	v_addc_co_u32_e32 v1, vcc, v6, v1, vcc
	v_mov_b32_e32 v6, v2
	v_mov_b32_e32 v7, v4
	global_store_dwordx2 v[0:1], v[6:7], off
.LBB37_26:
	s_or_b64 exec, exec, s[8:9]
	v_cmp_gt_i32_e32 vcc, s2, v29
	s_and_b64 exec, exec, vcc
	s_cbranch_execz .LBB37_31
; %bb.27:
	s_and_b64 vcc, exec, s[0:1]
	v_mov_b32_e32 v2, 1.0
	s_cbranch_vccnz .LBB37_29
; %bb.28:
	v_div_scale_f32 v0, s[0:1], v5, v5, 1.0
	v_rcp_f32_e32 v1, v0
	v_div_scale_f32 v2, vcc, 1.0, v5, 1.0
	v_fma_f32 v4, -v0, v1, 1.0
	v_fmac_f32_e32 v1, v4, v1
	v_mul_f32_e32 v4, v2, v1
	v_fma_f32 v6, -v0, v4, v2
	v_fmac_f32_e32 v4, v6, v1
	v_fma_f32 v0, -v0, v4, v2
	v_div_fmas_f32 v0, v0, v1, v4
	v_div_fixup_f32 v2, v0, v5, 1.0
.LBB37_29:
	v_add_u32_e32 v0, s10, v28
	v_mul_lo_u32 v0, v0, s3
	v_add_u32_e32 v0, s11, v0
	v_mul_lo_u32 v0, s6, v0
	v_add_u32_e32 v0, s7, v0
	v_cvt_f32_f16_sdwa v9, v67 dst_sel:DWORD dst_unused:UNUSED_PAD src0_sel:WORD_1
	v_cvt_f32_f16_e32 v8, v67
	v_cvt_f32_f16_sdwa v11, v65 dst_sel:DWORD dst_unused:UNUSED_PAD src0_sel:WORD_1
	v_cvt_f32_f16_e32 v10, v65
	v_lshl_add_u32 v6, v0, 7, v32
	v_mov_b32_e32 v7, 0
	v_lshlrev_b64 v[6:7], 2, v[6:7]
	v_mov_b32_e32 v1, s21
	v_add_co_u32_e32 v12, vcc, s20, v6
	v_addc_co_u32_e32 v13, vcc, v1, v7, vcc
	v_pk_mul_f32 v[6:7], v[2:3], v[8:9] op_sel_hi:[0,1]
	v_pk_mul_f32 v[8:9], v[2:3], v[10:11] op_sel_hi:[0,1]
	global_store_dwordx4 v[12:13], v[6:9], off
	s_and_b64 exec, exec, s[4:5]
	s_cbranch_execz .LBB37_31
; %bb.30:
	v_ashrrev_i32_e32 v1, 31, v0
	v_lshlrev_b64 v[0:1], 3, v[0:1]
	v_mov_b32_e32 v2, s23
	v_add_co_u32_e32 v0, vcc, s22, v0
	v_addc_co_u32_e32 v1, vcc, v2, v1, vcc
	v_mov_b32_e32 v4, v3
	global_store_dwordx2 v[0:1], v[4:5], off
.LBB37_31:
	s_endpgm
	.section	.rodata,"a",@progbits
	.p2align	6, 0x0
	.amdhsa_kernel _ZL15flash_attn_tileILi128ELi128ELi16ELi2ELb0EEvPKcS1_S1_S1_S1_PKiPfP15HIP_vector_typeIfLj2EEffffjfiS5_IjLj3EEiiiiiiiiiiiliiliiiiil
		.amdhsa_group_segment_fixed_size 21504
		.amdhsa_private_segment_fixed_size 0
		.amdhsa_kernarg_size 464
		.amdhsa_user_sgpr_count 6
		.amdhsa_user_sgpr_private_segment_buffer 1
		.amdhsa_user_sgpr_dispatch_ptr 0
		.amdhsa_user_sgpr_queue_ptr 0
		.amdhsa_user_sgpr_kernarg_segment_ptr 1
		.amdhsa_user_sgpr_dispatch_id 0
		.amdhsa_user_sgpr_flat_scratch_init 0
		.amdhsa_user_sgpr_kernarg_preload_length 0
		.amdhsa_user_sgpr_kernarg_preload_offset 0
		.amdhsa_user_sgpr_private_segment_size 0
		.amdhsa_uses_dynamic_stack 0
		.amdhsa_system_sgpr_private_segment_wavefront_offset 0
		.amdhsa_system_sgpr_workgroup_id_x 1
		.amdhsa_system_sgpr_workgroup_id_y 1
		.amdhsa_system_sgpr_workgroup_id_z 1
		.amdhsa_system_sgpr_workgroup_info 0
		.amdhsa_system_vgpr_workitem_id 1
		.amdhsa_next_free_vgpr 94
		.amdhsa_next_free_sgpr 41
		.amdhsa_accum_offset 96
		.amdhsa_reserve_vcc 1
		.amdhsa_reserve_flat_scratch 0
		.amdhsa_float_round_mode_32 0
		.amdhsa_float_round_mode_16_64 0
		.amdhsa_float_denorm_mode_32 3
		.amdhsa_float_denorm_mode_16_64 3
		.amdhsa_dx10_clamp 1
		.amdhsa_ieee_mode 1
		.amdhsa_fp16_overflow 0
		.amdhsa_tg_split 0
		.amdhsa_exception_fp_ieee_invalid_op 0
		.amdhsa_exception_fp_denorm_src 0
		.amdhsa_exception_fp_ieee_div_zero 0
		.amdhsa_exception_fp_ieee_overflow 0
		.amdhsa_exception_fp_ieee_underflow 0
		.amdhsa_exception_fp_ieee_inexact 0
		.amdhsa_exception_int_div_zero 0
	.end_amdhsa_kernel
	.section	.text._ZL15flash_attn_tileILi128ELi128ELi16ELi2ELb0EEvPKcS1_S1_S1_S1_PKiPfP15HIP_vector_typeIfLj2EEffffjfiS5_IjLj3EEiiiiiiiiiiiliiliiiiil,"axG",@progbits,_ZL15flash_attn_tileILi128ELi128ELi16ELi2ELb0EEvPKcS1_S1_S1_S1_PKiPfP15HIP_vector_typeIfLj2EEffffjfiS5_IjLj3EEiiiiiiiiiiiliiliiiiil,comdat
.Lfunc_end37:
	.size	_ZL15flash_attn_tileILi128ELi128ELi16ELi2ELb0EEvPKcS1_S1_S1_S1_PKiPfP15HIP_vector_typeIfLj2EEffffjfiS5_IjLj3EEiiiiiiiiiiiliiliiiiil, .Lfunc_end37-_ZL15flash_attn_tileILi128ELi128ELi16ELi2ELb0EEvPKcS1_S1_S1_S1_PKiPfP15HIP_vector_typeIfLj2EEffffjfiS5_IjLj3EEiiiiiiiiiiiliiliiiiil
                                        ; -- End function
	.section	.AMDGPU.csdata,"",@progbits
; Kernel info:
; codeLenInByte = 16332
; NumSgprs: 45
; NumVgprs: 94
; NumAgprs: 0
; TotalNumVgprs: 94
; ScratchSize: 0
; MemoryBound: 0
; FloatMode: 240
; IeeeMode: 1
; LDSByteSize: 21504 bytes/workgroup (compile time only)
; SGPRBlocks: 5
; VGPRBlocks: 11
; NumSGPRsForWavesPerEU: 45
; NumVGPRsForWavesPerEU: 94
; AccumOffset: 96
; Occupancy: 3
; WaveLimiterHint : 1
; COMPUTE_PGM_RSRC2:SCRATCH_EN: 0
; COMPUTE_PGM_RSRC2:USER_SGPR: 6
; COMPUTE_PGM_RSRC2:TRAP_HANDLER: 0
; COMPUTE_PGM_RSRC2:TGID_X_EN: 1
; COMPUTE_PGM_RSRC2:TGID_Y_EN: 1
; COMPUTE_PGM_RSRC2:TGID_Z_EN: 1
; COMPUTE_PGM_RSRC2:TIDIG_COMP_CNT: 1
; COMPUTE_PGM_RSRC3_GFX90A:ACCUM_OFFSET: 23
; COMPUTE_PGM_RSRC3_GFX90A:TG_SPLIT: 0
	.section	.text._ZL33flash_attn_stream_k_fixup_uniformILi128ELi16ELi2EEvPfPK15HIP_vector_typeIfLj2EEiiiiiiS1_IjLj3EES5_S5_,"axG",@progbits,_ZL33flash_attn_stream_k_fixup_uniformILi128ELi16ELi2EEvPfPK15HIP_vector_typeIfLj2EEiiiiiiS1_IjLj3EES5_S5_,comdat
	.globl	_ZL33flash_attn_stream_k_fixup_uniformILi128ELi16ELi2EEvPfPK15HIP_vector_typeIfLj2EEiiiiiiS1_IjLj3EES5_S5_ ; -- Begin function _ZL33flash_attn_stream_k_fixup_uniformILi128ELi16ELi2EEvPfPK15HIP_vector_typeIfLj2EEiiiiiiS1_IjLj3EES5_S5_
	.p2align	8
	.type	_ZL33flash_attn_stream_k_fixup_uniformILi128ELi16ELi2EEvPfPK15HIP_vector_typeIfLj2EEiiiiiiS1_IjLj3EES5_S5_,@function
_ZL33flash_attn_stream_k_fixup_uniformILi128ELi16ELi2EEvPfPK15HIP_vector_typeIfLj2EEiiiiiiS1_IjLj3EES5_S5_: ; @_ZL33flash_attn_stream_k_fixup_uniformILi128ELi16ELi2EEvPfPK15HIP_vector_typeIfLj2EEiiiiiiS1_IjLj3EES5_S5_
; %bb.0:
	s_load_dwordx8 s[12:19], s[4:5], 0x1c
	s_load_dwordx2 s[10:11], s[4:5], 0x10
	s_load_dwordx4 s[0:3], s[4:5], 0x3c
	s_waitcnt lgkmcnt(0)
	s_mul_hi_u32 s9, s15, s6
	s_add_i32 s9, s6, s9
	s_lshr_b32 s9, s9, s16
	s_mul_i32 s15, s9, s17
	s_sub_i32 s15, s6, s15
	s_mul_hi_u32 s16, s15, s18
	s_add_i32 s16, s15, s16
	s_lshr_b32 s16, s16, s19
	s_mul_i32 s0, s16, s0
	s_sub_i32 s0, s15, s0
	;; [unrolled: 5-line block ×3, first 2 shown]
	s_lshl_b32 s0, s17, 4
	s_lshl_b32 s15, s1, 1
	s_add_i32 s0, s0, s7
	s_cmp_lt_i32 s0, s10
	s_cselect_b64 s[0:1], -1, 0
	s_add_i32 s2, s15, s8
	s_cmp_lt_i32 s2, s13
	s_cselect_b64 s[2:3], -1, 0
	s_and_b64 s[0:1], s[0:1], s[2:3]
	s_andn2_b64 vcc, exec, s[0:1]
	s_cbranch_vccnz .LBB38_6
; %bb.1:
	s_load_dwordx4 s[0:3], s[4:5], 0x0
	s_mul_i32 s4, s9, s10
	s_add_i32 s4, s4, s7
	s_mul_i32 s4, s4, s11
	s_mul_i32 s16, s16, s13
	s_add_i32 s4, s4, s8
	s_add_i32 s4, s4, s16
	s_mul_i32 s5, s11, s17
	s_add_i32 s4, s4, s15
	s_lshl_b32 s5, s5, 11
	s_lshl_b32 s4, s4, 7
	s_add_i32 s5, s5, s4
	v_or_b32_e32 v2, s5, v0
	v_ashrrev_i32_e32 v3, 31, v2
	v_lshlrev_b64 v[2:3], 2, v[2:3]
	s_waitcnt lgkmcnt(0)
	v_mov_b32_e32 v1, s1
	v_add_co_u32_e32 v2, vcc, s0, v2
	v_addc_co_u32_e32 v3, vcc, v1, v3, vcc
	global_load_dword v8, v[2:3], off
	s_mul_i32 s9, s6, s14
	s_lshl_b32 s4, s7, 1
	s_add_i32 s11, s9, s14
	s_add_i32 s0, s4, s8
	s_lshl_b32 s1, s11, 5
	s_add_i32 s0, s0, s1
	s_sub_i32 s0, s0, 32
	s_ashr_i32 s1, s0, 31
	s_lshl_b64 s[0:1], s[0:1], 3
	s_add_u32 s0, s2, s0
	s_addc_u32 s1, s3, s1
	s_load_dword s5, s[0:1], 0x4
	s_add_i32 s10, s11, -2
	s_cmp_lt_i32 s10, s9
	s_cbranch_scc1 .LBB38_4
; %bb.2:
	s_lshl_b32 s16, s12, 7
	s_ashr_i32 s17, s16, 31
	s_lshl_b64 s[16:17], s[16:17], 2
	s_add_u32 s10, s2, s16
	s_addc_u32 s13, s3, s17
	s_add_i32 s6, s6, 1
	s_load_dword s0, s[0:1], 0x0
	s_mul_i32 s1, s14, s6
	s_lshl_b32 s7, s7, 8
	s_lshl_b32 s14, s8, 7
	s_lshl_b32 s6, s1, 12
	s_add_i32 s7, s14, s7
	s_lshl_b32 s1, s1, 5
	s_add_i32 s7, s7, s6
	s_add_i32 s1, s8, s1
	s_lshl_b32 s6, s12, 5
	s_add_i32 s1, s1, s6
	v_or_b32_e32 v0, s7, v0
	s_add_i32 s1, s1, s4
	s_add_i32 s11, s11, -1
	v_add_u32_e32 v0, 0xffffe000, v0
	s_sub_i32 s4, s1, 64
	s_waitcnt lgkmcnt(0)
	v_mov_b32_e32 v7, s5
	v_mov_b32_e32 v6, s0
	v_mov_b32_e32 v4, s13
	s_mov_b32 s6, 0x3fb8aa3b
	s_mov_b32 s7, 0xc2ce8ed0
	s_mov_b32 s8, 0x42b17218
	v_mov_b32_e32 v5, 0x7f800000
	s_mov_b32 s12, 0xc1a00000
.LBB38_3:                               ; =>This Inner Loop Header: Depth=1
	v_ashrrev_i32_e32 v1, 31, v0
	v_lshlrev_b64 v[10:11], 2, v[0:1]
	v_add_co_u32_e32 v10, vcc, s10, v10
	v_addc_co_u32_e32 v11, vcc, v4, v11, vcc
	global_load_dword v1, v[10:11], off
	s_ashr_i32 s5, s4, 31
	s_lshl_b64 s[0:1], s[4:5], 3
	s_add_u32 s0, s2, s0
	s_addc_u32 s1, s3, s1
	s_load_dwordx2 s[14:15], s[0:1], 0x0
	s_waitcnt vmcnt(1)
	v_mov_b32_e32 v9, v8
	v_max_f32_e32 v8, v6, v6
	v_mov_b32_e32 v10, v7
	s_add_i32 s11, s11, -1
	s_waitcnt lgkmcnt(0)
	v_max_f32_e64 v7, s14, s14
	v_max_f32_e32 v7, v8, v7
	v_sub_f32_e32 v11, s14, v7
	v_sub_f32_e32 v8, v6, v7
	v_mul_f32_e32 v12, 0x3fb8aa3b, v11
	v_mov_b32_e32 v6, v7
	v_mul_f32_e32 v7, 0x3fb8aa3b, v8
	v_fma_f32 v15, v11, s6, -v12
	v_rndne_f32_e32 v16, v12
	v_fma_f32 v13, v8, s6, -v7
	v_rndne_f32_e32 v14, v7
	v_fmac_f32_e32 v15, 0x32a5705f, v11
	v_sub_f32_e32 v12, v12, v16
	v_fmac_f32_e32 v13, 0x32a5705f, v8
	v_sub_f32_e32 v7, v7, v14
	v_add_f32_e32 v12, v12, v15
	v_cvt_i32_f32_e32 v16, v16
	v_add_f32_e32 v7, v7, v13
	v_exp_f32_e32 v12, v12
	v_cvt_i32_f32_e32 v14, v14
	v_exp_f32_e32 v7, v7
	v_cmp_ngt_f32_e32 vcc, s7, v11
	v_ldexp_f32 v12, v12, v16
	v_cmp_ngt_f32_e64 s[0:1], s7, v8
	v_ldexp_f32 v7, v7, v14
	v_cndmask_b32_e32 v12, 0, v12, vcc
	v_cmp_nlt_f32_e32 vcc, s8, v11
	v_cndmask_b32_e64 v7, 0, v7, s[0:1]
	v_cmp_nlt_f32_e64 s[0:1], s8, v8
	v_cndmask_b32_e32 v12, v5, v12, vcc
	v_cmp_le_f32_e32 vcc, s12, v11
	v_cndmask_b32_e64 v7, v5, v7, s[0:1]
	v_cmp_le_f32_e64 s[0:1], s12, v8
	v_cndmask_b32_e32 v8, 0, v12, vcc
	s_sub_i32 s4, s4, 32
	v_cndmask_b32_e64 v11, 0, v7, s[0:1]
	v_mul_f32_e32 v7, s15, v8
	v_add_u32_e32 v0, 0xfffff000, v0
	s_cmp_le_i32 s11, s9
	v_fmac_f32_e32 v7, v10, v11
	s_waitcnt vmcnt(0)
	v_mul_f32_e32 v8, v1, v8
	v_fmac_f32_e32 v8, v9, v11
	s_cbranch_scc0 .LBB38_3
	s_branch .LBB38_5
.LBB38_4:
	s_waitcnt lgkmcnt(0)
	v_mov_b32_e32 v7, s5
.LBB38_5:
	s_waitcnt vmcnt(0)
	v_div_scale_f32 v0, s[0:1], v7, v7, v8
	v_rcp_f32_e32 v1, v0
	v_div_scale_f32 v4, vcc, v8, v7, v8
	v_fma_f32 v5, -v0, v1, 1.0
	v_fmac_f32_e32 v1, v5, v1
	v_mul_f32_e32 v5, v4, v1
	v_fma_f32 v6, -v0, v5, v4
	v_fmac_f32_e32 v5, v6, v1
	v_fma_f32 v0, -v0, v5, v4
	v_div_fmas_f32 v0, v0, v1, v5
	v_div_fixup_f32 v0, v0, v7, v8
	global_store_dword v[2:3], v0, off
.LBB38_6:
	s_endpgm
	.section	.rodata,"a",@progbits
	.p2align	6, 0x0
	.amdhsa_kernel _ZL33flash_attn_stream_k_fixup_uniformILi128ELi16ELi2EEvPfPK15HIP_vector_typeIfLj2EEiiiiiiS1_IjLj3EES5_S5_
		.amdhsa_group_segment_fixed_size 0
		.amdhsa_private_segment_fixed_size 0
		.amdhsa_kernarg_size 76
		.amdhsa_user_sgpr_count 6
		.amdhsa_user_sgpr_private_segment_buffer 1
		.amdhsa_user_sgpr_dispatch_ptr 0
		.amdhsa_user_sgpr_queue_ptr 0
		.amdhsa_user_sgpr_kernarg_segment_ptr 1
		.amdhsa_user_sgpr_dispatch_id 0
		.amdhsa_user_sgpr_flat_scratch_init 0
		.amdhsa_user_sgpr_kernarg_preload_length 0
		.amdhsa_user_sgpr_kernarg_preload_offset 0
		.amdhsa_user_sgpr_private_segment_size 0
		.amdhsa_uses_dynamic_stack 0
		.amdhsa_system_sgpr_private_segment_wavefront_offset 0
		.amdhsa_system_sgpr_workgroup_id_x 1
		.amdhsa_system_sgpr_workgroup_id_y 1
		.amdhsa_system_sgpr_workgroup_id_z 1
		.amdhsa_system_sgpr_workgroup_info 0
		.amdhsa_system_vgpr_workitem_id 0
		.amdhsa_next_free_vgpr 17
		.amdhsa_next_free_sgpr 20
		.amdhsa_accum_offset 20
		.amdhsa_reserve_vcc 1
		.amdhsa_reserve_flat_scratch 0
		.amdhsa_float_round_mode_32 0
		.amdhsa_float_round_mode_16_64 0
		.amdhsa_float_denorm_mode_32 3
		.amdhsa_float_denorm_mode_16_64 3
		.amdhsa_dx10_clamp 1
		.amdhsa_ieee_mode 1
		.amdhsa_fp16_overflow 0
		.amdhsa_tg_split 0
		.amdhsa_exception_fp_ieee_invalid_op 0
		.amdhsa_exception_fp_denorm_src 0
		.amdhsa_exception_fp_ieee_div_zero 0
		.amdhsa_exception_fp_ieee_overflow 0
		.amdhsa_exception_fp_ieee_underflow 0
		.amdhsa_exception_fp_ieee_inexact 0
		.amdhsa_exception_int_div_zero 0
	.end_amdhsa_kernel
	.section	.text._ZL33flash_attn_stream_k_fixup_uniformILi128ELi16ELi2EEvPfPK15HIP_vector_typeIfLj2EEiiiiiiS1_IjLj3EES5_S5_,"axG",@progbits,_ZL33flash_attn_stream_k_fixup_uniformILi128ELi16ELi2EEvPfPK15HIP_vector_typeIfLj2EEiiiiiiS1_IjLj3EES5_S5_,comdat
.Lfunc_end38:
	.size	_ZL33flash_attn_stream_k_fixup_uniformILi128ELi16ELi2EEvPfPK15HIP_vector_typeIfLj2EEiiiiiiS1_IjLj3EES5_S5_, .Lfunc_end38-_ZL33flash_attn_stream_k_fixup_uniformILi128ELi16ELi2EEvPfPK15HIP_vector_typeIfLj2EEiiiiiiS1_IjLj3EES5_S5_
                                        ; -- End function
	.section	.AMDGPU.csdata,"",@progbits
; Kernel info:
; codeLenInByte = 856
; NumSgprs: 24
; NumVgprs: 17
; NumAgprs: 0
; TotalNumVgprs: 17
; ScratchSize: 0
; MemoryBound: 0
; FloatMode: 240
; IeeeMode: 1
; LDSByteSize: 0 bytes/workgroup (compile time only)
; SGPRBlocks: 2
; VGPRBlocks: 2
; NumSGPRsForWavesPerEU: 24
; NumVGPRsForWavesPerEU: 17
; AccumOffset: 20
; Occupancy: 8
; WaveLimiterHint : 0
; COMPUTE_PGM_RSRC2:SCRATCH_EN: 0
; COMPUTE_PGM_RSRC2:USER_SGPR: 6
; COMPUTE_PGM_RSRC2:TRAP_HANDLER: 0
; COMPUTE_PGM_RSRC2:TGID_X_EN: 1
; COMPUTE_PGM_RSRC2:TGID_Y_EN: 1
; COMPUTE_PGM_RSRC2:TGID_Z_EN: 1
; COMPUTE_PGM_RSRC2:TIDIG_COMP_CNT: 0
; COMPUTE_PGM_RSRC3_GFX90A:ACCUM_OFFSET: 4
; COMPUTE_PGM_RSRC3_GFX90A:TG_SPLIT: 0
	.section	.text._ZL33flash_attn_stream_k_fixup_generalILi128ELi16ELi2EEvPfPK15HIP_vector_typeIfLj2EEiiiiS1_IjLj3EES5_S5_S5_,"axG",@progbits,_ZL33flash_attn_stream_k_fixup_generalILi128ELi16ELi2EEvPfPK15HIP_vector_typeIfLj2EEiiiiS1_IjLj3EES5_S5_S5_,comdat
	.globl	_ZL33flash_attn_stream_k_fixup_generalILi128ELi16ELi2EEvPfPK15HIP_vector_typeIfLj2EEiiiiS1_IjLj3EES5_S5_S5_ ; -- Begin function _ZL33flash_attn_stream_k_fixup_generalILi128ELi16ELi2EEvPfPK15HIP_vector_typeIfLj2EEiiiiS1_IjLj3EES5_S5_S5_
	.p2align	8
	.type	_ZL33flash_attn_stream_k_fixup_generalILi128ELi16ELi2EEvPfPK15HIP_vector_typeIfLj2EEiiiiS1_IjLj3EES5_S5_S5_,@function
_ZL33flash_attn_stream_k_fixup_generalILi128ELi16ELi2EEvPfPK15HIP_vector_typeIfLj2EEiiiiS1_IjLj3EES5_S5_S5_: ; @_ZL33flash_attn_stream_k_fixup_generalILi128ELi16ELi2EEvPfPK15HIP_vector_typeIfLj2EEiiiiS1_IjLj3EES5_S5_S5_
; %bb.0:
	s_load_dwordx4 s[12:15], s[4:5], 0x10
	s_load_dword s9, s[4:5], 0x50
	s_mov_b32 s2, 0
	s_waitcnt lgkmcnt(0)
	s_mul_hi_i32 s3, s15, s6
	s_cmp_lg_u64 s[2:3], 0
	s_mul_i32 s2, s15, s6
	s_cbranch_scc0 .LBB39_21
; %bb.1:
	v_cvt_f32_u32_e32 v1, s9
	v_cvt_f32_ubyte0_e32 v2, 0
	s_sub_u32 s10, 0, s9
	s_subb_u32 s11, 0, 0
	v_madmk_f32 v1, v2, 0x4f800000, v1
	v_rcp_f32_e32 v1, v1
	v_mul_f32_e32 v1, 0x5f7ffffc, v1
	v_mul_f32_e32 v2, 0x2f800000, v1
	v_trunc_f32_e32 v2, v2
	v_madmk_f32 v1, v2, 0xcf800000, v1
	v_cvt_u32_f32_e32 v2, v2
	v_cvt_u32_f32_e32 v1, v1
	v_readfirstlane_b32 s16, v2
	v_readfirstlane_b32 s17, v1
	s_mul_i32 s18, s10, s16
	s_mul_hi_u32 s20, s10, s17
	s_mul_i32 s19, s11, s17
	s_add_i32 s18, s20, s18
	s_add_i32 s18, s18, s19
	s_mul_i32 s21, s10, s17
	s_mul_hi_u32 s19, s17, s18
	s_mul_i32 s20, s17, s18
	s_mul_hi_u32 s17, s17, s21
	s_add_u32 s17, s17, s20
	s_addc_u32 s19, 0, s19
	s_mul_hi_u32 s22, s16, s21
	s_mul_i32 s21, s16, s21
	s_add_u32 s17, s17, s21
	s_mul_hi_u32 s20, s16, s18
	s_addc_u32 s17, s19, s22
	s_addc_u32 s19, s20, 0
	s_mul_i32 s18, s16, s18
	s_add_u32 s17, s17, s18
	s_addc_u32 s18, 0, s19
	v_add_co_u32_e32 v1, vcc, s17, v1
	s_cmp_lg_u64 vcc, 0
	s_addc_u32 s16, s16, s18
	v_readfirstlane_b32 s18, v1
	s_mul_i32 s17, s10, s16
	s_mul_hi_u32 s19, s10, s18
	s_add_i32 s17, s19, s17
	s_mul_i32 s11, s11, s18
	s_add_i32 s17, s17, s11
	s_mul_i32 s10, s10, s18
	s_mul_hi_u32 s19, s16, s10
	s_mul_i32 s20, s16, s10
	s_mul_i32 s22, s18, s17
	s_mul_hi_u32 s10, s18, s10
	s_mul_hi_u32 s21, s18, s17
	s_add_u32 s10, s10, s22
	s_addc_u32 s18, 0, s21
	s_add_u32 s10, s10, s20
	s_mul_hi_u32 s11, s16, s17
	s_addc_u32 s10, s18, s19
	s_addc_u32 s11, s11, 0
	s_mul_i32 s17, s16, s17
	s_add_u32 s10, s10, s17
	s_addc_u32 s11, 0, s11
	v_add_co_u32_e32 v1, vcc, s10, v1
	s_cmp_lg_u64 vcc, 0
	s_addc_u32 s18, s16, s11
	s_ashr_i32 s10, s3, 31
	s_add_u32 s16, s2, s10
	s_mov_b32 s11, s10
	s_addc_u32 s17, s3, s10
	s_xor_b64 s[16:17], s[16:17], s[10:11]
	v_readfirstlane_b32 s20, v1
	s_mul_i32 s19, s16, s18
	s_mul_hi_u32 s21, s16, s20
	s_mul_hi_u32 s3, s16, s18
	s_add_u32 s19, s21, s19
	s_addc_u32 s3, 0, s3
	s_mul_hi_u32 s22, s17, s20
	s_mul_i32 s20, s17, s20
	s_add_u32 s19, s19, s20
	s_mul_hi_u32 s21, s17, s18
	s_addc_u32 s3, s3, s22
	s_addc_u32 s19, s21, 0
	s_mul_i32 s18, s17, s18
	s_add_u32 s3, s3, s18
	s_addc_u32 s18, 0, s19
	s_add_u32 s19, s3, 1
	s_addc_u32 s20, s18, 0
	s_add_u32 s21, s3, 2
	s_mul_i32 s23, s9, s18
	s_mul_hi_u32 s24, s9, s3
	s_addc_u32 s22, s18, 0
	s_add_i32 s24, s24, s23
	s_mul_i32 s23, s9, s3
	v_mov_b32_e32 v1, s23
	v_sub_co_u32_e32 v1, vcc, s16, v1
	s_cmp_lg_u64 vcc, 0
	s_subb_u32 s16, s17, s24
	v_subrev_co_u32_e32 v2, vcc, s9, v1
	s_cmp_lg_u64 vcc, 0
	s_subb_u32 s17, s16, 0
	v_readfirstlane_b32 s23, v2
	s_cmp_ge_u32 s23, s9
	s_cselect_b32 s23, -1, 0
	s_cmp_eq_u32 s17, 0
	s_cselect_b32 s17, s23, -1
	s_cmp_lg_u32 s17, 0
	s_cselect_b32 s17, s22, s20
	v_readfirstlane_b32 s20, v1
	s_cselect_b32 s19, s21, s19
	s_cmp_ge_u32 s20, s9
	s_cselect_b32 s20, -1, 0
	s_cmp_eq_u32 s16, 0
	s_cselect_b32 s16, s20, -1
	s_cmp_lg_u32 s16, 0
	s_cselect_b32 s17, s17, s18
	s_cselect_b32 s16, s19, s3
	s_xor_b64 s[16:17], s[16:17], s[10:11]
	s_sub_u32 s20, s16, s10
	s_load_dwordx4 s[16:19], s[4:5], 0x44
	s_cbranch_execnz .LBB39_3
.LBB39_2:
	v_cvt_f32_u32_e32 v1, s9
	s_sub_i32 s0, 0, s9
	v_rcp_iflag_f32_e32 v1, v1
	v_mul_f32_e32 v1, 0x4f7ffffe, v1
	v_cvt_u32_f32_e32 v1, v1
	v_readfirstlane_b32 s1, v1
	s_mul_i32 s0, s0, s1
	s_mul_hi_u32 s0, s1, s0
	s_add_i32 s1, s1, s0
	s_mul_hi_u32 s0, s2, s1
	s_mul_i32 s3, s0, s9
	s_sub_i32 s2, s2, s3
	s_add_i32 s1, s0, 1
	s_sub_i32 s3, s2, s9
	s_cmp_ge_u32 s2, s9
	s_cselect_b32 s0, s1, s0
	s_cselect_b32 s2, s3, s2
	s_add_i32 s1, s0, 1
	s_cmp_ge_u32 s2, s9
	s_cselect_b32 s20, s1, s0
.LBB39_3:
	s_add_i32 s0, s6, 1
	s_mul_hi_i32 s3, s15, s0
	s_mov_b32 s2, 0
	s_cmp_lg_u64 s[2:3], 0
	s_mul_i32 s2, s15, s0
	s_cbranch_scc0 .LBB39_22
; %bb.4:
	v_cvt_f32_u32_e32 v1, s9
	v_cvt_f32_ubyte0_e32 v2, 0
	s_sub_u32 s10, 0, s9
	s_subb_u32 s11, 0, 0
	v_madmk_f32 v1, v2, 0x4f800000, v1
	v_rcp_f32_e32 v1, v1
	v_mul_f32_e32 v1, 0x5f7ffffc, v1
	v_mul_f32_e32 v2, 0x2f800000, v1
	v_trunc_f32_e32 v2, v2
	v_madmk_f32 v1, v2, 0xcf800000, v1
	v_cvt_u32_f32_e32 v2, v2
	v_cvt_u32_f32_e32 v1, v1
	s_waitcnt lgkmcnt(0)
	v_readfirstlane_b32 s19, v2
	v_readfirstlane_b32 s21, v1
	s_mul_i32 s22, s10, s19
	s_mul_hi_u32 s24, s10, s21
	s_mul_i32 s23, s11, s21
	s_add_i32 s22, s24, s22
	s_add_i32 s22, s22, s23
	s_mul_i32 s25, s10, s21
	s_mul_hi_u32 s23, s21, s22
	s_mul_i32 s24, s21, s22
	s_mul_hi_u32 s21, s21, s25
	s_add_u32 s21, s21, s24
	s_addc_u32 s23, 0, s23
	s_mul_hi_u32 s26, s19, s25
	s_mul_i32 s25, s19, s25
	s_add_u32 s21, s21, s25
	s_mul_hi_u32 s24, s19, s22
	s_addc_u32 s21, s23, s26
	s_addc_u32 s23, s24, 0
	s_mul_i32 s22, s19, s22
	s_add_u32 s21, s21, s22
	s_addc_u32 s22, 0, s23
	v_add_co_u32_e32 v1, vcc, s21, v1
	s_cmp_lg_u64 vcc, 0
	s_addc_u32 s19, s19, s22
	v_readfirstlane_b32 s22, v1
	s_mul_i32 s21, s10, s19
	s_mul_hi_u32 s23, s10, s22
	s_add_i32 s21, s23, s21
	s_mul_i32 s11, s11, s22
	s_add_i32 s21, s21, s11
	s_mul_i32 s10, s10, s22
	s_mul_hi_u32 s23, s19, s10
	s_mul_i32 s24, s19, s10
	s_mul_i32 s26, s22, s21
	s_mul_hi_u32 s10, s22, s10
	s_mul_hi_u32 s25, s22, s21
	s_add_u32 s10, s10, s26
	s_addc_u32 s22, 0, s25
	s_add_u32 s10, s10, s24
	s_mul_hi_u32 s11, s19, s21
	s_addc_u32 s10, s22, s23
	s_addc_u32 s11, s11, 0
	s_mul_i32 s21, s19, s21
	s_add_u32 s10, s10, s21
	s_addc_u32 s11, 0, s11
	v_add_co_u32_e32 v1, vcc, s10, v1
	s_cmp_lg_u64 vcc, 0
	s_addc_u32 s19, s19, s11
	s_ashr_i32 s10, s3, 31
	s_add_u32 s22, s2, s10
	s_mov_b32 s11, s10
	s_addc_u32 s23, s3, s10
	s_xor_b64 s[22:23], s[22:23], s[10:11]
	v_readfirstlane_b32 s21, v1
	s_mul_i32 s11, s22, s19
	s_mul_hi_u32 s24, s22, s21
	s_mul_hi_u32 s3, s22, s19
	s_add_u32 s11, s24, s11
	s_addc_u32 s3, 0, s3
	s_mul_hi_u32 s25, s23, s21
	s_mul_i32 s21, s23, s21
	s_add_u32 s11, s11, s21
	s_mul_hi_u32 s24, s23, s19
	s_addc_u32 s3, s3, s25
	s_addc_u32 s11, s24, 0
	s_mul_i32 s19, s23, s19
	s_add_u32 s3, s3, s19
	s_addc_u32 s11, 0, s11
	s_mul_i32 s11, s9, s11
	s_mul_hi_u32 s24, s9, s3
	s_add_i32 s24, s24, s11
	s_mul_i32 s11, s9, s3
	v_mov_b32_e32 v1, s11
	s_add_u32 s19, s3, 1
	s_add_u32 s21, s3, 2
	v_sub_co_u32_e32 v1, vcc, s22, v1
	s_cmp_lg_u64 vcc, 0
	s_subb_u32 s11, s23, s24
	v_subrev_co_u32_e32 v2, vcc, s9, v1
	s_cmp_lg_u64 vcc, 0
	s_subb_u32 s22, s11, 0
	v_cmp_le_u32_e32 vcc, s9, v2
	s_cmp_eq_u32 s22, 0
	v_cndmask_b32_e64 v2, 0, -1, vcc
	s_cselect_b64 vcc, -1, 0
	v_cndmask_b32_e32 v2, -1, v2, vcc
	v_mov_b32_e32 v3, s19
	v_mov_b32_e32 v4, s21
	v_cmp_ne_u32_e32 vcc, 0, v2
	v_cndmask_b32_e32 v2, v3, v4, vcc
	v_cmp_le_u32_e32 vcc, s9, v1
	s_cmp_eq_u32 s11, 0
	v_cndmask_b32_e64 v1, 0, -1, vcc
	s_cselect_b64 vcc, -1, 0
	v_cndmask_b32_e32 v1, -1, v1, vcc
	v_mov_b32_e32 v3, s3
	v_cmp_ne_u32_e32 vcc, 0, v1
	v_cndmask_b32_e32 v1, v3, v2, vcc
	v_xor_b32_e32 v1, s10, v1
	v_subrev_co_u32_e32 v2, vcc, s10, v1
	s_cbranch_execnz .LBB39_6
.LBB39_5:
	v_cvt_f32_u32_e32 v1, s9
	s_sub_i32 s0, 0, s9
	s_mov_b32 s1, 0
	v_rcp_iflag_f32_e32 v1, v1
	v_mul_f32_e32 v1, 0x4f7ffffe, v1
	v_cvt_u32_f32_e32 v1, v1
	v_readfirstlane_b32 s3, v1
	s_mul_i32 s0, s0, s3
	s_mul_hi_u32 s0, s3, s0
	s_add_i32 s3, s3, s0
	s_mul_hi_u32 s0, s2, s3
	s_mul_i32 s10, s0, s9
	s_sub_i32 s2, s2, s10
	s_add_i32 s3, s0, 1
	s_sub_i32 s10, s2, s9
	s_cmp_ge_u32 s2, s9
	s_cselect_b32 s0, s3, s0
	s_cselect_b32 s2, s10, s2
	s_add_i32 s3, s0, 1
	s_cmp_ge_u32 s2, s9
	s_cselect_b32 s0, s3, s0
	v_pk_mov_b32 v[2:3], s[0:1], s[0:1] op_sel:[0,1]
.LBB39_6:
	s_waitcnt lgkmcnt(0)
	s_mul_hi_u32 s0, s20, s16
	s_add_i32 s0, s0, s20
	v_mul_hi_u32 v1, v2, s16
	s_lshr_b32 s19, s0, s17
	v_add_u32_e32 v1, v1, v2
	s_mul_i32 s0, s19, s18
	v_lshrrev_b32_e32 v1, s17, v1
	s_cmp_eq_u32 s0, s20
	v_cmp_eq_u32_e64 s[0:1], s19, v1
	v_mul_lo_u32 v1, v1, s18
	v_cmp_eq_u32_e32 vcc, s20, v2
	s_cselect_b64 s[10:11], -1, 0
	v_cmp_ne_u32_e64 s[2:3], v1, v2
	s_and_b64 s[0:1], s[0:1], s[2:3]
	s_or_b64 s[2:3], vcc, s[10:11]
	s_or_b64 s[0:1], s[2:3], s[0:1]
	s_and_b64 vcc, exec, s[0:1]
	s_cbranch_vccnz .LBB39_24
; %bb.7:
	s_load_dwordx8 s[24:31], s[4:5], 0x20
	s_load_dword s0, s[4:5], 0x40
	s_mov_b32 s10, 0
	s_waitcnt lgkmcnt(0)
	s_mul_hi_u32 s1, s20, s24
	s_add_i32 s1, s1, s20
	s_lshr_b32 s11, s1, s25
	s_mul_i32 s1, s11, s26
	s_sub_i32 s1, s20, s1
	s_mul_hi_u32 s2, s1, s27
	s_add_i32 s2, s1, s2
	s_lshr_b32 s24, s2, s28
	s_mul_i32 s2, s24, s29
	s_sub_i32 s1, s1, s2
	;; [unrolled: 5-line block ×3, first 2 shown]
	s_mul_hi_u32 s1, s0, s16
	s_add_i32 s0, s0, s1
	s_lshr_b32 s26, s0, s17
	s_lshl_b32 s0, s26, 4
	s_lshl_b32 s25, s2, 1
	s_add_i32 s0, s0, s7
	s_cmp_lt_i32 s0, s12
	s_cselect_b64 s[0:1], -1, 0
	s_add_i32 s2, s25, s8
	s_cmp_lt_i32 s2, s14
	s_cselect_b64 s[2:3], -1, 0
	s_and_b64 s[0:1], s[0:1], s[2:3]
	s_andn2_b64 vcc, exec, s[0:1]
	s_cbranch_vccnz .LBB39_24
; %bb.8:
	s_load_dwordx4 s[0:3], s[4:5], 0x0
	s_lshl_b32 s21, s7, 1
	s_lshl_b32 s4, s9, 7
	s_mov_b32 s5, s10
	s_add_i32 s21, s21, s8
	s_lshl_b64 s[4:5], s[4:5], 2
	s_waitcnt lgkmcnt(0)
	s_add_u32 s22, s2, s4
	s_mul_i32 s4, s11, s12
	s_addc_u32 s23, s3, s5
	s_add_i32 s4, s4, s7
	s_mul_i32 s4, s4, s13
	s_mul_i32 s24, s24, s14
	s_add_i32 s4, s4, s8
	s_add_i32 s4, s4, s24
	s_mul_i32 s5, s13, s26
	s_add_i32 s4, s4, s25
	s_lshl_b32 s5, s5, 11
	s_lshl_b32 s4, s4, 7
	s_add_i32 s5, s5, s4
	v_or_b32_e32 v2, s5, v0
	v_ashrrev_i32_e32 v3, 31, v2
	v_lshlrev_b64 v[2:3], 2, v[2:3]
	v_mov_b32_e32 v1, s1
	v_add_co_u32_e32 v2, vcc, s0, v2
	v_addc_co_u32_e32 v3, vcc, v1, v3, vcc
	global_load_dword v5, v[2:3], off
	v_lshl_or_b32 v4, s21, 7, v0
	v_cvt_f32_u32_e32 v0, s9
	v_cvt_f32_ubyte0_e32 v1, 0
	s_lshl_b32 s0, s6, 5
	s_add_i32 s0, s21, s0
	v_mac_f32_e32 v0, 0x4f800000, v1
	v_rcp_f32_e32 v0, v0
	v_cvt_f32_u32_e32 v1, s9
	s_ashr_i32 s1, s0, 31
	s_lshl_b64 s[0:1], s[0:1], 3
	v_mul_f32_e32 v0, 0x5f7ffffc, v0
	v_rcp_iflag_f32_e32 v1, v1
	s_add_u32 s0, s2, s0
	v_mul_f32_e32 v9, 0x2f800000, v0
	s_addc_u32 s1, s3, s1
	v_trunc_f32_e32 v10, v9
	s_load_dwordx2 s[0:1], s[0:1], 0x0
	v_mac_f32_e32 v0, 0xcf800000, v10
	v_cvt_u32_f32_e32 v9, v0
	v_mul_f32_e32 v0, 0x4f7ffffe, v1
	v_cvt_u32_f32_e32 v10, v10
	v_cvt_u32_f32_e32 v11, v0
	s_add_i32 s8, s6, -1
	s_waitcnt lgkmcnt(0)
	v_mov_b32_e32 v6, s1
	v_mov_b32_e32 v7, s0
	;; [unrolled: 1-line block ×3, first 2 shown]
	s_mov_b32 s6, 0x3fb8aa3b
	s_mov_b32 s7, 0xc2ce8ed0
	;; [unrolled: 1-line block ×4, first 2 shown]
	v_mov_b32_e32 v12, 0x7f800000
	s_mul_hi_i32 s11, s8, s15
	s_cmp_lg_u64 s[10:11], 0
	s_mul_i32 s4, s8, s15
	s_cbranch_scc0 .LBB39_15
.LBB39_9:
	s_sub_u32 s0, 0, s9
	v_readfirstlane_b32 s5, v9
	v_readfirstlane_b32 s24, v10
	s_subb_u32 s1, 0, 0
	s_mul_hi_u32 s20, s0, s5
	s_mul_i32 s25, s0, s24
	s_mul_i32 s14, s1, s5
	s_add_i32 s20, s20, s25
	s_add_i32 s20, s20, s14
	s_mul_i32 s26, s0, s5
	s_mul_hi_u32 s14, s5, s20
	s_mul_i32 s25, s5, s20
	s_mul_hi_u32 s5, s5, s26
	s_add_u32 s5, s5, s25
	s_addc_u32 s14, 0, s14
	s_mul_hi_u32 s27, s24, s26
	s_mul_i32 s26, s24, s26
	s_add_u32 s5, s5, s26
	s_mul_hi_u32 s25, s24, s20
	s_addc_u32 s5, s14, s27
	s_addc_u32 s14, s25, 0
	s_mul_i32 s20, s24, s20
	s_add_u32 s5, s5, s20
	s_addc_u32 s14, 0, s14
	v_add_co_u32_e32 v0, vcc, s5, v9
	s_cmp_lg_u64 vcc, 0
	s_addc_u32 s5, s24, s14
	v_readfirstlane_b32 s20, v0
	s_mul_i32 s14, s0, s5
	s_mul_hi_u32 s24, s0, s20
	s_add_i32 s14, s24, s14
	s_mul_i32 s1, s1, s20
	s_add_i32 s14, s14, s1
	s_mul_i32 s0, s0, s20
	s_mul_hi_u32 s24, s5, s0
	s_mul_i32 s25, s5, s0
	s_mul_i32 s27, s20, s14
	s_mul_hi_u32 s0, s20, s0
	s_mul_hi_u32 s26, s20, s14
	s_add_u32 s0, s0, s27
	s_addc_u32 s20, 0, s26
	s_add_u32 s0, s0, s25
	s_mul_hi_u32 s1, s5, s14
	s_addc_u32 s0, s20, s24
	s_addc_u32 s1, s1, 0
	s_mul_i32 s14, s5, s14
	s_add_u32 s0, s0, s14
	s_addc_u32 s1, 0, s1
	v_add_co_u32_e32 v0, vcc, s0, v0
	s_cmp_lg_u64 vcc, 0
	s_addc_u32 s5, s5, s1
	s_ashr_i32 s0, s11, 31
	s_add_u32 s24, s4, s0
	s_mov_b32 s1, s0
	s_addc_u32 s25, s11, s0
	s_xor_b64 s[24:25], s[24:25], s[0:1]
	v_readfirstlane_b32 s14, v0
	s_mul_i32 s11, s24, s5
	s_mul_hi_u32 s20, s24, s14
	s_mul_hi_u32 s1, s24, s5
	s_add_u32 s11, s20, s11
	s_addc_u32 s1, 0, s1
	s_mul_hi_u32 s26, s25, s14
	s_mul_i32 s14, s25, s14
	s_add_u32 s11, s11, s14
	s_mul_hi_u32 s20, s25, s5
	s_addc_u32 s1, s1, s26
	s_addc_u32 s11, s20, 0
	s_mul_i32 s5, s25, s5
	s_add_u32 s1, s1, s5
	s_addc_u32 s5, 0, s11
	s_mul_i32 s5, s9, s5
	s_mul_hi_u32 s20, s9, s1
	s_add_i32 s20, s20, s5
	s_mul_i32 s5, s9, s1
	v_mov_b32_e32 v0, s5
	s_add_u32 s11, s1, 1
	s_add_u32 s14, s1, 2
	v_sub_co_u32_e32 v0, vcc, s24, v0
	s_cmp_lg_u64 vcc, 0
	s_subb_u32 s5, s25, s20
	v_subrev_co_u32_e32 v1, vcc, s9, v0
	s_cmp_lg_u64 vcc, 0
	s_subb_u32 s20, s5, 0
	v_cmp_le_u32_e32 vcc, s9, v1
	s_cmp_eq_u32 s20, 0
	v_cndmask_b32_e64 v1, 0, -1, vcc
	s_cselect_b64 vcc, -1, 0
	v_cndmask_b32_e32 v1, -1, v1, vcc
	v_mov_b32_e32 v13, s11
	v_mov_b32_e32 v14, s14
	v_cmp_ne_u32_e32 vcc, 0, v1
	v_cndmask_b32_e32 v1, v13, v14, vcc
	v_cmp_le_u32_e32 vcc, s9, v0
	s_cmp_eq_u32 s5, 0
	v_cndmask_b32_e64 v0, 0, -1, vcc
	s_cselect_b64 vcc, -1, 0
	v_cndmask_b32_e32 v0, -1, v0, vcc
	v_mov_b32_e32 v13, s1
	v_cmp_ne_u32_e32 vcc, 0, v0
	v_cndmask_b32_e32 v0, v13, v1, vcc
	v_xor_b32_e32 v0, s0, v0
	v_subrev_co_u32_e32 v0, vcc, s0, v0
	s_cbranch_execnz .LBB39_11
.LBB39_10:
	s_sub_i32 s0, 0, s9
	v_mul_lo_u32 v0, s0, v11
	v_mul_hi_u32 v0, v11, v0
	v_add_u32_e32 v0, v11, v0
	v_mul_hi_u32 v0, s4, v0
	v_mul_lo_u32 v13, v0, s9
	v_sub_u32_e32 v13, s4, v13
	v_add_u32_e32 v1, 1, v0
	v_subrev_u32_e32 v14, s9, v13
	v_cmp_le_u32_e32 vcc, s9, v13
	v_cndmask_b32_e32 v13, v13, v14, vcc
	v_cndmask_b32_e32 v0, v0, v1, vcc
	v_add_u32_e32 v1, 1, v0
	v_cmp_le_u32_e32 vcc, s9, v13
	v_cndmask_b32_e32 v0, v0, v1, vcc
.LBB39_11:
	v_cmp_ne_u32_e32 vcc, v8, v0
	s_cbranch_vccz .LBB39_14
; %bb.12:
	s_add_i32 s0, s8, s9
	s_lshl_b32 s0, s0, 5
	v_mul_hi_u32 v1, v0, s16
	s_add_i32 s0, s0, s21
	s_mov_b32 s1, s10
	v_add_u32_e32 v1, v1, v0
	s_lshl_b64 s[0:1], s[0:1], 3
	v_lshrrev_b32_e32 v1, s17, v1
	s_add_u32 s4, s2, s0
	v_mul_lo_u32 v13, v1, s18
	s_addc_u32 s5, s3, s1
	v_cmp_eq_u32_e32 vcc, v13, v0
	v_cmp_gt_u32_e64 s[0:1], s19, v1
	s_or_b64 s[0:1], s[0:1], vcc
	s_and_b64 vcc, exec, s[0:1]
	s_cbranch_vccnz .LBB39_16
; %bb.13:
	s_add_i32 s11, s8, -1
	s_mov_b64 s[0:1], 0
	s_branch .LBB39_17
.LBB39_14:
                                        ; implicit-def: $sgpr0_sgpr1
                                        ; implicit-def: $vgpr14
                                        ; implicit-def: $vgpr1
                                        ; implicit-def: $vgpr13
                                        ; implicit-def: $sgpr11
                                        ; implicit-def: $vgpr0
	s_branch .LBB39_18
.LBB39_15:
                                        ; implicit-def: $vgpr0_vgpr1
	s_branch .LBB39_10
.LBB39_16:
	s_mov_b64 s[0:1], -1
	s_mov_b32 s11, s8
	v_mov_b32_e32 v0, v8
.LBB39_17:
	v_lshl_add_u32 v14, s8, 12, v4
	v_ashrrev_i32_e32 v15, 31, v14
	v_lshlrev_b64 v[14:15], 2, v[14:15]
	v_mov_b32_e32 v1, s23
	v_add_co_u32_e32 v14, vcc, s22, v14
	v_addc_co_u32_e32 v15, vcc, v1, v15, vcc
	global_load_dword v14, v[14:15], off
	s_load_dwordx2 s[4:5], s[4:5], 0x0
	v_max_f32_e32 v1, v7, v7
	s_waitcnt lgkmcnt(0)
	v_max_f32_e64 v13, s4, s4
	v_max_f32_e32 v1, v1, v13
	v_sub_f32_e32 v13, v7, v1
	v_sub_f32_e32 v15, s4, v1
	v_mul_f32_e32 v16, 0x3fb8aa3b, v13
	v_mul_f32_e32 v17, 0x3fb8aa3b, v15
	v_fma_f32 v18, v13, s6, -v16
	v_rndne_f32_e32 v19, v16
	v_fma_f32 v20, v15, s6, -v17
	v_rndne_f32_e32 v21, v17
	v_fmac_f32_e32 v18, 0x32a5705f, v13
	v_sub_f32_e32 v16, v16, v19
	v_fmac_f32_e32 v20, 0x32a5705f, v15
	v_sub_f32_e32 v17, v17, v21
	v_add_f32_e32 v16, v16, v18
	v_cvt_i32_f32_e32 v19, v19
	v_add_f32_e32 v17, v17, v20
	v_exp_f32_e32 v16, v16
	v_cvt_i32_f32_e32 v21, v21
	v_exp_f32_e32 v17, v17
	v_cmp_ngt_f32_e32 vcc, s7, v13
	v_ldexp_f32 v16, v16, v19
	v_cndmask_b32_e32 v16, 0, v16, vcc
	v_ldexp_f32 v17, v17, v21
	v_cmp_ngt_f32_e32 vcc, s7, v15
	v_cndmask_b32_e32 v17, 0, v17, vcc
	v_cmp_nlt_f32_e32 vcc, s12, v13
	v_cndmask_b32_e32 v16, v12, v16, vcc
	v_cmp_nlt_f32_e32 vcc, s12, v15
	v_cndmask_b32_e32 v17, v12, v17, vcc
	v_cmp_le_f32_e32 vcc, s13, v13
	v_cndmask_b32_e32 v16, 0, v16, vcc
	v_cmp_le_f32_e32 vcc, s13, v15
	v_cndmask_b32_e32 v15, 0, v17, vcc
	v_mul_f32_e32 v13, s5, v15
	v_fmac_f32_e32 v13, v6, v16
	s_waitcnt vmcnt(0)
	v_mul_f32_e32 v14, v14, v15
	v_fmac_f32_e32 v14, v5, v16
	s_cbranch_execnz .LBB39_19
.LBB39_18:
	s_add_i32 s11, s8, -1
	s_mov_b64 s[0:1], 0
	v_mov_b32_e32 v0, v8
	v_mov_b32_e32 v13, v6
	v_mov_b32_e32 v1, v7
	s_waitcnt vmcnt(0)
	v_mov_b32_e32 v14, v5
.LBB39_19:
	s_andn2_b64 vcc, exec, s[0:1]
	s_cbranch_vccz .LBB39_23
; %bb.20:
	v_mov_b32_e32 v8, v0
	s_mov_b32 s8, s11
	v_mov_b32_e32 v6, v13
	v_mov_b32_e32 v7, v1
	s_waitcnt vmcnt(0)
	v_mov_b32_e32 v5, v14
	s_mul_hi_i32 s11, s8, s15
	s_cmp_lg_u64 s[10:11], 0
	s_mul_i32 s4, s8, s15
	s_cbranch_scc1 .LBB39_9
	s_branch .LBB39_15
.LBB39_21:
                                        ; implicit-def: $sgpr20_sgpr21
	s_load_dwordx4 s[16:19], s[4:5], 0x44
	s_branch .LBB39_2
.LBB39_22:
                                        ; implicit-def: $vgpr2_vgpr3
	s_branch .LBB39_5
.LBB39_23:
	v_div_scale_f32 v0, s[0:1], v13, v13, v14
	v_rcp_f32_e32 v1, v0
	v_div_scale_f32 v4, vcc, v14, v13, v14
	s_waitcnt vmcnt(0)
	v_fma_f32 v5, -v0, v1, 1.0
	v_fmac_f32_e32 v1, v5, v1
	v_mul_f32_e32 v5, v4, v1
	v_fma_f32 v6, -v0, v5, v4
	v_fmac_f32_e32 v5, v6, v1
	v_fma_f32 v0, -v0, v5, v4
	v_div_fmas_f32 v0, v0, v1, v5
	v_div_fixup_f32 v0, v0, v13, v14
	global_store_dword v[2:3], v0, off
.LBB39_24:
	s_endpgm
	.section	.rodata,"a",@progbits
	.p2align	6, 0x0
	.amdhsa_kernel _ZL33flash_attn_stream_k_fixup_generalILi128ELi16ELi2EEvPfPK15HIP_vector_typeIfLj2EEiiiiS1_IjLj3EES5_S5_S5_
		.amdhsa_group_segment_fixed_size 0
		.amdhsa_private_segment_fixed_size 0
		.amdhsa_kernarg_size 336
		.amdhsa_user_sgpr_count 6
		.amdhsa_user_sgpr_private_segment_buffer 1
		.amdhsa_user_sgpr_dispatch_ptr 0
		.amdhsa_user_sgpr_queue_ptr 0
		.amdhsa_user_sgpr_kernarg_segment_ptr 1
		.amdhsa_user_sgpr_dispatch_id 0
		.amdhsa_user_sgpr_flat_scratch_init 0
		.amdhsa_user_sgpr_kernarg_preload_length 0
		.amdhsa_user_sgpr_kernarg_preload_offset 0
		.amdhsa_user_sgpr_private_segment_size 0
		.amdhsa_uses_dynamic_stack 0
		.amdhsa_system_sgpr_private_segment_wavefront_offset 0
		.amdhsa_system_sgpr_workgroup_id_x 1
		.amdhsa_system_sgpr_workgroup_id_y 1
		.amdhsa_system_sgpr_workgroup_id_z 1
		.amdhsa_system_sgpr_workgroup_info 0
		.amdhsa_system_vgpr_workitem_id 0
		.amdhsa_next_free_vgpr 22
		.amdhsa_next_free_sgpr 32
		.amdhsa_accum_offset 24
		.amdhsa_reserve_vcc 1
		.amdhsa_reserve_flat_scratch 0
		.amdhsa_float_round_mode_32 0
		.amdhsa_float_round_mode_16_64 0
		.amdhsa_float_denorm_mode_32 3
		.amdhsa_float_denorm_mode_16_64 3
		.amdhsa_dx10_clamp 1
		.amdhsa_ieee_mode 1
		.amdhsa_fp16_overflow 0
		.amdhsa_tg_split 0
		.amdhsa_exception_fp_ieee_invalid_op 0
		.amdhsa_exception_fp_denorm_src 0
		.amdhsa_exception_fp_ieee_div_zero 0
		.amdhsa_exception_fp_ieee_overflow 0
		.amdhsa_exception_fp_ieee_underflow 0
		.amdhsa_exception_fp_ieee_inexact 0
		.amdhsa_exception_int_div_zero 0
	.end_amdhsa_kernel
	.section	.text._ZL33flash_attn_stream_k_fixup_generalILi128ELi16ELi2EEvPfPK15HIP_vector_typeIfLj2EEiiiiS1_IjLj3EES5_S5_S5_,"axG",@progbits,_ZL33flash_attn_stream_k_fixup_generalILi128ELi16ELi2EEvPfPK15HIP_vector_typeIfLj2EEiiiiS1_IjLj3EES5_S5_S5_,comdat
.Lfunc_end39:
	.size	_ZL33flash_attn_stream_k_fixup_generalILi128ELi16ELi2EEvPfPK15HIP_vector_typeIfLj2EEiiiiS1_IjLj3EES5_S5_S5_, .Lfunc_end39-_ZL33flash_attn_stream_k_fixup_generalILi128ELi16ELi2EEvPfPK15HIP_vector_typeIfLj2EEiiiiS1_IjLj3EES5_S5_S5_
                                        ; -- End function
	.section	.AMDGPU.csdata,"",@progbits
; Kernel info:
; codeLenInByte = 2824
; NumSgprs: 36
; NumVgprs: 22
; NumAgprs: 0
; TotalNumVgprs: 22
; ScratchSize: 0
; MemoryBound: 0
; FloatMode: 240
; IeeeMode: 1
; LDSByteSize: 0 bytes/workgroup (compile time only)
; SGPRBlocks: 4
; VGPRBlocks: 2
; NumSGPRsForWavesPerEU: 36
; NumVGPRsForWavesPerEU: 22
; AccumOffset: 24
; Occupancy: 8
; WaveLimiterHint : 0
; COMPUTE_PGM_RSRC2:SCRATCH_EN: 0
; COMPUTE_PGM_RSRC2:USER_SGPR: 6
; COMPUTE_PGM_RSRC2:TRAP_HANDLER: 0
; COMPUTE_PGM_RSRC2:TGID_X_EN: 1
; COMPUTE_PGM_RSRC2:TGID_Y_EN: 1
; COMPUTE_PGM_RSRC2:TGID_Z_EN: 1
; COMPUTE_PGM_RSRC2:TIDIG_COMP_CNT: 0
; COMPUTE_PGM_RSRC3_GFX90A:ACCUM_OFFSET: 5
; COMPUTE_PGM_RSRC3_GFX90A:TG_SPLIT: 0
	.section	.text._ZL15flash_attn_tileILi128ELi128ELi8ELi2ELb0EEvPKcS1_S1_S1_S1_PKiPfP15HIP_vector_typeIfLj2EEffffjfiS5_IjLj3EEiiiiiiiiiiiliiliiiiil,"axG",@progbits,_ZL15flash_attn_tileILi128ELi128ELi8ELi2ELb0EEvPKcS1_S1_S1_S1_PKiPfP15HIP_vector_typeIfLj2EEffffjfiS5_IjLj3EEiiiiiiiiiiiliiliiiiil,comdat
	.globl	_ZL15flash_attn_tileILi128ELi128ELi8ELi2ELb0EEvPKcS1_S1_S1_S1_PKiPfP15HIP_vector_typeIfLj2EEffffjfiS5_IjLj3EEiiiiiiiiiiiliiliiiiil ; -- Begin function _ZL15flash_attn_tileILi128ELi128ELi8ELi2ELb0EEvPKcS1_S1_S1_S1_PKiPfP15HIP_vector_typeIfLj2EEffffjfiS5_IjLj3EEiiiiiiiiiiiliiliiiiil
	.p2align	8
	.type	_ZL15flash_attn_tileILi128ELi128ELi8ELi2ELb0EEvPKcS1_S1_S1_S1_PKiPfP15HIP_vector_typeIfLj2EEffffjfiS5_IjLj3EEiiiiiiiiiiiliiliiiiil,@function
_ZL15flash_attn_tileILi128ELi128ELi8ELi2ELb0EEvPKcS1_S1_S1_S1_PKiPfP15HIP_vector_typeIfLj2EEffffjfiS5_IjLj3EEiiiiiiiiiiiliiliiiiil: ; @_ZL15flash_attn_tileILi128ELi128ELi8ELi2ELb0EEvPKcS1_S1_S1_S1_PKiPfP15HIP_vector_typeIfLj2EEffffjfiS5_IjLj3EEiiiiiiiiiiiliiliiiiil
; %bb.0:
	s_load_dwordx4 s[24:27], s[4:5], 0x5c
	s_load_dwordx2 s[30:31], s[4:5], 0x80
	s_load_dwordx16 s[36:51], s[4:5], 0x0
	s_mov_b64 s[34:35], 0
	s_waitcnt lgkmcnt(0)
	s_lshr_b32 s0, s27, 31
	s_add_i32 s0, s27, s0
	s_ashr_i32 s0, s0, 1
	v_cvt_f32_u32_e32 v1, s0
	s_sub_i32 s1, 0, s0
	v_rcp_iflag_f32_e32 v1, v1
	v_mul_f32_e32 v1, 0x4f7ffffe, v1
	v_cvt_u32_f32_e32 v1, v1
	v_readfirstlane_b32 s2, v1
	s_mul_i32 s1, s1, s2
	s_mul_hi_u32 s1, s2, s1
	s_add_i32 s2, s2, s1
	s_mul_hi_u32 s1, s8, s2
	s_mul_i32 s2, s1, s0
	s_sub_i32 s2, s8, s2
	s_add_i32 s3, s1, 1
	s_sub_i32 s9, s2, s0
	s_cmp_ge_u32 s2, s0
	s_cselect_b32 s1, s3, s1
	s_cselect_b32 s2, s9, s2
	s_add_i32 s3, s1, 1
	s_cmp_ge_u32 s2, s0
	s_cselect_b32 s33, s3, s1
	s_abs_i32 s0, s31
	v_cvt_f32_u32_e32 v1, s0
	s_lshl_b32 s1, s8, 1
	s_mul_i32 s8, s33, s27
	s_sub_i32 s9, 0, s0
	v_rcp_iflag_f32_e32 v1, v1
	s_sub_i32 s28, s1, s8
	s_abs_i32 s3, s27
	s_xor_b32 s2, s27, s31
	v_mul_f32_e32 v1, 0x4f7ffffe, v1
	v_cvt_u32_f32_e32 v1, v1
	s_ashr_i32 s2, s2, 31
	v_readfirstlane_b32 s1, v1
	s_mul_i32 s9, s9, s1
	s_mul_hi_u32 s8, s1, s9
	s_add_i32 s1, s1, s8
	s_mul_hi_u32 s1, s3, s1
	s_mul_i32 s8, s1, s0
	s_sub_i32 s3, s3, s8
	s_add_i32 s9, s1, 1
	s_sub_i32 s8, s3, s0
	s_cmp_ge_u32 s3, s0
	s_cselect_b32 s1, s9, s1
	s_cselect_b32 s3, s8, s3
	s_add_i32 s8, s1, 1
	s_cmp_ge_u32 s3, s0
	s_cselect_b32 s0, s8, s1
	s_xor_b32 s0, s0, s2
	s_sub_i32 s11, s0, s2
	s_abs_i32 s10, s11
	v_cvt_f32_u32_e32 v1, s10
	s_load_dwordx2 s[8:9], s[4:5], 0xb8
	s_cmp_eq_u64 s[42:43], 0
	v_rcp_iflag_f32_e32 v1, v1
	v_mul_f32_e32 v1, 0x4f7ffffe, v1
	v_cvt_u32_f32_e32 v1, v1
	v_readfirstlane_b32 s12, v1
	s_cbranch_scc1 .LBB40_2
; %bb.1:
	s_waitcnt lgkmcnt(0)
	s_abs_i32 s2, s8
	v_cvt_f32_u32_e32 v1, s2
	s_sub_i32 s13, 0, s2
	s_abs_i32 s8, s33
	s_ashr_i32 s3, s33, 31
	v_rcp_iflag_f32_e32 v1, v1
	s_load_dwordx2 s[0:1], s[4:5], 0xc8
	v_mul_f32_e32 v1, 0x4f7ffffe, v1
	v_cvt_u32_f32_e32 v1, v1
	v_readfirstlane_b32 s14, v1
	s_mul_i32 s13, s13, s14
	s_mul_hi_u32 s13, s14, s13
	s_add_i32 s14, s14, s13
	s_mul_hi_u32 s13, s8, s14
	s_mul_i32 s13, s13, s2
	s_sub_i32 s8, s8, s13
	s_sub_i32 s13, s8, s2
	s_cmp_ge_u32 s8, s2
	s_cselect_b32 s8, s13, s8
	s_sub_i32 s13, s8, s2
	s_cmp_ge_u32 s8, s2
	s_cselect_b32 s2, s13, s8
	s_xor_b32 s2, s2, s3
	s_sub_i32 s2, s2, s3
	s_ashr_i32 s3, s2, 31
	s_waitcnt lgkmcnt(0)
	s_mul_i32 s1, s2, s1
	s_mul_hi_u32 s8, s2, s0
	s_add_i32 s1, s8, s1
	s_mul_i32 s3, s3, s0
	s_add_i32 s1, s1, s3
	s_mul_i32 s2, s2, s0
	s_add_u32 s34, s42, s2
	s_addc_u32 s35, s43, s1
.LBB40_2:
	s_load_dwordx4 s[0:3], s[4:5], 0x70
	v_bfe_u32 v1, v0, 10, 10
	v_lshl_add_u32 v21, s6, 3, v1
	v_mul_hi_u32 v2, s24, v21
	v_add_u32_e32 v2, v21, v2
	s_waitcnt lgkmcnt(0)
	s_mul_i32 s2, s33, s2
	s_ashr_i32 s8, s2, 31
	s_mul_i32 s3, s28, s1
	s_add_u32 s2, s36, s2
	s_addc_u32 s8, s37, s8
	s_ashr_i32 s13, s3, 31
	s_add_u32 s14, s2, s3
	v_lshrrev_b32_e32 v2, s25, v2
	s_addc_u32 s8, s8, s13
	v_mul_lo_u32 v2, v2, s26
	s_ashr_i32 s15, s0, 31
	v_mov_b32_e32 v3, s0
	v_sub_u32_e32 v2, v21, v2
	v_alignbit_b32 v3, s15, v3, 2
	v_mad_u64_u32 v[4:5], s[2:3], v3, v2, 0
	v_mov_b32_e32 v6, v5
	s_lshr_b32 s0, s15, 2
	v_mad_u64_u32 v[6:7], s[2:3], s0, v2, v[6:7]
	v_mov_b32_e32 v5, v6
	v_lshlrev_b64 v[4:5], 2, v[4:5]
	v_and_b32_e32 v20, 0x3ff, v0
	v_mov_b32_e32 v0, s8
	v_add_co_u32_e32 v3, vcc, s14, v4
	v_addc_co_u32_e32 v0, vcc, v0, v5, vcc
	v_lshlrev_b32_e32 v4, 4, v20
	v_add_co_u32_e32 v8, vcc, v3, v4
	s_ashr_i32 s13, s1, 31
	v_addc_co_u32_e32 v9, vcc, 0, v0, vcc
	s_and_b32 s0, s1, -4
	global_load_dwordx4 v[4:7], v[8:9], off
	v_mov_b32_e32 v0, s13
	v_add_co_u32_e32 v8, vcc, s0, v8
	v_addc_co_u32_e32 v9, vcc, v9, v0, vcc
	global_load_dwordx4 v[8:11], v[8:9], off
	s_load_dword s0, s[4:5], 0x40
	v_lshlrev_b32_e32 v0, 7, v1
	v_lshlrev_b32_e32 v3, 1, v20
	v_add_lshl_u32 v0, v3, v0, 2
	v_add_u32_e32 v0, 0x4000, v0
	s_cmp_eq_u64 s[46:47], 0
	s_waitcnt vmcnt(1) lgkmcnt(0)
	v_pk_mul_f32 v[4:5], v[4:5], s[0:1] op_sel_hi:[1,0]
	v_pk_mul_f32 v[6:7], v[6:7], s[0:1] op_sel_hi:[1,0]
	v_cvt_f16_f32_e32 v3, v5
	v_cvt_f16_f32_e32 v12, v4
	;; [unrolled: 1-line block ×4, first 2 shown]
	s_waitcnt vmcnt(0)
	v_pk_mul_f32 v[4:5], v[8:9], s[0:1] op_sel_hi:[1,0]
	v_pk_mul_f32 v[6:7], v[10:11], s[0:1] op_sel_hi:[1,0]
	v_cvt_f16_f32_e32 v8, v5
	v_cvt_f16_f32_e32 v7, v7
	;; [unrolled: 1-line block ×4, first 2 shown]
	v_pack_b32_f16 v5, v14, v13
	v_pack_b32_f16 v4, v12, v3
	;; [unrolled: 1-line block ×4, first 2 shown]
	ds_write2_b64 v0, v[4:5], v[6:7] offset0:128 offset1:160
	s_waitcnt lgkmcnt(0)
	s_barrier
	s_cbranch_scc1 .LBB40_4
; %bb.3:
	s_load_dword s0, s[4:5], 0xd0
	s_mov_b32 s1, 0
	s_waitcnt lgkmcnt(0)
	s_mul_i32 s0, s0, s33
	s_add_i32 s0, s0, s6
	s_lshl_b64 s[0:1], s[0:1], 2
	s_add_u32 s0, s46, s0
	s_addc_u32 s1, s47, s1
	s_load_dword s30, s[0:1], 0x0
.LBB40_4:
	s_lshl_b32 s29, s7, 6
	s_waitcnt lgkmcnt(0)
	s_cmp_lt_i32 s29, s30
	v_mbcnt_lo_u32_b32 v0, -1, 0
	s_cbranch_scc1 .LBB40_6
; %bb.5:
	v_mbcnt_hi_u32_b32 v25, -1, v0
	v_and_b32_e32 v3, 0x60, v25
	s_mov_b32 s0, 0xfeffffff
	s_mov_b32 s6, 0
	v_add_u32_e32 v55, 32, v3
	v_xor_b32_e32 v61, 16, v25
	v_xor_b32_e32 v60, 8, v25
	;; [unrolled: 1-line block ×5, first 2 shown]
	s_mov_b32 s1, s0
	s_mov_b64 s[2:3], 0
	s_branch .LBB40_7
.LBB40_6:
	s_mov_b64 s[2:3], -1
                                        ; implicit-def: $sgpr6
                                        ; implicit-def: $sgpr0_sgpr1
                                        ; implicit-def: $vgpr25
                                        ; implicit-def: $vgpr55
                                        ; implicit-def: $vgpr61
                                        ; implicit-def: $vgpr60
                                        ; implicit-def: $vgpr59
                                        ; implicit-def: $vgpr58
                                        ; implicit-def: $vgpr57
.LBB40_7:
	v_lshlrev_b32_e32 v54, 2, v20
	s_andn2_b64 vcc, exec, s[2:3]
	v_mov_b32_e32 v23, s6
	v_mov_b32_e32 v56, s6
	v_pk_mov_b32 v[44:45], s[0:1], s[0:1] op_sel:[0,1]
	v_mov_b32_e32 v64, s6
	v_mov_b32_e32 v22, s6
	;; [unrolled: 1-line block ×4, first 2 shown]
	s_cbranch_vccnz .LBB40_10
; %bb.8:
	s_sub_i32 s0, 0, s10
	s_mul_i32 s0, s0, s12
	s_mul_hi_u32 s0, s12, s0
	s_add_i32 s8, s12, s0
	s_load_dwordx2 s[12:13], s[4:5], 0x8c
	s_load_dwordx4 s[0:3], s[4:5], 0x98
	s_abs_i32 s6, s28
	s_mul_hi_u32 s8, s6, s8
	s_ashr_i32 s16, s28, 31
	s_waitcnt lgkmcnt(0)
	s_ashr_i32 s42, s12, 2
	s_ashr_i32 s31, s2, 2
	;; [unrolled: 1-line block ×4, first 2 shown]
	s_mul_i32 s1, s33, s1
	s_mul_hi_u32 s12, s33, s0
	s_add_i32 s1, s12, s1
	s_mul_i32 s12, s9, s0
	s_ashr_i32 s11, s11, 31
	s_add_i32 s1, s1, s12
	s_mul_i32 s0, s33, s0
	s_add_u32 s0, s38, s0
	s_mul_i32 s12, s8, s10
	s_addc_u32 s1, s39, s1
	s_sub_i32 s6, s6, s12
	s_xor_b32 s11, s16, s11
	s_add_i32 s12, s8, 1
	s_sub_i32 s16, s6, s10
	s_cmp_ge_u32 s6, s10
	s_cselect_b32 s8, s12, s8
	s_cselect_b32 s6, s16, s6
	s_add_i32 s12, s8, 1
	s_cmp_ge_u32 s6, s10
	s_cselect_b32 s6, s12, s8
	s_load_dwordx2 s[14:15], s[4:5], 0xa8
	s_xor_b32 s6, s6, s11
	s_sub_i32 s6, s6, s11
	s_mul_i32 s8, s6, s13
	s_ashr_i32 s10, s8, 31
	s_add_u32 s38, s0, s8
	s_addc_u32 s39, s1, s10
	s_waitcnt lgkmcnt(0)
	s_mul_i32 s0, s33, s15
	s_mul_hi_u32 s1, s33, s14
	s_add_i32 s0, s1, s0
	s_mul_i32 s9, s9, s14
	s_add_i32 s0, s0, s9
	s_mul_i32 s1, s33, s14
	s_add_u32 s1, s40, s1
	s_mul_i32 s6, s6, s3
	s_addc_u32 s0, s41, s0
	s_ashr_i32 s3, s6, 31
	s_add_u32 s40, s1, s6
	v_lshrrev_b32_e32 v3, 4, v20
	v_and_b32_e32 v4, 60, v54
	s_addc_u32 s41, s0, s3
	v_lshl_add_u32 v3, v1, 1, v3
	v_lshlrev_b32_e32 v5, 2, v4
	s_movk_i32 s0, 0x110
	v_mad_u32_u24 v62, v3, s0, v5
	v_mul_lo_u32 v6, s42, v3
	s_lshl_b32 s0, s42, 4
	v_add_u32_e32 v8, s0, v6
	v_add_u32_e32 v10, s0, v8
	;; [unrolled: 1-line block ×3, first 2 shown]
	v_mad_u64_u32 v[24:25], s[0:1], v2, s2, v[20:21]
	v_mov_b32_e32 v2, 0x5400
	v_mov_b32_e32 v14, 0x4400
	v_lshl_add_u32 v69, v1, 8, v2
	v_mul_lo_u32 v2, s31, v3
	s_lshl_b32 s0, s31, 4
	v_lshl_add_u32 v68, v1, 9, v14
	v_add_u32_e32 v14, s0, v2
	v_add_u32_e32 v18, s0, v14
	;; [unrolled: 1-line block ×3, first 2 shown]
	v_mbcnt_hi_u32_b32 v25, -1, v0
	v_mov_b32_e32 v17, 0
	v_ashrrev_i32_e32 v7, 31, v6
	v_ashrrev_i32_e32 v9, 31, v8
	;; [unrolled: 1-line block ×4, first 2 shown]
	v_lshl_or_b32 v70, v3, 8, v5
	v_ashrrev_i32_e32 v3, 31, v2
	v_ashrrev_i32_e32 v15, 31, v14
	;; [unrolled: 1-line block ×4, first 2 shown]
	v_lshlrev_b32_e32 v74, 3, v20
	s_add_u32 s36, s4, 0xd0
	v_mov_b32_e32 v42, 0xfeffffff
	v_and_b32_e32 v0, 0x60, v25
	v_add_u32_e32 v63, 0x1100, v62
	v_add_u32_e32 v65, 0x2200, v62
	;; [unrolled: 1-line block ×3, first 2 shown]
	v_mul_u32_u24_e32 v67, 0x110, v20
	v_add_u32_e32 v71, 0x1000, v70
	v_add_u32_e32 v72, 0x2000, v70
	;; [unrolled: 1-line block ×3, first 2 shown]
	s_addc_u32 s37, s5, 0
	v_lshlrev_b64 v[26:27], 2, v[6:7]
	v_lshlrev_b32_e32 v75, 2, v4
	v_lshlrev_b64 v[28:29], 2, v[8:9]
	v_lshlrev_b64 v[30:31], 2, v[10:11]
	;; [unrolled: 1-line block ×3, first 2 shown]
	v_add_u32_e32 v55, 32, v0
	v_xor_b32_e32 v61, 16, v25
	v_xor_b32_e32 v60, 8, v25
	v_xor_b32_e32 v59, 4, v25
	v_xor_b32_e32 v58, 2, v25
	v_xor_b32_e32 v57, 1, v25
	v_mov_b32_e32 v76, s35
	s_mov_b32 s6, 0x40051340
	s_mov_b32 s35, 0x3fb8aa3b
	;; [unrolled: 1-line block ×4, first 2 shown]
	v_mov_b32_e32 v77, 0x7f800000
	v_add_u32_e32 v78, v69, v54
	v_lshlrev_b64 v[34:35], 2, v[2:3]
	v_lshlrev_b64 v[36:37], 2, v[14:15]
	;; [unrolled: 1-line block ×4, first 2 shown]
	v_add_u32_e32 v79, 0x800, v74
	v_add_u32_e32 v80, 0x1000, v74
	v_add_u32_e32 v81, 0x1800, v74
	v_add_u32_e32 v82, 0x2000, v74
	v_add_u32_e32 v83, 0x2800, v74
	v_add_u32_e32 v84, 0x3000, v74
	v_add_u32_e32 v85, 0x3800, v74
	v_mov_b32_e32 v64, 0
	v_mov_b32_e32 v16, 0
	;; [unrolled: 1-line block ×6, first 2 shown]
.LBB40_9:                               ; =>This Inner Loop Header: Depth=1
	s_mul_hi_i32 s13, s29, s42
	s_mul_i32 s12, s29, s42
	v_add_u32_e32 v0, s29, v24
	v_cmp_lt_i32_e64 s[0:1], v60, v55
	v_cmp_lt_i32_e64 s[10:11], v58, v55
	v_cndmask_b32_e64 v3, v25, v60, s[0:1]
	s_lshl_b64 s[0:1], s[12:13], 2
	v_ashrrev_i32_e32 v1, 31, v0
	v_cmp_lt_i32_e32 vcc, v61, v55
	v_cmp_lt_i32_e64 s[2:3], v59, v55
	v_cmp_lt_i32_e64 s[8:9], v57, v55
	v_cndmask_b32_e64 v5, v25, v58, s[10:11]
	s_add_u32 s10, s38, s0
	v_lshlrev_b64 v[0:1], 1, v[0:1]
	s_mul_hi_i32 s15, s29, s31
	s_mul_i32 s14, s29, s31
	v_cndmask_b32_e32 v2, v25, v61, vcc
	v_cndmask_b32_e64 v4, v25, v59, s[2:3]
	v_cndmask_b32_e64 v6, v25, v57, s[8:9]
	s_addc_u32 s12, s39, s1
	v_add_co_u32_e32 v0, vcc, s34, v0
	v_lshlrev_b32_e32 v96, 2, v2
	v_lshlrev_b32_e32 v97, 2, v3
	;; [unrolled: 1-line block ×5, first 2 shown]
	s_lshl_b64 s[18:19], s[14:15], 2
	v_add_co_u32_e64 v2, s[0:1], s10, v28
	v_add_co_u32_e64 v3, s[2:3], s10, v30
	;; [unrolled: 1-line block ×4, first 2 shown]
	v_addc_co_u32_e32 v1, vcc, v76, v1, vcc
	v_mov_b32_e32 v6, s12
	v_mov_b32_e32 v7, s12
	;; [unrolled: 1-line block ×4, first 2 shown]
	s_add_u32 s18, s40, s18
	v_add_co_u32_e32 v14, vcc, v2, v75
	v_add_co_u32_e64 v90, s[12:13], v3, v75
	v_add_co_u32_e64 v92, s[14:15], v4, v75
	;; [unrolled: 1-line block ×3, first 2 shown]
	v_addc_co_u32_e64 v2, s[10:11], v6, v27, s[10:11]
	v_addc_co_u32_e64 v3, s[0:1], v7, v29, s[0:1]
	;; [unrolled: 1-line block ×4, first 2 shown]
	v_add_co_u32_e64 v6, s[0:1], s18, v34
	v_add_co_u32_e64 v7, s[2:3], s18, v36
	;; [unrolled: 1-line block ×4, first 2 shown]
	v_addc_co_u32_e64 v95, s[16:17], 0, v2, s[16:17]
	v_addc_co_u32_e32 v15, vcc, 0, v3, vcc
	v_addc_co_u32_e64 v91, vcc, 0, v4, s[12:13]
	v_addc_co_u32_e64 v93, vcc, 0, v5, s[14:15]
	v_add_co_u32_e32 v46, vcc, v7, v75
	v_add_co_u32_e64 v48, s[12:13], v8, v75
	v_add_co_u32_e64 v50, s[14:15], v9, v75
	;; [unrolled: 1-line block ×3, first 2 shown]
	global_load_dwordx4 v[2:5], v[94:95], off
	global_load_dwordx4 v[6:9], v[14:15], off
	global_load_dwordx4 v[10:13], v[90:91], off
	global_load_dwordx4 v[86:89], v[92:93], off
	v_mov_b32_e32 v18, 0
	v_mov_b32_e32 v44, 0
	;; [unrolled: 1-line block ×3, first 2 shown]
	s_waitcnt vmcnt(3)
	ds_write_b128 v62, v[2:5]
	s_waitcnt vmcnt(2)
	ds_write_b128 v63, v[6:9]
	;; [unrolled: 2-line block ×4, first 2 shown]
	s_waitcnt lgkmcnt(0)
	s_barrier
	ds_read_b128 v[2:5], v68
	ds_read_b128 v[6:9], v67
	ds_read_b128 v[10:13], v67 offset:8704
	ds_read_b128 v[86:89], v68 offset:256
	s_waitcnt lgkmcnt(2)
	;;#ASMSTART
	v_dot2_f32_f16 v18, v6, v2, v18
	;;#ASMEND
	;;#ASMSTART
	v_dot2_f32_f16 v18, v7, v3, v18
	;;#ASMEND
	;;#ASMSTART
	v_dot2_f32_f16 v18, v8, v4, v18
	;;#ASMEND
	;;#ASMSTART
	v_dot2_f32_f16 v18, v9, v5, v18
	;;#ASMEND
	s_waitcnt lgkmcnt(0)
	;;#ASMSTART
	v_dot2_f32_f16 v44, v6, v86, v44
	;;#ASMEND
	;;#ASMSTART
	v_dot2_f32_f16 v44, v7, v87, v44
	;;#ASMEND
	;;#ASMSTART
	v_dot2_f32_f16 v44, v8, v88, v44
	;;#ASMEND
	;;#ASMSTART
	v_dot2_f32_f16 v44, v9, v89, v44
	;;#ASMEND
	;;#ASMSTART
	v_dot2_f32_f16 v19, v10, v2, v19
	;;#ASMEND
	;;#ASMSTART
	v_dot2_f32_f16 v19, v11, v3, v19
	;;#ASMEND
	v_mov_b32_e32 v45, 0
	;;#ASMSTART
	v_dot2_f32_f16 v19, v12, v4, v19
	;;#ASMEND
	;;#ASMSTART
	v_dot2_f32_f16 v19, v13, v5, v19
	;;#ASMEND
	;;#ASMSTART
	v_dot2_f32_f16 v45, v10, v86, v45
	;;#ASMEND
	;;#ASMSTART
	v_dot2_f32_f16 v45, v11, v87, v45
	;;#ASMEND
	;;#ASMSTART
	v_dot2_f32_f16 v45, v12, v88, v45
	;;#ASMEND
	;;#ASMSTART
	v_dot2_f32_f16 v45, v13, v89, v45
	;;#ASMEND
	ds_read_b128 v[2:5], v68 offset:16
	ds_read_b128 v[6:9], v67 offset:16
	ds_read_b128 v[10:13], v67 offset:8720
	ds_read_b128 v[86:89], v68 offset:272
	s_waitcnt lgkmcnt(2)
	;;#ASMSTART
	v_dot2_f32_f16 v18, v6, v2, v18
	;;#ASMEND
	;;#ASMSTART
	v_dot2_f32_f16 v18, v7, v3, v18
	;;#ASMEND
	;;#ASMSTART
	v_dot2_f32_f16 v18, v8, v4, v18
	;;#ASMEND
	;;#ASMSTART
	v_dot2_f32_f16 v18, v9, v5, v18
	;;#ASMEND
	s_waitcnt lgkmcnt(0)
	;;#ASMSTART
	v_dot2_f32_f16 v44, v6, v86, v44
	;;#ASMEND
	;;#ASMSTART
	v_dot2_f32_f16 v44, v7, v87, v44
	;;#ASMEND
	;;#ASMSTART
	v_dot2_f32_f16 v44, v8, v88, v44
	;;#ASMEND
	;;#ASMSTART
	v_dot2_f32_f16 v44, v9, v89, v44
	;;#ASMEND
	;;#ASMSTART
	v_dot2_f32_f16 v19, v10, v2, v19
	;;#ASMEND
	;;#ASMSTART
	v_dot2_f32_f16 v19, v11, v3, v19
	;;#ASMEND
	;;#ASMSTART
	v_dot2_f32_f16 v19, v12, v4, v19
	;;#ASMEND
	;;#ASMSTART
	v_dot2_f32_f16 v19, v13, v5, v19
	;;#ASMEND
	;;#ASMSTART
	v_dot2_f32_f16 v45, v10, v86, v45
	;;#ASMEND
	;;#ASMSTART
	v_dot2_f32_f16 v45, v11, v87, v45
	;;#ASMEND
	;;#ASMSTART
	v_dot2_f32_f16 v45, v12, v88, v45
	;;#ASMEND
	;;#ASMSTART
	v_dot2_f32_f16 v45, v13, v89, v45
	;;#ASMEND
	ds_read_b128 v[2:5], v68 offset:32
	ds_read_b128 v[6:9], v67 offset:32
	ds_read_b128 v[10:13], v67 offset:8736
	ds_read_b128 v[86:89], v68 offset:288
	s_waitcnt lgkmcnt(2)
	;;#ASMSTART
	v_dot2_f32_f16 v18, v6, v2, v18
	;;#ASMEND
	;;#ASMSTART
	v_dot2_f32_f16 v18, v7, v3, v18
	;;#ASMEND
	;;#ASMSTART
	v_dot2_f32_f16 v18, v8, v4, v18
	;;#ASMEND
	;;#ASMSTART
	v_dot2_f32_f16 v18, v9, v5, v18
	;;#ASMEND
	s_waitcnt lgkmcnt(0)
	;;#ASMSTART
	v_dot2_f32_f16 v44, v6, v86, v44
	;;#ASMEND
	;;#ASMSTART
	v_dot2_f32_f16 v44, v7, v87, v44
	;;#ASMEND
	;;#ASMSTART
	v_dot2_f32_f16 v44, v8, v88, v44
	;;#ASMEND
	;;#ASMSTART
	v_dot2_f32_f16 v44, v9, v89, v44
	;;#ASMEND
	;;#ASMSTART
	v_dot2_f32_f16 v19, v10, v2, v19
	;;#ASMEND
	;;#ASMSTART
	v_dot2_f32_f16 v19, v11, v3, v19
	;;#ASMEND
	;;#ASMSTART
	v_dot2_f32_f16 v19, v12, v4, v19
	;;#ASMEND
	;;#ASMSTART
	v_dot2_f32_f16 v19, v13, v5, v19
	;;#ASMEND
	;;#ASMSTART
	v_dot2_f32_f16 v45, v10, v86, v45
	;;#ASMEND
	;;#ASMSTART
	v_dot2_f32_f16 v45, v11, v87, v45
	;;#ASMEND
	;;#ASMSTART
	v_dot2_f32_f16 v45, v12, v88, v45
	;;#ASMEND
	;;#ASMSTART
	v_dot2_f32_f16 v45, v13, v89, v45
	;;#ASMEND
	ds_read_b128 v[2:5], v68 offset:48
	ds_read_b128 v[6:9], v67 offset:48
	ds_read_b128 v[10:13], v67 offset:8752
	ds_read_b128 v[86:89], v68 offset:304
	s_waitcnt lgkmcnt(2)
	;;#ASMSTART
	v_dot2_f32_f16 v18, v6, v2, v18
	;;#ASMEND
	;;#ASMSTART
	v_dot2_f32_f16 v18, v7, v3, v18
	;;#ASMEND
	;;#ASMSTART
	v_dot2_f32_f16 v18, v8, v4, v18
	;;#ASMEND
	;;#ASMSTART
	v_dot2_f32_f16 v18, v9, v5, v18
	;;#ASMEND
	s_waitcnt lgkmcnt(0)
	;;#ASMSTART
	v_dot2_f32_f16 v44, v6, v86, v44
	;;#ASMEND
	;;#ASMSTART
	v_dot2_f32_f16 v44, v7, v87, v44
	;;#ASMEND
	;;#ASMSTART
	v_dot2_f32_f16 v44, v8, v88, v44
	;;#ASMEND
	;;#ASMSTART
	v_dot2_f32_f16 v44, v9, v89, v44
	;;#ASMEND
	;;#ASMSTART
	v_dot2_f32_f16 v19, v10, v2, v19
	;;#ASMEND
	;;#ASMSTART
	v_dot2_f32_f16 v19, v11, v3, v19
	;;#ASMEND
	;;#ASMSTART
	v_dot2_f32_f16 v19, v12, v4, v19
	;;#ASMEND
	;;#ASMSTART
	v_dot2_f32_f16 v19, v13, v5, v19
	;;#ASMEND
	;;#ASMSTART
	v_dot2_f32_f16 v45, v10, v86, v45
	;;#ASMEND
	;;#ASMSTART
	v_dot2_f32_f16 v45, v11, v87, v45
	;;#ASMEND
	;;#ASMSTART
	v_dot2_f32_f16 v45, v12, v88, v45
	;;#ASMEND
	;;#ASMSTART
	v_dot2_f32_f16 v45, v13, v89, v45
	;;#ASMEND
	ds_read_b128 v[2:5], v68 offset:64
	ds_read_b128 v[6:9], v67 offset:64
	ds_read_b128 v[10:13], v67 offset:8768
	ds_read_b128 v[86:89], v68 offset:320
	s_waitcnt lgkmcnt(2)
	;;#ASMSTART
	v_dot2_f32_f16 v18, v6, v2, v18
	;;#ASMEND
	;;#ASMSTART
	v_dot2_f32_f16 v18, v7, v3, v18
	;;#ASMEND
	;;#ASMSTART
	v_dot2_f32_f16 v18, v8, v4, v18
	;;#ASMEND
	;;#ASMSTART
	v_dot2_f32_f16 v18, v9, v5, v18
	;;#ASMEND
	s_waitcnt lgkmcnt(0)
	;;#ASMSTART
	v_dot2_f32_f16 v44, v6, v86, v44
	;;#ASMEND
	;;#ASMSTART
	v_dot2_f32_f16 v44, v7, v87, v44
	;;#ASMEND
	;;#ASMSTART
	v_dot2_f32_f16 v44, v8, v88, v44
	;;#ASMEND
	;;#ASMSTART
	v_dot2_f32_f16 v44, v9, v89, v44
	;;#ASMEND
	;;#ASMSTART
	v_dot2_f32_f16 v19, v10, v2, v19
	;;#ASMEND
	;;#ASMSTART
	v_dot2_f32_f16 v19, v11, v3, v19
	;;#ASMEND
	;;#ASMSTART
	v_dot2_f32_f16 v19, v12, v4, v19
	;;#ASMEND
	;;#ASMSTART
	v_dot2_f32_f16 v19, v13, v5, v19
	;;#ASMEND
	;;#ASMSTART
	v_dot2_f32_f16 v45, v10, v86, v45
	;;#ASMEND
	;;#ASMSTART
	v_dot2_f32_f16 v45, v11, v87, v45
	;;#ASMEND
	;;#ASMSTART
	v_dot2_f32_f16 v45, v12, v88, v45
	;;#ASMEND
	;;#ASMSTART
	v_dot2_f32_f16 v45, v13, v89, v45
	;;#ASMEND
	ds_read_b128 v[2:5], v68 offset:80
	ds_read_b128 v[6:9], v67 offset:80
	ds_read_b128 v[10:13], v67 offset:8784
	ds_read_b128 v[86:89], v68 offset:336
	s_waitcnt lgkmcnt(2)
	;;#ASMSTART
	v_dot2_f32_f16 v18, v6, v2, v18
	;;#ASMEND
	;;#ASMSTART
	v_dot2_f32_f16 v18, v7, v3, v18
	;;#ASMEND
	;;#ASMSTART
	v_dot2_f32_f16 v18, v8, v4, v18
	;;#ASMEND
	;;#ASMSTART
	v_dot2_f32_f16 v18, v9, v5, v18
	;;#ASMEND
	s_waitcnt lgkmcnt(0)
	;;#ASMSTART
	v_dot2_f32_f16 v44, v6, v86, v44
	;;#ASMEND
	;;#ASMSTART
	v_dot2_f32_f16 v44, v7, v87, v44
	;;#ASMEND
	;;#ASMSTART
	v_dot2_f32_f16 v44, v8, v88, v44
	;;#ASMEND
	;;#ASMSTART
	v_dot2_f32_f16 v44, v9, v89, v44
	;;#ASMEND
	;;#ASMSTART
	v_dot2_f32_f16 v19, v10, v2, v19
	;;#ASMEND
	;;#ASMSTART
	v_dot2_f32_f16 v19, v11, v3, v19
	;;#ASMEND
	;;#ASMSTART
	v_dot2_f32_f16 v19, v12, v4, v19
	;;#ASMEND
	;;#ASMSTART
	v_dot2_f32_f16 v19, v13, v5, v19
	;;#ASMEND
	;;#ASMSTART
	v_dot2_f32_f16 v45, v10, v86, v45
	;;#ASMEND
	;;#ASMSTART
	v_dot2_f32_f16 v45, v11, v87, v45
	;;#ASMEND
	;;#ASMSTART
	v_dot2_f32_f16 v45, v12, v88, v45
	;;#ASMEND
	;;#ASMSTART
	v_dot2_f32_f16 v45, v13, v89, v45
	;;#ASMEND
	ds_read_b128 v[2:5], v68 offset:96
	ds_read_b128 v[6:9], v67 offset:96
	ds_read_b128 v[10:13], v67 offset:8800
	ds_read_b128 v[86:89], v68 offset:352
	s_waitcnt lgkmcnt(2)
	;;#ASMSTART
	v_dot2_f32_f16 v18, v6, v2, v18
	;;#ASMEND
	;;#ASMSTART
	v_dot2_f32_f16 v18, v7, v3, v18
	;;#ASMEND
	;;#ASMSTART
	v_dot2_f32_f16 v18, v8, v4, v18
	;;#ASMEND
	;;#ASMSTART
	v_dot2_f32_f16 v18, v9, v5, v18
	;;#ASMEND
	s_waitcnt lgkmcnt(0)
	;;#ASMSTART
	v_dot2_f32_f16 v44, v6, v86, v44
	;;#ASMEND
	;;#ASMSTART
	v_dot2_f32_f16 v44, v7, v87, v44
	;;#ASMEND
	;;#ASMSTART
	v_dot2_f32_f16 v44, v8, v88, v44
	;;#ASMEND
	;;#ASMSTART
	v_dot2_f32_f16 v44, v9, v89, v44
	;;#ASMEND
	;;#ASMSTART
	v_dot2_f32_f16 v19, v10, v2, v19
	;;#ASMEND
	;;#ASMSTART
	v_dot2_f32_f16 v19, v11, v3, v19
	;;#ASMEND
	;;#ASMSTART
	v_dot2_f32_f16 v19, v12, v4, v19
	;;#ASMEND
	;;#ASMSTART
	v_dot2_f32_f16 v19, v13, v5, v19
	;;#ASMEND
	;;#ASMSTART
	v_dot2_f32_f16 v45, v10, v86, v45
	;;#ASMEND
	;;#ASMSTART
	v_dot2_f32_f16 v45, v11, v87, v45
	;;#ASMEND
	;;#ASMSTART
	v_dot2_f32_f16 v45, v12, v88, v45
	;;#ASMEND
	;;#ASMSTART
	v_dot2_f32_f16 v45, v13, v89, v45
	;;#ASMEND
	ds_read_b128 v[2:5], v68 offset:112
	ds_read_b128 v[6:9], v67 offset:112
	ds_read_b128 v[10:13], v67 offset:8816
	ds_read_b128 v[86:89], v68 offset:368
	s_waitcnt lgkmcnt(2)
	;;#ASMSTART
	v_dot2_f32_f16 v18, v6, v2, v18
	;;#ASMEND
	;;#ASMSTART
	v_dot2_f32_f16 v18, v7, v3, v18
	;;#ASMEND
	;;#ASMSTART
	v_dot2_f32_f16 v18, v8, v4, v18
	;;#ASMEND
	;;#ASMSTART
	v_dot2_f32_f16 v18, v9, v5, v18
	;;#ASMEND
	s_waitcnt lgkmcnt(0)
	;;#ASMSTART
	v_dot2_f32_f16 v44, v6, v86, v44
	;;#ASMEND
	;;#ASMSTART
	v_dot2_f32_f16 v44, v7, v87, v44
	;;#ASMEND
	;;#ASMSTART
	v_dot2_f32_f16 v44, v8, v88, v44
	;;#ASMEND
	;;#ASMSTART
	v_dot2_f32_f16 v44, v9, v89, v44
	;;#ASMEND
	;;#ASMSTART
	v_dot2_f32_f16 v19, v10, v2, v19
	;;#ASMEND
	;;#ASMSTART
	v_dot2_f32_f16 v19, v11, v3, v19
	;;#ASMEND
	;;#ASMSTART
	v_dot2_f32_f16 v19, v12, v4, v19
	;;#ASMEND
	;;#ASMSTART
	v_dot2_f32_f16 v19, v13, v5, v19
	;;#ASMEND
	;;#ASMSTART
	v_dot2_f32_f16 v45, v10, v86, v45
	;;#ASMEND
	;;#ASMSTART
	v_dot2_f32_f16 v45, v11, v87, v45
	;;#ASMEND
	;;#ASMSTART
	v_dot2_f32_f16 v45, v12, v88, v45
	;;#ASMEND
	;;#ASMSTART
	v_dot2_f32_f16 v45, v13, v89, v45
	;;#ASMEND
	ds_read_b128 v[2:5], v68 offset:128
	ds_read_b128 v[6:9], v67 offset:128
	ds_read_b128 v[10:13], v67 offset:8832
	ds_read_b128 v[86:89], v68 offset:384
	s_waitcnt lgkmcnt(2)
	;;#ASMSTART
	v_dot2_f32_f16 v18, v6, v2, v18
	;;#ASMEND
	;;#ASMSTART
	v_dot2_f32_f16 v18, v7, v3, v18
	;;#ASMEND
	;;#ASMSTART
	v_dot2_f32_f16 v18, v8, v4, v18
	;;#ASMEND
	;;#ASMSTART
	v_dot2_f32_f16 v18, v9, v5, v18
	;;#ASMEND
	s_waitcnt lgkmcnt(0)
	;;#ASMSTART
	v_dot2_f32_f16 v44, v6, v86, v44
	;;#ASMEND
	;;#ASMSTART
	v_dot2_f32_f16 v44, v7, v87, v44
	;;#ASMEND
	;;#ASMSTART
	v_dot2_f32_f16 v44, v8, v88, v44
	;;#ASMEND
	;;#ASMSTART
	v_dot2_f32_f16 v44, v9, v89, v44
	;;#ASMEND
	;;#ASMSTART
	v_dot2_f32_f16 v19, v10, v2, v19
	;;#ASMEND
	;;#ASMSTART
	v_dot2_f32_f16 v19, v11, v3, v19
	;;#ASMEND
	;;#ASMSTART
	v_dot2_f32_f16 v19, v12, v4, v19
	;;#ASMEND
	;;#ASMSTART
	v_dot2_f32_f16 v19, v13, v5, v19
	;;#ASMEND
	;;#ASMSTART
	v_dot2_f32_f16 v45, v10, v86, v45
	;;#ASMEND
	;;#ASMSTART
	v_dot2_f32_f16 v45, v11, v87, v45
	;;#ASMEND
	;;#ASMSTART
	v_dot2_f32_f16 v45, v12, v88, v45
	;;#ASMEND
	;;#ASMSTART
	v_dot2_f32_f16 v45, v13, v89, v45
	;;#ASMEND
	ds_read_b128 v[2:5], v68 offset:144
	ds_read_b128 v[6:9], v67 offset:144
	ds_read_b128 v[10:13], v67 offset:8848
	ds_read_b128 v[86:89], v68 offset:400
	s_waitcnt lgkmcnt(2)
	;;#ASMSTART
	v_dot2_f32_f16 v18, v6, v2, v18
	;;#ASMEND
	;;#ASMSTART
	v_dot2_f32_f16 v18, v7, v3, v18
	;;#ASMEND
	;;#ASMSTART
	v_dot2_f32_f16 v18, v8, v4, v18
	;;#ASMEND
	;;#ASMSTART
	v_dot2_f32_f16 v18, v9, v5, v18
	;;#ASMEND
	s_waitcnt lgkmcnt(0)
	;;#ASMSTART
	v_dot2_f32_f16 v44, v6, v86, v44
	;;#ASMEND
	;;#ASMSTART
	v_dot2_f32_f16 v44, v7, v87, v44
	;;#ASMEND
	;;#ASMSTART
	v_dot2_f32_f16 v44, v8, v88, v44
	;;#ASMEND
	;;#ASMSTART
	v_dot2_f32_f16 v44, v9, v89, v44
	;;#ASMEND
	;;#ASMSTART
	v_dot2_f32_f16 v19, v10, v2, v19
	;;#ASMEND
	;;#ASMSTART
	v_dot2_f32_f16 v19, v11, v3, v19
	;;#ASMEND
	;;#ASMSTART
	v_dot2_f32_f16 v19, v12, v4, v19
	;;#ASMEND
	;;#ASMSTART
	v_dot2_f32_f16 v19, v13, v5, v19
	;;#ASMEND
	;;#ASMSTART
	v_dot2_f32_f16 v45, v10, v86, v45
	;;#ASMEND
	;;#ASMSTART
	v_dot2_f32_f16 v45, v11, v87, v45
	;;#ASMEND
	;;#ASMSTART
	v_dot2_f32_f16 v45, v12, v88, v45
	;;#ASMEND
	;;#ASMSTART
	v_dot2_f32_f16 v45, v13, v89, v45
	;;#ASMEND
	ds_read_b128 v[2:5], v68 offset:160
	ds_read_b128 v[6:9], v67 offset:160
	ds_read_b128 v[10:13], v67 offset:8864
	ds_read_b128 v[86:89], v68 offset:416
	s_waitcnt lgkmcnt(2)
	;;#ASMSTART
	v_dot2_f32_f16 v18, v6, v2, v18
	;;#ASMEND
	;;#ASMSTART
	v_dot2_f32_f16 v18, v7, v3, v18
	;;#ASMEND
	;;#ASMSTART
	v_dot2_f32_f16 v18, v8, v4, v18
	;;#ASMEND
	;;#ASMSTART
	v_dot2_f32_f16 v18, v9, v5, v18
	;;#ASMEND
	s_waitcnt lgkmcnt(0)
	;;#ASMSTART
	v_dot2_f32_f16 v44, v6, v86, v44
	;;#ASMEND
	;;#ASMSTART
	v_dot2_f32_f16 v44, v7, v87, v44
	;;#ASMEND
	;;#ASMSTART
	v_dot2_f32_f16 v44, v8, v88, v44
	;;#ASMEND
	;;#ASMSTART
	v_dot2_f32_f16 v44, v9, v89, v44
	;;#ASMEND
	;;#ASMSTART
	v_dot2_f32_f16 v19, v10, v2, v19
	;;#ASMEND
	;;#ASMSTART
	v_dot2_f32_f16 v19, v11, v3, v19
	;;#ASMEND
	;;#ASMSTART
	v_dot2_f32_f16 v19, v12, v4, v19
	;;#ASMEND
	;;#ASMSTART
	v_dot2_f32_f16 v19, v13, v5, v19
	;;#ASMEND
	;;#ASMSTART
	v_dot2_f32_f16 v45, v10, v86, v45
	;;#ASMEND
	;;#ASMSTART
	v_dot2_f32_f16 v45, v11, v87, v45
	;;#ASMEND
	;;#ASMSTART
	v_dot2_f32_f16 v45, v12, v88, v45
	;;#ASMEND
	;;#ASMSTART
	v_dot2_f32_f16 v45, v13, v89, v45
	;;#ASMEND
	ds_read_b128 v[2:5], v68 offset:176
	ds_read_b128 v[6:9], v67 offset:176
	ds_read_b128 v[10:13], v67 offset:8880
	ds_read_b128 v[86:89], v68 offset:432
	s_waitcnt lgkmcnt(2)
	;;#ASMSTART
	v_dot2_f32_f16 v18, v6, v2, v18
	;;#ASMEND
	;;#ASMSTART
	v_dot2_f32_f16 v18, v7, v3, v18
	;;#ASMEND
	;;#ASMSTART
	v_dot2_f32_f16 v18, v8, v4, v18
	;;#ASMEND
	;;#ASMSTART
	v_dot2_f32_f16 v18, v9, v5, v18
	;;#ASMEND
	s_waitcnt lgkmcnt(0)
	;;#ASMSTART
	v_dot2_f32_f16 v44, v6, v86, v44
	;;#ASMEND
	;;#ASMSTART
	v_dot2_f32_f16 v44, v7, v87, v44
	;;#ASMEND
	;;#ASMSTART
	v_dot2_f32_f16 v44, v8, v88, v44
	;;#ASMEND
	;;#ASMSTART
	v_dot2_f32_f16 v44, v9, v89, v44
	;;#ASMEND
	;;#ASMSTART
	v_dot2_f32_f16 v19, v10, v2, v19
	;;#ASMEND
	;;#ASMSTART
	v_dot2_f32_f16 v19, v11, v3, v19
	;;#ASMEND
	;;#ASMSTART
	v_dot2_f32_f16 v19, v12, v4, v19
	;;#ASMEND
	;;#ASMSTART
	v_dot2_f32_f16 v19, v13, v5, v19
	;;#ASMEND
	;;#ASMSTART
	v_dot2_f32_f16 v45, v10, v86, v45
	;;#ASMEND
	;;#ASMSTART
	v_dot2_f32_f16 v45, v11, v87, v45
	;;#ASMEND
	;;#ASMSTART
	v_dot2_f32_f16 v45, v12, v88, v45
	;;#ASMEND
	;;#ASMSTART
	v_dot2_f32_f16 v45, v13, v89, v45
	;;#ASMEND
	ds_read_b128 v[2:5], v68 offset:192
	ds_read_b128 v[6:9], v67 offset:192
	ds_read_b128 v[10:13], v67 offset:8896
	ds_read_b128 v[86:89], v68 offset:448
	s_waitcnt lgkmcnt(2)
	;;#ASMSTART
	v_dot2_f32_f16 v18, v6, v2, v18
	;;#ASMEND
	;;#ASMSTART
	v_dot2_f32_f16 v18, v7, v3, v18
	;;#ASMEND
	;;#ASMSTART
	v_dot2_f32_f16 v18, v8, v4, v18
	;;#ASMEND
	;;#ASMSTART
	v_dot2_f32_f16 v18, v9, v5, v18
	;;#ASMEND
	s_waitcnt lgkmcnt(0)
	;;#ASMSTART
	v_dot2_f32_f16 v44, v6, v86, v44
	;;#ASMEND
	;;#ASMSTART
	v_dot2_f32_f16 v44, v7, v87, v44
	;;#ASMEND
	;;#ASMSTART
	v_dot2_f32_f16 v44, v8, v88, v44
	;;#ASMEND
	;;#ASMSTART
	v_dot2_f32_f16 v44, v9, v89, v44
	;;#ASMEND
	;;#ASMSTART
	v_dot2_f32_f16 v19, v10, v2, v19
	;;#ASMEND
	;;#ASMSTART
	v_dot2_f32_f16 v19, v11, v3, v19
	;;#ASMEND
	;;#ASMSTART
	v_dot2_f32_f16 v19, v12, v4, v19
	;;#ASMEND
	;;#ASMSTART
	v_dot2_f32_f16 v19, v13, v5, v19
	;;#ASMEND
	;;#ASMSTART
	v_dot2_f32_f16 v45, v10, v86, v45
	;;#ASMEND
	;;#ASMSTART
	v_dot2_f32_f16 v45, v11, v87, v45
	;;#ASMEND
	;;#ASMSTART
	v_dot2_f32_f16 v45, v12, v88, v45
	;;#ASMEND
	;;#ASMSTART
	v_dot2_f32_f16 v45, v13, v89, v45
	;;#ASMEND
	ds_read_b128 v[2:5], v68 offset:208
	ds_read_b128 v[6:9], v67 offset:208
	ds_read_b128 v[10:13], v67 offset:8912
	ds_read_b128 v[86:89], v68 offset:464
	s_waitcnt lgkmcnt(2)
	;;#ASMSTART
	v_dot2_f32_f16 v18, v6, v2, v18
	;;#ASMEND
	;;#ASMSTART
	v_dot2_f32_f16 v18, v7, v3, v18
	;;#ASMEND
	;;#ASMSTART
	v_dot2_f32_f16 v18, v8, v4, v18
	;;#ASMEND
	;;#ASMSTART
	v_dot2_f32_f16 v18, v9, v5, v18
	;;#ASMEND
	s_waitcnt lgkmcnt(0)
	;;#ASMSTART
	v_dot2_f32_f16 v44, v6, v86, v44
	;;#ASMEND
	;;#ASMSTART
	v_dot2_f32_f16 v44, v7, v87, v44
	;;#ASMEND
	;;#ASMSTART
	v_dot2_f32_f16 v44, v8, v88, v44
	;;#ASMEND
	;;#ASMSTART
	v_dot2_f32_f16 v44, v9, v89, v44
	;;#ASMEND
	;;#ASMSTART
	v_dot2_f32_f16 v19, v10, v2, v19
	;;#ASMEND
	;;#ASMSTART
	v_dot2_f32_f16 v19, v11, v3, v19
	;;#ASMEND
	;;#ASMSTART
	v_dot2_f32_f16 v19, v12, v4, v19
	;;#ASMEND
	;;#ASMSTART
	v_dot2_f32_f16 v19, v13, v5, v19
	;;#ASMEND
	;;#ASMSTART
	v_dot2_f32_f16 v45, v10, v86, v45
	;;#ASMEND
	;;#ASMSTART
	v_dot2_f32_f16 v45, v11, v87, v45
	;;#ASMEND
	;;#ASMSTART
	v_dot2_f32_f16 v45, v12, v88, v45
	;;#ASMEND
	;;#ASMSTART
	v_dot2_f32_f16 v45, v13, v89, v45
	;;#ASMEND
	ds_read_b128 v[2:5], v68 offset:224
	ds_read_b128 v[6:9], v67 offset:224
	ds_read_b128 v[10:13], v67 offset:8928
	ds_read_b128 v[86:89], v68 offset:480
	s_waitcnt lgkmcnt(2)
	;;#ASMSTART
	v_dot2_f32_f16 v18, v6, v2, v18
	;;#ASMEND
	;;#ASMSTART
	v_dot2_f32_f16 v18, v7, v3, v18
	;;#ASMEND
	;;#ASMSTART
	v_dot2_f32_f16 v18, v8, v4, v18
	;;#ASMEND
	;;#ASMSTART
	v_dot2_f32_f16 v18, v9, v5, v18
	;;#ASMEND
	s_waitcnt lgkmcnt(0)
	;;#ASMSTART
	v_dot2_f32_f16 v44, v6, v86, v44
	;;#ASMEND
	;;#ASMSTART
	v_dot2_f32_f16 v44, v7, v87, v44
	;;#ASMEND
	;;#ASMSTART
	v_dot2_f32_f16 v44, v8, v88, v44
	;;#ASMEND
	;;#ASMSTART
	v_dot2_f32_f16 v44, v9, v89, v44
	;;#ASMEND
	;;#ASMSTART
	v_dot2_f32_f16 v19, v10, v2, v19
	;;#ASMEND
	;;#ASMSTART
	v_dot2_f32_f16 v19, v11, v3, v19
	;;#ASMEND
	;;#ASMSTART
	v_dot2_f32_f16 v19, v12, v4, v19
	;;#ASMEND
	;;#ASMSTART
	v_dot2_f32_f16 v19, v13, v5, v19
	;;#ASMEND
	;;#ASMSTART
	v_dot2_f32_f16 v45, v10, v86, v45
	;;#ASMEND
	;;#ASMSTART
	v_dot2_f32_f16 v45, v11, v87, v45
	;;#ASMEND
	;;#ASMSTART
	v_dot2_f32_f16 v45, v12, v88, v45
	;;#ASMEND
	;;#ASMSTART
	v_dot2_f32_f16 v45, v13, v89, v45
	;;#ASMEND
	ds_read_b128 v[2:5], v68 offset:240
	ds_read_b128 v[6:9], v67 offset:240
	ds_read_b128 v[10:13], v67 offset:8944
	ds_read_b128 v[86:89], v68 offset:496
	s_waitcnt lgkmcnt(2)
	;;#ASMSTART
	v_dot2_f32_f16 v18, v6, v2, v18
	;;#ASMEND
	;;#ASMSTART
	v_dot2_f32_f16 v18, v7, v3, v18
	;;#ASMEND
	;;#ASMSTART
	v_dot2_f32_f16 v18, v8, v4, v18
	;;#ASMEND
	;;#ASMSTART
	v_dot2_f32_f16 v18, v9, v5, v18
	;;#ASMEND
	s_waitcnt lgkmcnt(0)
	;;#ASMSTART
	v_dot2_f32_f16 v44, v6, v86, v44
	;;#ASMEND
	;;#ASMSTART
	v_dot2_f32_f16 v44, v7, v87, v44
	;;#ASMEND
	;;#ASMSTART
	v_dot2_f32_f16 v44, v8, v88, v44
	;;#ASMEND
	;;#ASMSTART
	v_dot2_f32_f16 v44, v9, v89, v44
	;;#ASMEND
	;;#ASMSTART
	v_dot2_f32_f16 v19, v10, v2, v19
	;;#ASMEND
	;;#ASMSTART
	v_dot2_f32_f16 v19, v11, v3, v19
	;;#ASMEND
	;;#ASMSTART
	v_dot2_f32_f16 v19, v12, v4, v19
	;;#ASMEND
	;;#ASMSTART
	v_dot2_f32_f16 v19, v13, v5, v19
	;;#ASMEND
	;; [unrolled: 3-line block ×6, first 2 shown]
	flat_load_ushort v86, v[0:1] offset:64
	flat_load_ushort v87, v[0:1]
	s_addc_u32 s19, s41, s19
	v_mov_b32_e32 v47, s19
	v_mov_b32_e32 v49, s19
	;; [unrolled: 1-line block ×4, first 2 shown]
	v_addc_co_u32_e64 v14, s[0:1], v47, v35, s[0:1]
	v_addc_co_u32_e64 v15, s[0:1], v49, v37, s[2:3]
	;; [unrolled: 1-line block ×5, first 2 shown]
	v_addc_co_u32_e32 v47, vcc, 0, v15, vcc
	v_addc_co_u32_e64 v49, vcc, 0, v49, s[12:13]
	v_addc_co_u32_e64 v51, vcc, 0, v51, s[14:15]
	s_waitcnt lgkmcnt(0)
	s_barrier
	global_load_dwordx4 v[0:3], v[52:53], off
	global_load_dwordx4 v[4:7], v[46:47], off
	;; [unrolled: 1-line block ×4, first 2 shown]
	s_waitcnt vmcnt(0)
	v_cvt_f32_f16_e32 v47, v86
	v_cvt_f32_f16_e32 v46, v87
	v_pk_add_f32 v[48:49], v[44:45], v[46:47]
	v_pk_add_f32 v[18:19], v[18:19], v[46:47]
	v_mov_b32_e32 v44, v18
	v_mov_b32_e32 v45, v48
	;; [unrolled: 1-line block ×4, first 2 shown]
	v_pk_add_f32 v[44:45], v[44:45], s[6:7] op_sel_hi:[1,0]
	v_pk_add_f32 v[46:47], v[46:47], s[6:7] op_sel_hi:[1,0]
	v_max3_f32 v44, v42, v44, v46
	v_max3_f32 v45, v43, v45, v47
	ds_bpermute_b32 v46, v96, v44
	ds_bpermute_b32 v47, v96, v45
	s_waitcnt lgkmcnt(1)
	v_max_f32_e32 v46, v46, v46
	s_waitcnt lgkmcnt(0)
	v_max_f32_e32 v47, v47, v47
	v_max_f32_e32 v44, v44, v46
	v_max_f32_e32 v45, v45, v47
	ds_bpermute_b32 v46, v97, v44
	ds_bpermute_b32 v47, v97, v45
	s_waitcnt lgkmcnt(1)
	v_max_f32_e32 v46, v46, v46
	s_waitcnt lgkmcnt(0)
	v_max_f32_e32 v47, v47, v47
	v_max_f32_e32 v44, v44, v46
	v_max_f32_e32 v45, v45, v47
	;; [unrolled: 8-line block ×5, first 2 shown]
	v_pk_add_f32 v[46:47], v[18:19], v[44:45] op_sel_hi:[1,0] neg_lo:[0,1] neg_hi:[0,1]
	v_mov_b32_e32 v50, v45
	v_mul_f32_e32 v51, 0x3fb8aa3b, v47
	v_pk_add_f32 v[18:19], v[42:43], v[44:45] neg_lo:[0,1] neg_hi:[0,1]
	v_mul_f32_e32 v52, 0x3fb8aa3b, v46
	v_pk_add_f32 v[48:49], v[48:49], v[50:51] op_sel_hi:[1,0] neg_lo:[0,1] neg_hi:[0,1]
	v_mul_f32_e32 v50, 0x3fb8aa3b, v19
	v_mul_f32_e32 v53, 0x3fb8aa3b, v18
	v_fma_f32 v86, v47, s35, -v51
	v_rndne_f32_e32 v87, v51
	v_fma_f32 v88, v46, s35, -v52
	v_rndne_f32_e32 v89, v52
	v_mul_f32_e32 v90, 0x3fb8aa3b, v49
	v_mul_f32_e32 v91, 0x3fb8aa3b, v48
	v_cmp_ngt_f32_e32 vcc, s43, v46
	v_cmp_ngt_f32_e64 s[8:9], s43, v47
	v_cmp_nlt_f32_e64 s[10:11], s46, v46
	v_cmp_nlt_f32_e64 s[16:17], s46, v47
	v_fma_f32 v92, v19, s35, -v50
	v_rndne_f32_e32 v93, v50
	v_fma_f32 v94, v18, s35, -v53
	v_rndne_f32_e32 v95, v53
	v_fmac_f32_e32 v86, 0x32a5705f, v47
	v_sub_f32_e32 v47, v51, v87
	v_cvt_i32_f32_e32 v51, v87
	v_fmac_f32_e32 v88, 0x32a5705f, v46
	v_sub_f32_e32 v46, v52, v89
	v_cvt_i32_f32_e32 v52, v89
	v_fma_f32 v87, v49, s35, -v90
	v_rndne_f32_e32 v89, v90
	v_fma_f32 v96, v48, s35, -v91
	v_rndne_f32_e32 v97, v91
	v_cmp_ngt_f32_e64 s[0:1], s43, v19
	v_cmp_ngt_f32_e64 s[2:3], s43, v18
	v_cmp_nlt_f32_e64 s[12:13], s46, v19
	v_cmp_nlt_f32_e64 s[14:15], s46, v18
	v_cmp_ngt_f32_e64 s[18:19], s43, v49
	v_cmp_ngt_f32_e64 s[20:21], s43, v48
	v_cmp_nlt_f32_e64 s[22:23], s46, v48
	v_cmp_nlt_f32_e64 s[24:25], s46, v49
	v_fmac_f32_e32 v92, 0x32a5705f, v19
	v_sub_f32_e32 v19, v50, v93
	v_fmac_f32_e32 v94, 0x32a5705f, v18
	v_sub_f32_e32 v18, v53, v95
	v_add_f32_e32 v47, v47, v86
	v_fmac_f32_e32 v87, 0x32a5705f, v49
	v_sub_f32_e32 v49, v90, v89
	v_fmac_f32_e32 v96, 0x32a5705f, v48
	v_sub_f32_e32 v48, v91, v97
	v_add_f32_e32 v46, v46, v88
	v_add_f32_e32 v19, v19, v92
	;; [unrolled: 1-line block ×3, first 2 shown]
	v_exp_f32_e32 v47, v47
	v_add_f32_e32 v49, v49, v87
	v_add_f32_e32 v48, v48, v96
	v_cvt_i32_f32_e32 v50, v93
	v_cvt_i32_f32_e32 v53, v95
	;; [unrolled: 1-line block ×4, first 2 shown]
	v_exp_f32_e32 v46, v46
	v_exp_f32_e32 v19, v19
	;; [unrolled: 1-line block ×5, first 2 shown]
	v_ldexp_f32 v47, v47, v51
	v_ldexp_f32 v46, v46, v52
	;; [unrolled: 1-line block ×4, first 2 shown]
	v_cndmask_b32_e64 v47, 0, v47, s[8:9]
	v_ldexp_f32 v49, v49, v86
	v_ldexp_f32 v48, v48, v88
	v_cndmask_b32_e32 v46, 0, v46, vcc
	v_cndmask_b32_e64 v19, 0, v19, s[0:1]
	v_cndmask_b32_e64 v50, 0, v18, s[2:3]
	;; [unrolled: 1-line block ×10, first 2 shown]
	v_cvt_f16_f32_e32 v52, v46
	v_cvt_f16_f32_e32 v53, v18
	v_pk_add_f32 v[50:51], v[46:47], v[18:19]
	v_cvt_f16_f32_e32 v18, v47
	v_cvt_f16_f32_e32 v19, v19
	;; [unrolled: 1-line block ×4, first 2 shown]
	v_pack_b32_f16 v18, v52, v18
	v_pack_b32_f16 v19, v53, v19
	v_pk_fma_f32 v[22:23], v[22:23], v[48:49], v[50:51]
	v_pk_mul_f16 v17, v247, v17 op_sel_hi:[0,1]
	ds_write2_b32 v78, v18, v19 offset1:32
	ds_write_b128 v70, v[0:3]
	ds_write_b128 v71, v[4:7]
	ds_write_b128 v72, v[8:11]
	ds_write_b128 v73, v[12:15]
	s_waitcnt lgkmcnt(0)
	s_barrier
	ds_read2_b64 v[46:49], v74 offset1:32
	ds_read_b128 v[50:53], v69
	ds_read_b128 v[86:89], v69 offset:16
	ds_read_b128 v[90:93], v69 offset:32
	;; [unrolled: 1-line block ×3, first 2 shown]
	ds_read2_b64 v[98:101], v74 offset0:64 offset1:96
	ds_read2_b64 v[102:105], v74 offset0:128 offset1:160
	;; [unrolled: 1-line block ×3, first 2 shown]
	ds_read2_b64 v[110:113], v79 offset1:32
	ds_read2_b64 v[114:117], v79 offset0:64 offset1:96
	ds_read2_b64 v[118:121], v79 offset0:128 offset1:160
	;; [unrolled: 1-line block ×3, first 2 shown]
	ds_read2_b64 v[126:129], v80 offset1:32
	ds_read2_b64 v[130:133], v80 offset0:64 offset1:96
	ds_read2_b64 v[134:137], v80 offset0:128 offset1:160
	ds_read_b128 v[138:141], v69 offset:64
	ds_read_b128 v[142:145], v69 offset:80
	ds_read2_b64 v[146:149], v80 offset0:192 offset1:224
	ds_read2_b64 v[150:153], v81 offset1:32
	ds_read2_b64 v[154:157], v81 offset0:64 offset1:96
	ds_read2_b64 v[158:161], v81 offset0:128 offset1:160
	ds_read_b128 v[162:165], v69 offset:96
	ds_read_b128 v[166:169], v69 offset:112
	ds_read2_b64 v[170:173], v81 offset0:192 offset1:224
	;; [unrolled: 6-line block ×5, first 2 shown]
	ds_read2_b64 v[8:11], v85 offset1:32
	ds_read2_b64 v[4:7], v85 offset0:64 offset1:96
	ds_read2_b64 v[0:3], v85 offset0:128 offset1:160
	s_waitcnt lgkmcnt(14)
	v_pk_mul_f16 v12, v47, v50 op_sel_hi:[1,0]
	v_pk_mul_f16 v18, v46, v50 op_sel_hi:[1,0]
	v_pk_mul_f16 v19, v46, v50 op_sel:[0,1]
	v_pk_fma_f16 v16, v246, v16, v12 op_sel_hi:[0,1,1]
	v_pk_fma_f16 v18, v246, v64, v18 op_sel_hi:[0,1,1]
	v_pk_fma_f16 v17, v47, v50, v17 op_sel:[0,1,0]
	v_pk_fma_f16 v19, v247, v56, v19 op_sel_hi:[0,1,1]
	v_pk_fma_f16 v46, v49, v51, v17 op_sel:[0,1,0]
	;; [unrolled: 2-line block ×79, first 2 shown]
	v_pk_fma_f16 v53, v197, v193, v53 op_sel_hi:[1,0,1]
	s_waitcnt lgkmcnt(11)
	v_pk_fma_f16 v50, v199, v210, v50 op_sel:[0,1,0]
	v_pk_fma_f16 v51, v198, v210, v51 op_sel_hi:[1,0,1]
	v_pk_fma_f16 v52, v198, v210, v52 op_sel:[0,1,0]
	v_pk_fma_f16 v53, v199, v210, v53 op_sel_hi:[1,0,1]
	;; [unrolled: 2-line block ×8, first 2 shown]
	s_waitcnt lgkmcnt(10)
	v_pk_fma_f16 v50, v207, v214, v50 op_sel:[0,1,0]
	v_pk_fma_f16 v51, v206, v214, v51 op_sel_hi:[1,0,1]
	v_pk_fma_f16 v52, v206, v214, v52 op_sel:[0,1,0]
	v_pk_fma_f16 v53, v207, v214, v53 op_sel_hi:[1,0,1]
	v_pk_fma_f16 v50, v209, v215, v50 op_sel:[0,1,0]
	v_pk_fma_f16 v51, v208, v215, v51 op_sel_hi:[1,0,1]
	v_pk_fma_f16 v52, v208, v215, v52 op_sel:[0,1,0]
	v_pk_fma_f16 v53, v209, v215, v53 op_sel_hi:[1,0,1]
	s_waitcnt lgkmcnt(9)
	v_pk_fma_f16 v50, v219, v216, v50 op_sel:[0,1,0]
	v_pk_fma_f16 v51, v218, v216, v51 op_sel_hi:[1,0,1]
	v_pk_fma_f16 v52, v218, v216, v52 op_sel:[0,1,0]
	v_pk_fma_f16 v53, v219, v216, v53 op_sel_hi:[1,0,1]
	v_pk_fma_f16 v50, v221, v217, v50 op_sel:[0,1,0]
	v_pk_fma_f16 v51, v220, v217, v51 op_sel_hi:[1,0,1]
	v_pk_fma_f16 v52, v220, v217, v52 op_sel:[0,1,0]
	v_pk_fma_f16 v53, v221, v217, v53 op_sel_hi:[1,0,1]
	;; [unrolled: 9-line block ×3, first 2 shown]
	v_pk_fma_f16 v50, v227, v236, v50 op_sel:[0,1,0]
	v_pk_fma_f16 v51, v226, v236, v51 op_sel_hi:[1,0,1]
	v_pk_fma_f16 v52, v226, v236, v52 op_sel:[0,1,0]
	v_pk_fma_f16 v53, v227, v236, v53 op_sel_hi:[1,0,1]
	ds_read_b128 v[12:15], v69 offset:224
	ds_read_b128 v[16:19], v69 offset:240
	v_pk_fma_f16 v50, v229, v237, v50 op_sel:[0,1,0]
	v_pk_fma_f16 v51, v228, v237, v51 op_sel_hi:[1,0,1]
	v_pk_fma_f16 v52, v228, v237, v52 op_sel:[0,1,0]
	v_pk_fma_f16 v53, v229, v237, v53 op_sel_hi:[1,0,1]
	s_waitcnt lgkmcnt(6)
	v_pk_fma_f16 v50, v231, v238, v50 op_sel:[0,1,0]
	v_pk_fma_f16 v51, v230, v238, v51 op_sel_hi:[1,0,1]
	v_pk_fma_f16 v52, v230, v238, v52 op_sel:[0,1,0]
	v_pk_fma_f16 v53, v231, v238, v53 op_sel_hi:[1,0,1]
	;; [unrolled: 2-line block ×4, first 2 shown]
	s_waitcnt lgkmcnt(5)
	v_pk_fma_f16 v50, v243, v240, v50 op_sel:[0,1,0]
	v_pk_fma_f16 v51, v242, v240, v51 op_sel_hi:[1,0,1]
	v_pk_fma_f16 v52, v242, v240, v52 op_sel:[0,1,0]
	v_pk_fma_f16 v53, v243, v240, v53 op_sel_hi:[1,0,1]
	;; [unrolled: 2-line block ×4, first 2 shown]
	ds_read2_b64 v[46:49], v85 offset0:192 offset1:224
	s_waitcnt lgkmcnt(0)
	s_barrier
	s_load_dword s0, s[36:37], 0x4
	v_pk_fma_f16 v50, v9, v12, v50 op_sel:[0,1,0]
	v_pk_fma_f16 v51, v8, v12, v51 op_sel_hi:[1,0,1]
	v_pk_fma_f16 v8, v8, v12, v52 op_sel:[0,1,0]
	v_pk_fma_f16 v9, v9, v12, v53 op_sel_hi:[1,0,1]
	;; [unrolled: 2-line block ×10, first 2 shown]
	s_waitcnt lgkmcnt(0)
	s_lshl_b32 s0, s0, 6
	v_pk_fma_f16 v4, v3, v17, v6 op_sel:[0,1,0]
	v_pk_fma_f16 v5, v2, v17, v7 op_sel_hi:[1,0,1]
	v_pk_fma_f16 v0, v2, v17, v0 op_sel:[0,1,0]
	v_pk_fma_f16 v1, v3, v17, v1 op_sel_hi:[1,0,1]
	s_add_i32 s29, s0, s29
	v_pk_fma_f16 v2, v47, v18, v4 op_sel:[0,1,0]
	v_pk_fma_f16 v3, v46, v18, v5 op_sel_hi:[1,0,1]
	v_pk_fma_f16 v0, v46, v18, v0 op_sel:[0,1,0]
	v_pk_fma_f16 v1, v47, v18, v1 op_sel_hi:[1,0,1]
	v_mov_b32_e32 v42, v44
	v_mov_b32_e32 v43, v45
	s_cmp_ge_i32 s29, s30
	v_pk_fma_f16 v17, v49, v19, v2 op_sel:[0,1,0]
	v_pk_fma_f16 v64, v48, v19, v3 op_sel_hi:[1,0,1]
	v_pk_fma_f16 v56, v48, v19, v0 op_sel:[0,1,0]
	v_pk_fma_f16 v16, v49, v19, v1 op_sel_hi:[1,0,1]
	s_cbranch_scc0 .LBB40_9
.LBB40_10:
	v_cmp_lt_i32_e32 vcc, v61, v55
	v_cndmask_b32_e32 v0, v25, v61, vcc
	v_lshlrev_b32_e32 v1, 2, v0
	ds_bpermute_b32 v0, v1, v22
	ds_bpermute_b32 v1, v1, v23
	v_cmp_lt_i32_e32 vcc, v60, v55
	v_cndmask_b32_e32 v2, v25, v60, vcc
	v_lshlrev_b32_e32 v3, 2, v2
	v_cmp_lt_i32_e32 vcc, v59, v55
	s_waitcnt lgkmcnt(0)
	v_pk_add_f32 v[0:1], v[22:23], v[0:1]
	ds_bpermute_b32 v2, v3, v0
	ds_bpermute_b32 v3, v3, v1
	v_cndmask_b32_e32 v4, v25, v59, vcc
	v_lshlrev_b32_e32 v4, 2, v4
	v_cmp_lt_i32_e32 vcc, v58, v55
	s_cmp_lg_u64 s[44:45], 0
	s_waitcnt lgkmcnt(0)
	v_pk_add_f32 v[0:1], v[0:1], v[2:3]
	ds_bpermute_b32 v2, v4, v0
	ds_bpermute_b32 v3, v4, v1
	v_cndmask_b32_e32 v4, v25, v58, vcc
	v_lshlrev_b32_e32 v4, 2, v4
	v_cmp_lt_i32_e32 vcc, v57, v55
	s_cselect_b64 s[0:1], -1, 0
	s_waitcnt lgkmcnt(0)
	v_pk_add_f32 v[0:1], v[0:1], v[2:3]
	ds_bpermute_b32 v2, v4, v0
	ds_bpermute_b32 v3, v4, v1
	v_cndmask_b32_e32 v4, v25, v57, vcc
	v_lshlrev_b32_e32 v4, 2, v4
	s_cmp_eq_u32 s7, 0
	s_cselect_b64 s[2:3], -1, 0
	s_waitcnt lgkmcnt(0)
	v_pk_add_f32 v[0:1], v[0:1], v[2:3]
	ds_bpermute_b32 v2, v4, v0
	ds_bpermute_b32 v3, v4, v1
	s_and_b64 s[0:1], s[2:3], s[0:1]
	s_and_b64 vcc, exec, s[0:1]
	s_waitcnt lgkmcnt(0)
	v_pk_add_f32 v[0:1], v[0:1], v[2:3]
	s_cbranch_vccz .LBB40_12
; %bb.11:
	s_ashr_i32 s29, s28, 31
	s_lshl_b64 s[0:1], s[28:29], 2
	s_add_u32 s0, s44, s0
	s_addc_u32 s1, s45, s1
	v_mov_b32_e32 v2, 0
	global_load_dwordx2 v[2:3], v2, s[0:1]
	v_max_f32_e32 v4, v45, v45
	v_max_f32_e32 v6, v44, v44
	s_mov_b32 s0, 0x3fb8aa3b
	s_mov_b32 s1, 0xc2ce8ed0
	;; [unrolled: 1-line block ×3, first 2 shown]
	v_mov_b32_e32 v8, 0x7f800000
	s_waitcnt vmcnt(0)
	v_max_f32_e32 v5, v3, v3
	v_max_f32_e32 v7, v2, v2
	v_max_f32_e32 v5, v4, v5
	v_max_f32_e32 v4, v6, v7
	v_pk_add_f32 v[6:7], v[44:45], v[4:5] neg_lo:[0,1] neg_hi:[0,1]
	v_mul_f32_e32 v9, 0x3fb8aa3b, v7
	v_pk_add_f32 v[2:3], v[2:3], v[4:5] neg_lo:[0,1] neg_hi:[0,1]
	v_mul_f32_e32 v10, 0x3fb8aa3b, v6
	v_fma_f32 v13, v7, s0, -v9
	v_rndne_f32_e32 v14, v9
	v_mul_f32_e32 v11, 0x3fb8aa3b, v3
	v_fma_f32 v15, v6, s0, -v10
	v_rndne_f32_e32 v18, v10
	v_fmac_f32_e32 v13, 0x32a5705f, v7
	v_sub_f32_e32 v9, v9, v14
	v_mul_f32_e32 v12, 0x3fb8aa3b, v2
	v_fma_f32 v19, v3, s0, -v11
	v_rndne_f32_e32 v22, v11
	v_fmac_f32_e32 v15, 0x32a5705f, v6
	v_sub_f32_e32 v10, v10, v18
	v_add_f32_e32 v9, v9, v13
	v_fma_f32 v23, v2, s0, -v12
	v_rndne_f32_e32 v24, v12
	v_cvt_i32_f32_e32 v14, v14
	v_fmac_f32_e32 v19, 0x32a5705f, v3
	v_sub_f32_e32 v11, v11, v22
	v_add_f32_e32 v10, v10, v15
	v_exp_f32_e32 v9, v9
	v_cvt_i32_f32_e32 v18, v18
	v_fmac_f32_e32 v23, 0x32a5705f, v2
	v_sub_f32_e32 v12, v12, v24
	v_add_f32_e32 v11, v11, v19
	v_exp_f32_e32 v10, v10
	v_cvt_i32_f32_e32 v22, v22
	v_add_f32_e32 v12, v12, v23
	v_exp_f32_e32 v11, v11
	v_cvt_i32_f32_e32 v24, v24
	v_exp_f32_e32 v12, v12
	v_ldexp_f32 v9, v9, v14
	v_cmp_ngt_f32_e32 vcc, s1, v7
	v_ldexp_f32 v10, v10, v18
	v_cndmask_b32_e32 v9, 0, v9, vcc
	v_cmp_ngt_f32_e32 vcc, s1, v6
	v_ldexp_f32 v11, v11, v22
	v_cndmask_b32_e32 v10, 0, v10, vcc
	;; [unrolled: 3-line block ×3, first 2 shown]
	v_cmp_ngt_f32_e32 vcc, s1, v2
	v_cndmask_b32_e32 v12, 0, v12, vcc
	v_cmp_nlt_f32_e32 vcc, s2, v7
	v_cndmask_b32_e32 v7, v8, v9, vcc
	v_cmp_nlt_f32_e32 vcc, s2, v6
	;; [unrolled: 2-line block ×4, first 2 shown]
	v_cvt_f16_f32_e32 v9, v6
	v_cndmask_b32_e32 v2, v8, v12, vcc
	v_cvt_f16_f32_e32 v8, v7
	v_pk_fma_f32 v[0:1], v[0:1], v[6:7], v[2:3]
	v_pk_mul_f16 v64, v9, v64 op_sel_hi:[0,1]
	v_pk_mul_f16 v16, v9, v16 op_sel_hi:[0,1]
	;; [unrolled: 1-line block ×4, first 2 shown]
	v_pk_mov_b32 v[44:45], v[4:5], v[4:5] op_sel:[0,1]
.LBB40_12:
	v_cmp_gt_i32_e32 vcc, s26, v21
	s_and_saveexec_b64 s[0:1], vcc
	s_cbranch_execz .LBB40_21
; %bb.13:
	s_load_dword s6, s[4:5], 0xd4
	v_mov_b32_e32 v4, 1.0
	s_waitcnt lgkmcnt(0)
	s_cmp_lg_u32 s6, 1
	s_cselect_b64 s[0:1], -1, 0
	s_cmp_eq_u32 s6, 1
	s_cselect_b64 s[2:3], -1, 0
	s_and_b64 vcc, exec, s[0:1]
	s_cbranch_vccnz .LBB40_15
; %bb.14:
	v_div_scale_f32 v2, s[4:5], v0, v0, 1.0
	v_rcp_f32_e32 v3, v2
	v_div_scale_f32 v4, vcc, 1.0, v0, 1.0
	v_fma_f32 v5, -v2, v3, 1.0
	v_fmac_f32_e32 v3, v5, v3
	v_mul_f32_e32 v5, v4, v3
	v_fma_f32 v6, -v2, v5, v4
	v_fmac_f32_e32 v5, v6, v3
	v_fma_f32 v2, -v2, v5, v4
	v_div_fmas_f32 v2, v2, v3, v5
	v_div_fixup_f32 v4, v2, v0, 1.0
.LBB40_15:
	s_mul_i32 s33, s33, s26
	v_add_u32_e32 v2, s33, v21
	v_mul_lo_u32 v2, v2, s27
	v_add_u32_e32 v2, s28, v2
	v_mul_lo_u32 v2, s6, v2
	v_add_u32_e32 v2, s7, v2
	v_cvt_f32_f16_sdwa v9, v64 dst_sel:DWORD dst_unused:UNUSED_PAD src0_sel:WORD_1
	v_cvt_f32_f16_e32 v8, v64
	v_cvt_f32_f16_sdwa v11, v16 dst_sel:DWORD dst_unused:UNUSED_PAD src0_sel:WORD_1
	v_cvt_f32_f16_e32 v10, v16
	v_lshl_add_u32 v6, v2, 7, v54
	v_mov_b32_e32 v7, 0
	v_cmp_eq_u32_e32 vcc, 0, v20
	v_lshlrev_b64 v[6:7], 2, v[6:7]
	s_and_b64 s[0:1], vcc, s[0:1]
	v_mov_b32_e32 v3, s49
	v_add_co_u32_e32 v12, vcc, s48, v6
	v_addc_co_u32_e32 v13, vcc, v3, v7, vcc
	v_pk_mul_f32 v[6:7], v[4:5], v[8:9] op_sel_hi:[0,1]
	v_pk_mul_f32 v[8:9], v[4:5], v[10:11] op_sel_hi:[0,1]
	global_store_dwordx4 v[12:13], v[6:9], off
	s_and_saveexec_b64 s[4:5], s[0:1]
	s_cbranch_execz .LBB40_17
; %bb.16:
	v_ashrrev_i32_e32 v3, 31, v2
	v_lshlrev_b64 v[4:5], 3, v[2:3]
	v_mov_b32_e32 v3, s51
	v_add_co_u32_e32 v4, vcc, s50, v4
	v_addc_co_u32_e32 v5, vcc, v3, v5, vcc
	v_mov_b32_e32 v6, v44
	v_mov_b32_e32 v7, v0
	global_store_dwordx2 v[4:5], v[6:7], off
.LBB40_17:
	s_or_b64 exec, exec, s[4:5]
	s_andn2_b64 vcc, exec, s[2:3]
	v_mov_b32_e32 v0, 1.0
	s_cbranch_vccnz .LBB40_19
; %bb.18:
	v_div_scale_f32 v0, s[2:3], v1, v1, 1.0
	v_rcp_f32_e32 v3, v0
	v_div_scale_f32 v4, vcc, 1.0, v1, 1.0
	v_fma_f32 v5, -v0, v3, 1.0
	v_fmac_f32_e32 v3, v5, v3
	v_mul_f32_e32 v5, v4, v3
	v_fma_f32 v6, -v0, v5, v4
	v_fmac_f32_e32 v5, v6, v3
	v_fma_f32 v0, -v0, v5, v4
	v_div_fmas_f32 v0, v0, v3, v5
	v_div_fixup_f32 v0, v0, v1, 1.0
.LBB40_19:
	v_add_u32_e32 v2, s6, v2
	v_cvt_f32_f16_sdwa v7, v56 dst_sel:DWORD dst_unused:UNUSED_PAD src0_sel:WORD_1
	v_cvt_f32_f16_e32 v6, v56
	v_cvt_f32_f16_sdwa v9, v17 dst_sel:DWORD dst_unused:UNUSED_PAD src0_sel:WORD_1
	v_cvt_f32_f16_e32 v8, v17
	v_lshl_add_u32 v4, v2, 7, v54
	v_mov_b32_e32 v5, 0
	v_lshlrev_b64 v[4:5], 2, v[4:5]
	v_mov_b32_e32 v3, s49
	v_add_co_u32_e32 v10, vcc, s48, v4
	v_addc_co_u32_e32 v11, vcc, v3, v5, vcc
	v_pk_mul_f32 v[4:5], v[0:1], v[6:7] op_sel_hi:[0,1]
	v_pk_mul_f32 v[6:7], v[0:1], v[8:9] op_sel_hi:[0,1]
	global_store_dwordx4 v[10:11], v[4:7], off
	s_and_b64 exec, exec, s[0:1]
	s_cbranch_execz .LBB40_21
; %bb.20:
	v_ashrrev_i32_e32 v3, 31, v2
	v_lshlrev_b64 v[2:3], 3, v[2:3]
	v_mov_b32_e32 v0, s51
	v_add_co_u32_e32 v2, vcc, s50, v2
	v_addc_co_u32_e32 v3, vcc, v0, v3, vcc
	v_mov_b32_e32 v0, v45
	global_store_dwordx2 v[2:3], v[0:1], off
.LBB40_21:
	s_endpgm
	.section	.rodata,"a",@progbits
	.p2align	6, 0x0
	.amdhsa_kernel _ZL15flash_attn_tileILi128ELi128ELi8ELi2ELb0EEvPKcS1_S1_S1_S1_PKiPfP15HIP_vector_typeIfLj2EEffffjfiS5_IjLj3EEiiiiiiiiiiiliiliiiiil
		.amdhsa_group_segment_fixed_size 23552
		.amdhsa_private_segment_fixed_size 0
		.amdhsa_kernarg_size 464
		.amdhsa_user_sgpr_count 6
		.amdhsa_user_sgpr_private_segment_buffer 1
		.amdhsa_user_sgpr_dispatch_ptr 0
		.amdhsa_user_sgpr_queue_ptr 0
		.amdhsa_user_sgpr_kernarg_segment_ptr 1
		.amdhsa_user_sgpr_dispatch_id 0
		.amdhsa_user_sgpr_flat_scratch_init 0
		.amdhsa_user_sgpr_kernarg_preload_length 0
		.amdhsa_user_sgpr_kernarg_preload_offset 0
		.amdhsa_user_sgpr_private_segment_size 0
		.amdhsa_uses_dynamic_stack 0
		.amdhsa_system_sgpr_private_segment_wavefront_offset 0
		.amdhsa_system_sgpr_workgroup_id_x 1
		.amdhsa_system_sgpr_workgroup_id_y 1
		.amdhsa_system_sgpr_workgroup_id_z 1
		.amdhsa_system_sgpr_workgroup_info 0
		.amdhsa_system_vgpr_workitem_id 1
		.amdhsa_next_free_vgpr 248
		.amdhsa_next_free_sgpr 52
		.amdhsa_accum_offset 248
		.amdhsa_reserve_vcc 1
		.amdhsa_reserve_flat_scratch 0
		.amdhsa_float_round_mode_32 0
		.amdhsa_float_round_mode_16_64 0
		.amdhsa_float_denorm_mode_32 3
		.amdhsa_float_denorm_mode_16_64 3
		.amdhsa_dx10_clamp 1
		.amdhsa_ieee_mode 1
		.amdhsa_fp16_overflow 0
		.amdhsa_tg_split 0
		.amdhsa_exception_fp_ieee_invalid_op 0
		.amdhsa_exception_fp_denorm_src 0
		.amdhsa_exception_fp_ieee_div_zero 0
		.amdhsa_exception_fp_ieee_overflow 0
		.amdhsa_exception_fp_ieee_underflow 0
		.amdhsa_exception_fp_ieee_inexact 0
		.amdhsa_exception_int_div_zero 0
	.end_amdhsa_kernel
	.section	.text._ZL15flash_attn_tileILi128ELi128ELi8ELi2ELb0EEvPKcS1_S1_S1_S1_PKiPfP15HIP_vector_typeIfLj2EEffffjfiS5_IjLj3EEiiiiiiiiiiiliiliiiiil,"axG",@progbits,_ZL15flash_attn_tileILi128ELi128ELi8ELi2ELb0EEvPKcS1_S1_S1_S1_PKiPfP15HIP_vector_typeIfLj2EEffffjfiS5_IjLj3EEiiiiiiiiiiiliiliiiiil,comdat
.Lfunc_end40:
	.size	_ZL15flash_attn_tileILi128ELi128ELi8ELi2ELb0EEvPKcS1_S1_S1_S1_PKiPfP15HIP_vector_typeIfLj2EEffffjfiS5_IjLj3EEiiiiiiiiiiiliiliiiiil, .Lfunc_end40-_ZL15flash_attn_tileILi128ELi128ELi8ELi2ELb0EEvPKcS1_S1_S1_S1_PKiPfP15HIP_vector_typeIfLj2EEffffjfiS5_IjLj3EEiiiiiiiiiiiliiliiiiil
                                        ; -- End function
	.section	.AMDGPU.csdata,"",@progbits
; Kernel info:
; codeLenInByte = 9584
; NumSgprs: 56
; NumVgprs: 248
; NumAgprs: 0
; TotalNumVgprs: 248
; ScratchSize: 0
; MemoryBound: 0
; FloatMode: 240
; IeeeMode: 1
; LDSByteSize: 23552 bytes/workgroup (compile time only)
; SGPRBlocks: 6
; VGPRBlocks: 30
; NumSGPRsForWavesPerEU: 56
; NumVGPRsForWavesPerEU: 248
; AccumOffset: 248
; Occupancy: 2
; WaveLimiterHint : 1
; COMPUTE_PGM_RSRC2:SCRATCH_EN: 0
; COMPUTE_PGM_RSRC2:USER_SGPR: 6
; COMPUTE_PGM_RSRC2:TRAP_HANDLER: 0
; COMPUTE_PGM_RSRC2:TGID_X_EN: 1
; COMPUTE_PGM_RSRC2:TGID_Y_EN: 1
; COMPUTE_PGM_RSRC2:TGID_Z_EN: 1
; COMPUTE_PGM_RSRC2:TIDIG_COMP_CNT: 1
; COMPUTE_PGM_RSRC3_GFX90A:ACCUM_OFFSET: 61
; COMPUTE_PGM_RSRC3_GFX90A:TG_SPLIT: 0
	.section	.text._ZL33flash_attn_stream_k_fixup_uniformILi128ELi8ELi2EEvPfPK15HIP_vector_typeIfLj2EEiiiiiiS1_IjLj3EES5_S5_,"axG",@progbits,_ZL33flash_attn_stream_k_fixup_uniformILi128ELi8ELi2EEvPfPK15HIP_vector_typeIfLj2EEiiiiiiS1_IjLj3EES5_S5_,comdat
	.globl	_ZL33flash_attn_stream_k_fixup_uniformILi128ELi8ELi2EEvPfPK15HIP_vector_typeIfLj2EEiiiiiiS1_IjLj3EES5_S5_ ; -- Begin function _ZL33flash_attn_stream_k_fixup_uniformILi128ELi8ELi2EEvPfPK15HIP_vector_typeIfLj2EEiiiiiiS1_IjLj3EES5_S5_
	.p2align	8
	.type	_ZL33flash_attn_stream_k_fixup_uniformILi128ELi8ELi2EEvPfPK15HIP_vector_typeIfLj2EEiiiiiiS1_IjLj3EES5_S5_,@function
_ZL33flash_attn_stream_k_fixup_uniformILi128ELi8ELi2EEvPfPK15HIP_vector_typeIfLj2EEiiiiiiS1_IjLj3EES5_S5_: ; @_ZL33flash_attn_stream_k_fixup_uniformILi128ELi8ELi2EEvPfPK15HIP_vector_typeIfLj2EEiiiiiiS1_IjLj3EES5_S5_
; %bb.0:
	s_load_dwordx8 s[12:19], s[4:5], 0x1c
	s_load_dwordx2 s[10:11], s[4:5], 0x10
	s_load_dwordx4 s[0:3], s[4:5], 0x3c
	s_waitcnt lgkmcnt(0)
	s_mul_hi_u32 s9, s15, s6
	s_add_i32 s9, s6, s9
	s_lshr_b32 s9, s9, s16
	s_mul_i32 s15, s9, s17
	s_sub_i32 s15, s6, s15
	s_mul_hi_u32 s16, s15, s18
	s_add_i32 s16, s15, s16
	s_lshr_b32 s16, s16, s19
	s_mul_i32 s0, s16, s0
	s_sub_i32 s0, s15, s0
	;; [unrolled: 5-line block ×3, first 2 shown]
	s_lshl_b32 s0, s17, 3
	s_lshl_b32 s15, s1, 1
	s_add_i32 s0, s0, s7
	s_cmp_lt_i32 s0, s10
	s_cselect_b64 s[0:1], -1, 0
	s_add_i32 s2, s15, s8
	s_cmp_lt_i32 s2, s13
	s_cselect_b64 s[2:3], -1, 0
	s_and_b64 s[0:1], s[0:1], s[2:3]
	s_andn2_b64 vcc, exec, s[0:1]
	s_cbranch_vccnz .LBB41_6
; %bb.1:
	s_load_dwordx4 s[0:3], s[4:5], 0x0
	s_mul_i32 s4, s9, s10
	s_add_i32 s4, s4, s7
	s_mul_i32 s4, s4, s11
	s_mul_i32 s16, s16, s13
	s_add_i32 s4, s4, s8
	s_add_i32 s4, s4, s16
	s_mul_i32 s5, s11, s17
	s_add_i32 s4, s4, s15
	s_lshl_b32 s5, s5, 10
	s_lshl_b32 s4, s4, 7
	s_add_i32 s5, s5, s4
	v_or_b32_e32 v2, s5, v0
	v_ashrrev_i32_e32 v3, 31, v2
	v_lshlrev_b64 v[2:3], 2, v[2:3]
	s_waitcnt lgkmcnt(0)
	v_mov_b32_e32 v1, s1
	v_add_co_u32_e32 v2, vcc, s0, v2
	v_addc_co_u32_e32 v3, vcc, v1, v3, vcc
	global_load_dword v8, v[2:3], off
	s_mul_i32 s9, s6, s14
	s_lshl_b32 s4, s7, 1
	s_add_i32 s11, s9, s14
	s_add_i32 s0, s4, s8
	s_lshl_b32 s1, s11, 4
	s_add_i32 s0, s0, s1
	s_add_i32 s0, s0, -16
	s_ashr_i32 s1, s0, 31
	s_lshl_b64 s[0:1], s[0:1], 3
	s_add_u32 s0, s2, s0
	s_addc_u32 s1, s3, s1
	s_load_dword s5, s[0:1], 0x4
	s_add_i32 s10, s11, -2
	s_cmp_lt_i32 s10, s9
	s_cbranch_scc1 .LBB41_4
; %bb.2:
	s_lshl_b32 s16, s12, 6
	s_ashr_i32 s17, s16, 31
	s_lshl_b64 s[16:17], s[16:17], 2
	s_add_u32 s10, s2, s16
	s_addc_u32 s13, s3, s17
	s_add_i32 s6, s6, 1
	s_load_dword s0, s[0:1], 0x0
	s_mul_i32 s1, s14, s6
	s_lshl_b32 s7, s7, 8
	s_lshl_b32 s14, s8, 7
	;; [unrolled: 1-line block ×3, first 2 shown]
	s_add_i32 s7, s14, s7
	s_lshl_b32 s1, s1, 4
	s_add_i32 s7, s7, s6
	s_add_i32 s1, s8, s1
	s_lshl_b32 s6, s12, 4
	s_add_i32 s1, s1, s6
	v_or_b32_e32 v0, s7, v0
	s_add_i32 s1, s1, s4
	s_add_i32 s11, s11, -1
	v_add_u32_e32 v0, 0xfffff000, v0
	s_sub_i32 s4, s1, 32
	s_waitcnt lgkmcnt(0)
	v_mov_b32_e32 v7, s5
	v_mov_b32_e32 v6, s0
	;; [unrolled: 1-line block ×3, first 2 shown]
	s_mov_b32 s6, 0x3fb8aa3b
	s_mov_b32 s7, 0xc2ce8ed0
	;; [unrolled: 1-line block ×3, first 2 shown]
	v_mov_b32_e32 v5, 0x7f800000
	s_mov_b32 s12, 0xc1a00000
.LBB41_3:                               ; =>This Inner Loop Header: Depth=1
	v_ashrrev_i32_e32 v1, 31, v0
	v_lshlrev_b64 v[10:11], 2, v[0:1]
	v_add_co_u32_e32 v10, vcc, s10, v10
	v_addc_co_u32_e32 v11, vcc, v4, v11, vcc
	global_load_dword v1, v[10:11], off
	s_ashr_i32 s5, s4, 31
	s_lshl_b64 s[0:1], s[4:5], 3
	s_add_u32 s0, s2, s0
	s_addc_u32 s1, s3, s1
	s_load_dwordx2 s[14:15], s[0:1], 0x0
	s_waitcnt vmcnt(1)
	v_mov_b32_e32 v9, v8
	v_max_f32_e32 v8, v6, v6
	v_mov_b32_e32 v10, v7
	s_add_i32 s11, s11, -1
	s_waitcnt lgkmcnt(0)
	v_max_f32_e64 v7, s14, s14
	v_max_f32_e32 v7, v8, v7
	v_sub_f32_e32 v11, s14, v7
	v_sub_f32_e32 v8, v6, v7
	v_mul_f32_e32 v12, 0x3fb8aa3b, v11
	v_mov_b32_e32 v6, v7
	v_mul_f32_e32 v7, 0x3fb8aa3b, v8
	v_fma_f32 v15, v11, s6, -v12
	v_rndne_f32_e32 v16, v12
	v_fma_f32 v13, v8, s6, -v7
	v_rndne_f32_e32 v14, v7
	v_fmac_f32_e32 v15, 0x32a5705f, v11
	v_sub_f32_e32 v12, v12, v16
	v_fmac_f32_e32 v13, 0x32a5705f, v8
	v_sub_f32_e32 v7, v7, v14
	v_add_f32_e32 v12, v12, v15
	v_cvt_i32_f32_e32 v16, v16
	v_add_f32_e32 v7, v7, v13
	v_exp_f32_e32 v12, v12
	v_cvt_i32_f32_e32 v14, v14
	v_exp_f32_e32 v7, v7
	v_cmp_ngt_f32_e32 vcc, s7, v11
	v_ldexp_f32 v12, v12, v16
	v_cmp_ngt_f32_e64 s[0:1], s7, v8
	v_ldexp_f32 v7, v7, v14
	v_cndmask_b32_e32 v12, 0, v12, vcc
	v_cmp_nlt_f32_e32 vcc, s8, v11
	v_cndmask_b32_e64 v7, 0, v7, s[0:1]
	v_cmp_nlt_f32_e64 s[0:1], s8, v8
	v_cndmask_b32_e32 v12, v5, v12, vcc
	v_cmp_le_f32_e32 vcc, s12, v11
	v_cndmask_b32_e64 v7, v5, v7, s[0:1]
	v_cmp_le_f32_e64 s[0:1], s12, v8
	v_cndmask_b32_e32 v8, 0, v12, vcc
	s_add_i32 s4, s4, -16
	v_cndmask_b32_e64 v11, 0, v7, s[0:1]
	v_mul_f32_e32 v7, s15, v8
	v_add_u32_e32 v0, 0xfffff800, v0
	s_cmp_le_i32 s11, s9
	v_fmac_f32_e32 v7, v10, v11
	s_waitcnt vmcnt(0)
	v_mul_f32_e32 v8, v1, v8
	v_fmac_f32_e32 v8, v9, v11
	s_cbranch_scc0 .LBB41_3
	s_branch .LBB41_5
.LBB41_4:
	s_waitcnt lgkmcnt(0)
	v_mov_b32_e32 v7, s5
.LBB41_5:
	s_waitcnt vmcnt(0)
	v_div_scale_f32 v0, s[0:1], v7, v7, v8
	v_rcp_f32_e32 v1, v0
	v_div_scale_f32 v4, vcc, v8, v7, v8
	v_fma_f32 v5, -v0, v1, 1.0
	v_fmac_f32_e32 v1, v5, v1
	v_mul_f32_e32 v5, v4, v1
	v_fma_f32 v6, -v0, v5, v4
	v_fmac_f32_e32 v5, v6, v1
	v_fma_f32 v0, -v0, v5, v4
	v_div_fmas_f32 v0, v0, v1, v5
	v_div_fixup_f32 v0, v0, v7, v8
	global_store_dword v[2:3], v0, off
.LBB41_6:
	s_endpgm
	.section	.rodata,"a",@progbits
	.p2align	6, 0x0
	.amdhsa_kernel _ZL33flash_attn_stream_k_fixup_uniformILi128ELi8ELi2EEvPfPK15HIP_vector_typeIfLj2EEiiiiiiS1_IjLj3EES5_S5_
		.amdhsa_group_segment_fixed_size 0
		.amdhsa_private_segment_fixed_size 0
		.amdhsa_kernarg_size 76
		.amdhsa_user_sgpr_count 6
		.amdhsa_user_sgpr_private_segment_buffer 1
		.amdhsa_user_sgpr_dispatch_ptr 0
		.amdhsa_user_sgpr_queue_ptr 0
		.amdhsa_user_sgpr_kernarg_segment_ptr 1
		.amdhsa_user_sgpr_dispatch_id 0
		.amdhsa_user_sgpr_flat_scratch_init 0
		.amdhsa_user_sgpr_kernarg_preload_length 0
		.amdhsa_user_sgpr_kernarg_preload_offset 0
		.amdhsa_user_sgpr_private_segment_size 0
		.amdhsa_uses_dynamic_stack 0
		.amdhsa_system_sgpr_private_segment_wavefront_offset 0
		.amdhsa_system_sgpr_workgroup_id_x 1
		.amdhsa_system_sgpr_workgroup_id_y 1
		.amdhsa_system_sgpr_workgroup_id_z 1
		.amdhsa_system_sgpr_workgroup_info 0
		.amdhsa_system_vgpr_workitem_id 0
		.amdhsa_next_free_vgpr 17
		.amdhsa_next_free_sgpr 20
		.amdhsa_accum_offset 20
		.amdhsa_reserve_vcc 1
		.amdhsa_reserve_flat_scratch 0
		.amdhsa_float_round_mode_32 0
		.amdhsa_float_round_mode_16_64 0
		.amdhsa_float_denorm_mode_32 3
		.amdhsa_float_denorm_mode_16_64 3
		.amdhsa_dx10_clamp 1
		.amdhsa_ieee_mode 1
		.amdhsa_fp16_overflow 0
		.amdhsa_tg_split 0
		.amdhsa_exception_fp_ieee_invalid_op 0
		.amdhsa_exception_fp_denorm_src 0
		.amdhsa_exception_fp_ieee_div_zero 0
		.amdhsa_exception_fp_ieee_overflow 0
		.amdhsa_exception_fp_ieee_underflow 0
		.amdhsa_exception_fp_ieee_inexact 0
		.amdhsa_exception_int_div_zero 0
	.end_amdhsa_kernel
	.section	.text._ZL33flash_attn_stream_k_fixup_uniformILi128ELi8ELi2EEvPfPK15HIP_vector_typeIfLj2EEiiiiiiS1_IjLj3EES5_S5_,"axG",@progbits,_ZL33flash_attn_stream_k_fixup_uniformILi128ELi8ELi2EEvPfPK15HIP_vector_typeIfLj2EEiiiiiiS1_IjLj3EES5_S5_,comdat
.Lfunc_end41:
	.size	_ZL33flash_attn_stream_k_fixup_uniformILi128ELi8ELi2EEvPfPK15HIP_vector_typeIfLj2EEiiiiiiS1_IjLj3EES5_S5_, .Lfunc_end41-_ZL33flash_attn_stream_k_fixup_uniformILi128ELi8ELi2EEvPfPK15HIP_vector_typeIfLj2EEiiiiiiS1_IjLj3EES5_S5_
                                        ; -- End function
	.section	.AMDGPU.csdata,"",@progbits
; Kernel info:
; codeLenInByte = 856
; NumSgprs: 24
; NumVgprs: 17
; NumAgprs: 0
; TotalNumVgprs: 17
; ScratchSize: 0
; MemoryBound: 0
; FloatMode: 240
; IeeeMode: 1
; LDSByteSize: 0 bytes/workgroup (compile time only)
; SGPRBlocks: 2
; VGPRBlocks: 2
; NumSGPRsForWavesPerEU: 24
; NumVGPRsForWavesPerEU: 17
; AccumOffset: 20
; Occupancy: 8
; WaveLimiterHint : 0
; COMPUTE_PGM_RSRC2:SCRATCH_EN: 0
; COMPUTE_PGM_RSRC2:USER_SGPR: 6
; COMPUTE_PGM_RSRC2:TRAP_HANDLER: 0
; COMPUTE_PGM_RSRC2:TGID_X_EN: 1
; COMPUTE_PGM_RSRC2:TGID_Y_EN: 1
; COMPUTE_PGM_RSRC2:TGID_Z_EN: 1
; COMPUTE_PGM_RSRC2:TIDIG_COMP_CNT: 0
; COMPUTE_PGM_RSRC3_GFX90A:ACCUM_OFFSET: 4
; COMPUTE_PGM_RSRC3_GFX90A:TG_SPLIT: 0
	.section	.text._ZL33flash_attn_stream_k_fixup_generalILi128ELi8ELi2EEvPfPK15HIP_vector_typeIfLj2EEiiiiS1_IjLj3EES5_S5_S5_,"axG",@progbits,_ZL33flash_attn_stream_k_fixup_generalILi128ELi8ELi2EEvPfPK15HIP_vector_typeIfLj2EEiiiiS1_IjLj3EES5_S5_S5_,comdat
	.globl	_ZL33flash_attn_stream_k_fixup_generalILi128ELi8ELi2EEvPfPK15HIP_vector_typeIfLj2EEiiiiS1_IjLj3EES5_S5_S5_ ; -- Begin function _ZL33flash_attn_stream_k_fixup_generalILi128ELi8ELi2EEvPfPK15HIP_vector_typeIfLj2EEiiiiS1_IjLj3EES5_S5_S5_
	.p2align	8
	.type	_ZL33flash_attn_stream_k_fixup_generalILi128ELi8ELi2EEvPfPK15HIP_vector_typeIfLj2EEiiiiS1_IjLj3EES5_S5_S5_,@function
_ZL33flash_attn_stream_k_fixup_generalILi128ELi8ELi2EEvPfPK15HIP_vector_typeIfLj2EEiiiiS1_IjLj3EES5_S5_S5_: ; @_ZL33flash_attn_stream_k_fixup_generalILi128ELi8ELi2EEvPfPK15HIP_vector_typeIfLj2EEiiiiS1_IjLj3EES5_S5_S5_
; %bb.0:
	s_load_dwordx4 s[12:15], s[4:5], 0x10
	s_load_dword s9, s[4:5], 0x50
	s_mov_b32 s2, 0
	s_waitcnt lgkmcnt(0)
	s_mul_hi_i32 s3, s15, s6
	s_cmp_lg_u64 s[2:3], 0
	s_mul_i32 s2, s15, s6
	s_cbranch_scc0 .LBB42_21
; %bb.1:
	v_cvt_f32_u32_e32 v1, s9
	v_cvt_f32_ubyte0_e32 v2, 0
	s_sub_u32 s10, 0, s9
	s_subb_u32 s11, 0, 0
	v_madmk_f32 v1, v2, 0x4f800000, v1
	v_rcp_f32_e32 v1, v1
	v_mul_f32_e32 v1, 0x5f7ffffc, v1
	v_mul_f32_e32 v2, 0x2f800000, v1
	v_trunc_f32_e32 v2, v2
	v_madmk_f32 v1, v2, 0xcf800000, v1
	v_cvt_u32_f32_e32 v2, v2
	v_cvt_u32_f32_e32 v1, v1
	v_readfirstlane_b32 s16, v2
	v_readfirstlane_b32 s17, v1
	s_mul_i32 s18, s10, s16
	s_mul_hi_u32 s20, s10, s17
	s_mul_i32 s19, s11, s17
	s_add_i32 s18, s20, s18
	s_add_i32 s18, s18, s19
	s_mul_i32 s21, s10, s17
	s_mul_hi_u32 s19, s17, s18
	s_mul_i32 s20, s17, s18
	s_mul_hi_u32 s17, s17, s21
	s_add_u32 s17, s17, s20
	s_addc_u32 s19, 0, s19
	s_mul_hi_u32 s22, s16, s21
	s_mul_i32 s21, s16, s21
	s_add_u32 s17, s17, s21
	s_mul_hi_u32 s20, s16, s18
	s_addc_u32 s17, s19, s22
	s_addc_u32 s19, s20, 0
	s_mul_i32 s18, s16, s18
	s_add_u32 s17, s17, s18
	s_addc_u32 s18, 0, s19
	v_add_co_u32_e32 v1, vcc, s17, v1
	s_cmp_lg_u64 vcc, 0
	s_addc_u32 s16, s16, s18
	v_readfirstlane_b32 s18, v1
	s_mul_i32 s17, s10, s16
	s_mul_hi_u32 s19, s10, s18
	s_add_i32 s17, s19, s17
	s_mul_i32 s11, s11, s18
	s_add_i32 s17, s17, s11
	s_mul_i32 s10, s10, s18
	s_mul_hi_u32 s19, s16, s10
	s_mul_i32 s20, s16, s10
	s_mul_i32 s22, s18, s17
	s_mul_hi_u32 s10, s18, s10
	s_mul_hi_u32 s21, s18, s17
	s_add_u32 s10, s10, s22
	s_addc_u32 s18, 0, s21
	s_add_u32 s10, s10, s20
	s_mul_hi_u32 s11, s16, s17
	s_addc_u32 s10, s18, s19
	s_addc_u32 s11, s11, 0
	s_mul_i32 s17, s16, s17
	s_add_u32 s10, s10, s17
	s_addc_u32 s11, 0, s11
	v_add_co_u32_e32 v1, vcc, s10, v1
	s_cmp_lg_u64 vcc, 0
	s_addc_u32 s18, s16, s11
	s_ashr_i32 s10, s3, 31
	s_add_u32 s16, s2, s10
	s_mov_b32 s11, s10
	s_addc_u32 s17, s3, s10
	s_xor_b64 s[16:17], s[16:17], s[10:11]
	v_readfirstlane_b32 s20, v1
	s_mul_i32 s19, s16, s18
	s_mul_hi_u32 s21, s16, s20
	s_mul_hi_u32 s3, s16, s18
	s_add_u32 s19, s21, s19
	s_addc_u32 s3, 0, s3
	s_mul_hi_u32 s22, s17, s20
	s_mul_i32 s20, s17, s20
	s_add_u32 s19, s19, s20
	s_mul_hi_u32 s21, s17, s18
	s_addc_u32 s3, s3, s22
	s_addc_u32 s19, s21, 0
	s_mul_i32 s18, s17, s18
	s_add_u32 s3, s3, s18
	s_addc_u32 s18, 0, s19
	s_add_u32 s19, s3, 1
	s_addc_u32 s20, s18, 0
	s_add_u32 s21, s3, 2
	s_mul_i32 s23, s9, s18
	s_mul_hi_u32 s24, s9, s3
	s_addc_u32 s22, s18, 0
	s_add_i32 s24, s24, s23
	s_mul_i32 s23, s9, s3
	v_mov_b32_e32 v1, s23
	v_sub_co_u32_e32 v1, vcc, s16, v1
	s_cmp_lg_u64 vcc, 0
	s_subb_u32 s16, s17, s24
	v_subrev_co_u32_e32 v2, vcc, s9, v1
	s_cmp_lg_u64 vcc, 0
	s_subb_u32 s17, s16, 0
	v_readfirstlane_b32 s23, v2
	s_cmp_ge_u32 s23, s9
	s_cselect_b32 s23, -1, 0
	s_cmp_eq_u32 s17, 0
	s_cselect_b32 s17, s23, -1
	s_cmp_lg_u32 s17, 0
	s_cselect_b32 s17, s22, s20
	v_readfirstlane_b32 s20, v1
	s_cselect_b32 s19, s21, s19
	s_cmp_ge_u32 s20, s9
	s_cselect_b32 s20, -1, 0
	s_cmp_eq_u32 s16, 0
	s_cselect_b32 s16, s20, -1
	s_cmp_lg_u32 s16, 0
	s_cselect_b32 s17, s17, s18
	s_cselect_b32 s16, s19, s3
	s_xor_b64 s[16:17], s[16:17], s[10:11]
	s_sub_u32 s20, s16, s10
	s_load_dwordx4 s[16:19], s[4:5], 0x44
	s_cbranch_execnz .LBB42_3
.LBB42_2:
	v_cvt_f32_u32_e32 v1, s9
	s_sub_i32 s0, 0, s9
	v_rcp_iflag_f32_e32 v1, v1
	v_mul_f32_e32 v1, 0x4f7ffffe, v1
	v_cvt_u32_f32_e32 v1, v1
	v_readfirstlane_b32 s1, v1
	s_mul_i32 s0, s0, s1
	s_mul_hi_u32 s0, s1, s0
	s_add_i32 s1, s1, s0
	s_mul_hi_u32 s0, s2, s1
	s_mul_i32 s3, s0, s9
	s_sub_i32 s2, s2, s3
	s_add_i32 s1, s0, 1
	s_sub_i32 s3, s2, s9
	s_cmp_ge_u32 s2, s9
	s_cselect_b32 s0, s1, s0
	s_cselect_b32 s2, s3, s2
	s_add_i32 s1, s0, 1
	s_cmp_ge_u32 s2, s9
	s_cselect_b32 s20, s1, s0
.LBB42_3:
	s_add_i32 s0, s6, 1
	s_mul_hi_i32 s3, s15, s0
	s_mov_b32 s2, 0
	s_cmp_lg_u64 s[2:3], 0
	s_mul_i32 s2, s15, s0
	s_cbranch_scc0 .LBB42_22
; %bb.4:
	v_cvt_f32_u32_e32 v1, s9
	v_cvt_f32_ubyte0_e32 v2, 0
	s_sub_u32 s10, 0, s9
	s_subb_u32 s11, 0, 0
	v_madmk_f32 v1, v2, 0x4f800000, v1
	v_rcp_f32_e32 v1, v1
	v_mul_f32_e32 v1, 0x5f7ffffc, v1
	v_mul_f32_e32 v2, 0x2f800000, v1
	v_trunc_f32_e32 v2, v2
	v_madmk_f32 v1, v2, 0xcf800000, v1
	v_cvt_u32_f32_e32 v2, v2
	v_cvt_u32_f32_e32 v1, v1
	s_waitcnt lgkmcnt(0)
	v_readfirstlane_b32 s19, v2
	v_readfirstlane_b32 s21, v1
	s_mul_i32 s22, s10, s19
	s_mul_hi_u32 s24, s10, s21
	s_mul_i32 s23, s11, s21
	s_add_i32 s22, s24, s22
	s_add_i32 s22, s22, s23
	s_mul_i32 s25, s10, s21
	s_mul_hi_u32 s23, s21, s22
	s_mul_i32 s24, s21, s22
	s_mul_hi_u32 s21, s21, s25
	s_add_u32 s21, s21, s24
	s_addc_u32 s23, 0, s23
	s_mul_hi_u32 s26, s19, s25
	s_mul_i32 s25, s19, s25
	s_add_u32 s21, s21, s25
	s_mul_hi_u32 s24, s19, s22
	s_addc_u32 s21, s23, s26
	s_addc_u32 s23, s24, 0
	s_mul_i32 s22, s19, s22
	s_add_u32 s21, s21, s22
	s_addc_u32 s22, 0, s23
	v_add_co_u32_e32 v1, vcc, s21, v1
	s_cmp_lg_u64 vcc, 0
	s_addc_u32 s19, s19, s22
	v_readfirstlane_b32 s22, v1
	s_mul_i32 s21, s10, s19
	s_mul_hi_u32 s23, s10, s22
	s_add_i32 s21, s23, s21
	s_mul_i32 s11, s11, s22
	s_add_i32 s21, s21, s11
	s_mul_i32 s10, s10, s22
	s_mul_hi_u32 s23, s19, s10
	s_mul_i32 s24, s19, s10
	s_mul_i32 s26, s22, s21
	s_mul_hi_u32 s10, s22, s10
	s_mul_hi_u32 s25, s22, s21
	s_add_u32 s10, s10, s26
	s_addc_u32 s22, 0, s25
	s_add_u32 s10, s10, s24
	s_mul_hi_u32 s11, s19, s21
	s_addc_u32 s10, s22, s23
	s_addc_u32 s11, s11, 0
	s_mul_i32 s21, s19, s21
	s_add_u32 s10, s10, s21
	s_addc_u32 s11, 0, s11
	v_add_co_u32_e32 v1, vcc, s10, v1
	s_cmp_lg_u64 vcc, 0
	s_addc_u32 s19, s19, s11
	s_ashr_i32 s10, s3, 31
	s_add_u32 s22, s2, s10
	s_mov_b32 s11, s10
	s_addc_u32 s23, s3, s10
	s_xor_b64 s[22:23], s[22:23], s[10:11]
	v_readfirstlane_b32 s21, v1
	s_mul_i32 s11, s22, s19
	s_mul_hi_u32 s24, s22, s21
	s_mul_hi_u32 s3, s22, s19
	s_add_u32 s11, s24, s11
	s_addc_u32 s3, 0, s3
	s_mul_hi_u32 s25, s23, s21
	s_mul_i32 s21, s23, s21
	s_add_u32 s11, s11, s21
	s_mul_hi_u32 s24, s23, s19
	s_addc_u32 s3, s3, s25
	s_addc_u32 s11, s24, 0
	s_mul_i32 s19, s23, s19
	s_add_u32 s3, s3, s19
	s_addc_u32 s11, 0, s11
	s_mul_i32 s11, s9, s11
	s_mul_hi_u32 s24, s9, s3
	s_add_i32 s24, s24, s11
	s_mul_i32 s11, s9, s3
	v_mov_b32_e32 v1, s11
	s_add_u32 s19, s3, 1
	s_add_u32 s21, s3, 2
	v_sub_co_u32_e32 v1, vcc, s22, v1
	s_cmp_lg_u64 vcc, 0
	s_subb_u32 s11, s23, s24
	v_subrev_co_u32_e32 v2, vcc, s9, v1
	s_cmp_lg_u64 vcc, 0
	s_subb_u32 s22, s11, 0
	v_cmp_le_u32_e32 vcc, s9, v2
	s_cmp_eq_u32 s22, 0
	v_cndmask_b32_e64 v2, 0, -1, vcc
	s_cselect_b64 vcc, -1, 0
	v_cndmask_b32_e32 v2, -1, v2, vcc
	v_mov_b32_e32 v3, s19
	v_mov_b32_e32 v4, s21
	v_cmp_ne_u32_e32 vcc, 0, v2
	v_cndmask_b32_e32 v2, v3, v4, vcc
	v_cmp_le_u32_e32 vcc, s9, v1
	s_cmp_eq_u32 s11, 0
	v_cndmask_b32_e64 v1, 0, -1, vcc
	s_cselect_b64 vcc, -1, 0
	v_cndmask_b32_e32 v1, -1, v1, vcc
	v_mov_b32_e32 v3, s3
	v_cmp_ne_u32_e32 vcc, 0, v1
	v_cndmask_b32_e32 v1, v3, v2, vcc
	v_xor_b32_e32 v1, s10, v1
	v_subrev_co_u32_e32 v2, vcc, s10, v1
	s_cbranch_execnz .LBB42_6
.LBB42_5:
	v_cvt_f32_u32_e32 v1, s9
	s_sub_i32 s0, 0, s9
	s_mov_b32 s1, 0
	v_rcp_iflag_f32_e32 v1, v1
	v_mul_f32_e32 v1, 0x4f7ffffe, v1
	v_cvt_u32_f32_e32 v1, v1
	v_readfirstlane_b32 s3, v1
	s_mul_i32 s0, s0, s3
	s_mul_hi_u32 s0, s3, s0
	s_add_i32 s3, s3, s0
	s_mul_hi_u32 s0, s2, s3
	s_mul_i32 s10, s0, s9
	s_sub_i32 s2, s2, s10
	s_add_i32 s3, s0, 1
	s_sub_i32 s10, s2, s9
	s_cmp_ge_u32 s2, s9
	s_cselect_b32 s0, s3, s0
	s_cselect_b32 s2, s10, s2
	s_add_i32 s3, s0, 1
	s_cmp_ge_u32 s2, s9
	s_cselect_b32 s0, s3, s0
	v_pk_mov_b32 v[2:3], s[0:1], s[0:1] op_sel:[0,1]
.LBB42_6:
	s_waitcnt lgkmcnt(0)
	s_mul_hi_u32 s0, s20, s16
	s_add_i32 s0, s0, s20
	v_mul_hi_u32 v1, v2, s16
	s_lshr_b32 s19, s0, s17
	v_add_u32_e32 v1, v1, v2
	s_mul_i32 s0, s19, s18
	v_lshrrev_b32_e32 v1, s17, v1
	s_cmp_eq_u32 s0, s20
	v_cmp_eq_u32_e64 s[0:1], s19, v1
	v_mul_lo_u32 v1, v1, s18
	v_cmp_eq_u32_e32 vcc, s20, v2
	s_cselect_b64 s[10:11], -1, 0
	v_cmp_ne_u32_e64 s[2:3], v1, v2
	s_and_b64 s[0:1], s[0:1], s[2:3]
	s_or_b64 s[2:3], vcc, s[10:11]
	s_or_b64 s[0:1], s[2:3], s[0:1]
	s_and_b64 vcc, exec, s[0:1]
	s_cbranch_vccnz .LBB42_24
; %bb.7:
	s_load_dwordx8 s[24:31], s[4:5], 0x20
	s_load_dword s0, s[4:5], 0x40
	s_mov_b32 s10, 0
	s_waitcnt lgkmcnt(0)
	s_mul_hi_u32 s1, s20, s24
	s_add_i32 s1, s1, s20
	s_lshr_b32 s11, s1, s25
	s_mul_i32 s1, s11, s26
	s_sub_i32 s1, s20, s1
	s_mul_hi_u32 s2, s1, s27
	s_add_i32 s2, s1, s2
	s_lshr_b32 s24, s2, s28
	s_mul_i32 s2, s24, s29
	s_sub_i32 s1, s1, s2
	;; [unrolled: 5-line block ×3, first 2 shown]
	s_mul_hi_u32 s1, s0, s16
	s_add_i32 s0, s0, s1
	s_lshr_b32 s26, s0, s17
	s_lshl_b32 s0, s26, 3
	s_lshl_b32 s25, s2, 1
	s_add_i32 s0, s0, s7
	s_cmp_lt_i32 s0, s12
	s_cselect_b64 s[0:1], -1, 0
	s_add_i32 s2, s25, s8
	s_cmp_lt_i32 s2, s14
	s_cselect_b64 s[2:3], -1, 0
	s_and_b64 s[0:1], s[0:1], s[2:3]
	s_andn2_b64 vcc, exec, s[0:1]
	s_cbranch_vccnz .LBB42_24
; %bb.8:
	s_load_dwordx4 s[0:3], s[4:5], 0x0
	s_lshl_b32 s21, s7, 1
	s_lshl_b32 s4, s9, 6
	s_mov_b32 s5, s10
	s_add_i32 s21, s21, s8
	s_lshl_b64 s[4:5], s[4:5], 2
	s_waitcnt lgkmcnt(0)
	s_add_u32 s22, s2, s4
	s_mul_i32 s4, s11, s12
	s_addc_u32 s23, s3, s5
	s_add_i32 s4, s4, s7
	s_mul_i32 s4, s4, s13
	s_mul_i32 s24, s24, s14
	s_add_i32 s4, s4, s8
	s_add_i32 s4, s4, s24
	s_mul_i32 s5, s13, s26
	s_add_i32 s4, s4, s25
	s_lshl_b32 s5, s5, 10
	s_lshl_b32 s4, s4, 7
	s_add_i32 s5, s5, s4
	v_or_b32_e32 v2, s5, v0
	v_ashrrev_i32_e32 v3, 31, v2
	v_lshlrev_b64 v[2:3], 2, v[2:3]
	v_mov_b32_e32 v1, s1
	v_add_co_u32_e32 v2, vcc, s0, v2
	v_addc_co_u32_e32 v3, vcc, v1, v3, vcc
	global_load_dword v5, v[2:3], off
	v_lshl_or_b32 v4, s21, 7, v0
	v_cvt_f32_u32_e32 v0, s9
	v_cvt_f32_ubyte0_e32 v1, 0
	s_lshl_b32 s0, s6, 4
	s_add_i32 s0, s21, s0
	v_mac_f32_e32 v0, 0x4f800000, v1
	v_rcp_f32_e32 v0, v0
	v_cvt_f32_u32_e32 v1, s9
	s_ashr_i32 s1, s0, 31
	s_lshl_b64 s[0:1], s[0:1], 3
	v_mul_f32_e32 v0, 0x5f7ffffc, v0
	v_rcp_iflag_f32_e32 v1, v1
	s_add_u32 s0, s2, s0
	v_mul_f32_e32 v9, 0x2f800000, v0
	s_addc_u32 s1, s3, s1
	v_trunc_f32_e32 v10, v9
	s_load_dwordx2 s[0:1], s[0:1], 0x0
	v_mac_f32_e32 v0, 0xcf800000, v10
	v_cvt_u32_f32_e32 v9, v0
	v_mul_f32_e32 v0, 0x4f7ffffe, v1
	v_cvt_u32_f32_e32 v10, v10
	v_cvt_u32_f32_e32 v11, v0
	s_add_i32 s8, s6, -1
	s_waitcnt lgkmcnt(0)
	v_mov_b32_e32 v6, s1
	v_mov_b32_e32 v7, s0
	;; [unrolled: 1-line block ×3, first 2 shown]
	s_mov_b32 s6, 0x3fb8aa3b
	s_mov_b32 s7, 0xc2ce8ed0
	;; [unrolled: 1-line block ×4, first 2 shown]
	v_mov_b32_e32 v12, 0x7f800000
	s_mul_hi_i32 s11, s8, s15
	s_cmp_lg_u64 s[10:11], 0
	s_mul_i32 s4, s8, s15
	s_cbranch_scc0 .LBB42_15
.LBB42_9:
	s_sub_u32 s0, 0, s9
	v_readfirstlane_b32 s5, v9
	v_readfirstlane_b32 s24, v10
	s_subb_u32 s1, 0, 0
	s_mul_hi_u32 s20, s0, s5
	s_mul_i32 s25, s0, s24
	s_mul_i32 s14, s1, s5
	s_add_i32 s20, s20, s25
	s_add_i32 s20, s20, s14
	s_mul_i32 s26, s0, s5
	s_mul_hi_u32 s14, s5, s20
	s_mul_i32 s25, s5, s20
	s_mul_hi_u32 s5, s5, s26
	s_add_u32 s5, s5, s25
	s_addc_u32 s14, 0, s14
	s_mul_hi_u32 s27, s24, s26
	s_mul_i32 s26, s24, s26
	s_add_u32 s5, s5, s26
	s_mul_hi_u32 s25, s24, s20
	s_addc_u32 s5, s14, s27
	s_addc_u32 s14, s25, 0
	s_mul_i32 s20, s24, s20
	s_add_u32 s5, s5, s20
	s_addc_u32 s14, 0, s14
	v_add_co_u32_e32 v0, vcc, s5, v9
	s_cmp_lg_u64 vcc, 0
	s_addc_u32 s5, s24, s14
	v_readfirstlane_b32 s20, v0
	s_mul_i32 s14, s0, s5
	s_mul_hi_u32 s24, s0, s20
	s_add_i32 s14, s24, s14
	s_mul_i32 s1, s1, s20
	s_add_i32 s14, s14, s1
	s_mul_i32 s0, s0, s20
	s_mul_hi_u32 s24, s5, s0
	s_mul_i32 s25, s5, s0
	s_mul_i32 s27, s20, s14
	s_mul_hi_u32 s0, s20, s0
	s_mul_hi_u32 s26, s20, s14
	s_add_u32 s0, s0, s27
	s_addc_u32 s20, 0, s26
	s_add_u32 s0, s0, s25
	s_mul_hi_u32 s1, s5, s14
	s_addc_u32 s0, s20, s24
	s_addc_u32 s1, s1, 0
	s_mul_i32 s14, s5, s14
	s_add_u32 s0, s0, s14
	s_addc_u32 s1, 0, s1
	v_add_co_u32_e32 v0, vcc, s0, v0
	s_cmp_lg_u64 vcc, 0
	s_addc_u32 s5, s5, s1
	s_ashr_i32 s0, s11, 31
	s_add_u32 s24, s4, s0
	s_mov_b32 s1, s0
	s_addc_u32 s25, s11, s0
	s_xor_b64 s[24:25], s[24:25], s[0:1]
	v_readfirstlane_b32 s14, v0
	s_mul_i32 s11, s24, s5
	s_mul_hi_u32 s20, s24, s14
	s_mul_hi_u32 s1, s24, s5
	s_add_u32 s11, s20, s11
	s_addc_u32 s1, 0, s1
	s_mul_hi_u32 s26, s25, s14
	s_mul_i32 s14, s25, s14
	s_add_u32 s11, s11, s14
	s_mul_hi_u32 s20, s25, s5
	s_addc_u32 s1, s1, s26
	s_addc_u32 s11, s20, 0
	s_mul_i32 s5, s25, s5
	s_add_u32 s1, s1, s5
	s_addc_u32 s5, 0, s11
	s_mul_i32 s5, s9, s5
	s_mul_hi_u32 s20, s9, s1
	s_add_i32 s20, s20, s5
	s_mul_i32 s5, s9, s1
	v_mov_b32_e32 v0, s5
	s_add_u32 s11, s1, 1
	s_add_u32 s14, s1, 2
	v_sub_co_u32_e32 v0, vcc, s24, v0
	s_cmp_lg_u64 vcc, 0
	s_subb_u32 s5, s25, s20
	v_subrev_co_u32_e32 v1, vcc, s9, v0
	s_cmp_lg_u64 vcc, 0
	s_subb_u32 s20, s5, 0
	v_cmp_le_u32_e32 vcc, s9, v1
	s_cmp_eq_u32 s20, 0
	v_cndmask_b32_e64 v1, 0, -1, vcc
	s_cselect_b64 vcc, -1, 0
	v_cndmask_b32_e32 v1, -1, v1, vcc
	v_mov_b32_e32 v13, s11
	v_mov_b32_e32 v14, s14
	v_cmp_ne_u32_e32 vcc, 0, v1
	v_cndmask_b32_e32 v1, v13, v14, vcc
	v_cmp_le_u32_e32 vcc, s9, v0
	s_cmp_eq_u32 s5, 0
	v_cndmask_b32_e64 v0, 0, -1, vcc
	s_cselect_b64 vcc, -1, 0
	v_cndmask_b32_e32 v0, -1, v0, vcc
	v_mov_b32_e32 v13, s1
	v_cmp_ne_u32_e32 vcc, 0, v0
	v_cndmask_b32_e32 v0, v13, v1, vcc
	v_xor_b32_e32 v0, s0, v0
	v_subrev_co_u32_e32 v0, vcc, s0, v0
	s_cbranch_execnz .LBB42_11
.LBB42_10:
	s_sub_i32 s0, 0, s9
	v_mul_lo_u32 v0, s0, v11
	v_mul_hi_u32 v0, v11, v0
	v_add_u32_e32 v0, v11, v0
	v_mul_hi_u32 v0, s4, v0
	v_mul_lo_u32 v13, v0, s9
	v_sub_u32_e32 v13, s4, v13
	v_add_u32_e32 v1, 1, v0
	v_subrev_u32_e32 v14, s9, v13
	v_cmp_le_u32_e32 vcc, s9, v13
	v_cndmask_b32_e32 v13, v13, v14, vcc
	v_cndmask_b32_e32 v0, v0, v1, vcc
	v_add_u32_e32 v1, 1, v0
	v_cmp_le_u32_e32 vcc, s9, v13
	v_cndmask_b32_e32 v0, v0, v1, vcc
.LBB42_11:
	v_cmp_ne_u32_e32 vcc, v8, v0
	s_cbranch_vccz .LBB42_14
; %bb.12:
	s_add_i32 s0, s8, s9
	s_lshl_b32 s0, s0, 4
	v_mul_hi_u32 v1, v0, s16
	s_add_i32 s0, s0, s21
	s_mov_b32 s1, s10
	v_add_u32_e32 v1, v1, v0
	s_lshl_b64 s[0:1], s[0:1], 3
	v_lshrrev_b32_e32 v1, s17, v1
	s_add_u32 s4, s2, s0
	v_mul_lo_u32 v13, v1, s18
	s_addc_u32 s5, s3, s1
	v_cmp_eq_u32_e32 vcc, v13, v0
	v_cmp_gt_u32_e64 s[0:1], s19, v1
	s_or_b64 s[0:1], s[0:1], vcc
	s_and_b64 vcc, exec, s[0:1]
	s_cbranch_vccnz .LBB42_16
; %bb.13:
	s_add_i32 s11, s8, -1
	s_mov_b64 s[0:1], 0
	s_branch .LBB42_17
.LBB42_14:
                                        ; implicit-def: $sgpr0_sgpr1
                                        ; implicit-def: $vgpr14
                                        ; implicit-def: $vgpr1
                                        ; implicit-def: $vgpr13
                                        ; implicit-def: $sgpr11
                                        ; implicit-def: $vgpr0
	s_branch .LBB42_18
.LBB42_15:
                                        ; implicit-def: $vgpr0_vgpr1
	s_branch .LBB42_10
.LBB42_16:
	s_mov_b64 s[0:1], -1
	s_mov_b32 s11, s8
	v_mov_b32_e32 v0, v8
.LBB42_17:
	v_lshl_add_u32 v14, s8, 11, v4
	v_ashrrev_i32_e32 v15, 31, v14
	v_lshlrev_b64 v[14:15], 2, v[14:15]
	v_mov_b32_e32 v1, s23
	v_add_co_u32_e32 v14, vcc, s22, v14
	v_addc_co_u32_e32 v15, vcc, v1, v15, vcc
	global_load_dword v14, v[14:15], off
	s_load_dwordx2 s[4:5], s[4:5], 0x0
	v_max_f32_e32 v1, v7, v7
	s_waitcnt lgkmcnt(0)
	v_max_f32_e64 v13, s4, s4
	v_max_f32_e32 v1, v1, v13
	v_sub_f32_e32 v13, v7, v1
	v_sub_f32_e32 v15, s4, v1
	v_mul_f32_e32 v16, 0x3fb8aa3b, v13
	v_mul_f32_e32 v17, 0x3fb8aa3b, v15
	v_fma_f32 v18, v13, s6, -v16
	v_rndne_f32_e32 v19, v16
	v_fma_f32 v20, v15, s6, -v17
	v_rndne_f32_e32 v21, v17
	v_fmac_f32_e32 v18, 0x32a5705f, v13
	v_sub_f32_e32 v16, v16, v19
	v_fmac_f32_e32 v20, 0x32a5705f, v15
	v_sub_f32_e32 v17, v17, v21
	v_add_f32_e32 v16, v16, v18
	v_cvt_i32_f32_e32 v19, v19
	v_add_f32_e32 v17, v17, v20
	v_exp_f32_e32 v16, v16
	v_cvt_i32_f32_e32 v21, v21
	v_exp_f32_e32 v17, v17
	v_cmp_ngt_f32_e32 vcc, s7, v13
	v_ldexp_f32 v16, v16, v19
	v_cndmask_b32_e32 v16, 0, v16, vcc
	v_ldexp_f32 v17, v17, v21
	v_cmp_ngt_f32_e32 vcc, s7, v15
	v_cndmask_b32_e32 v17, 0, v17, vcc
	v_cmp_nlt_f32_e32 vcc, s12, v13
	v_cndmask_b32_e32 v16, v12, v16, vcc
	v_cmp_nlt_f32_e32 vcc, s12, v15
	v_cndmask_b32_e32 v17, v12, v17, vcc
	v_cmp_le_f32_e32 vcc, s13, v13
	v_cndmask_b32_e32 v16, 0, v16, vcc
	v_cmp_le_f32_e32 vcc, s13, v15
	v_cndmask_b32_e32 v15, 0, v17, vcc
	v_mul_f32_e32 v13, s5, v15
	v_fmac_f32_e32 v13, v6, v16
	s_waitcnt vmcnt(0)
	v_mul_f32_e32 v14, v14, v15
	v_fmac_f32_e32 v14, v5, v16
	s_cbranch_execnz .LBB42_19
.LBB42_18:
	s_add_i32 s11, s8, -1
	s_mov_b64 s[0:1], 0
	v_mov_b32_e32 v0, v8
	v_mov_b32_e32 v13, v6
	;; [unrolled: 1-line block ×3, first 2 shown]
	s_waitcnt vmcnt(0)
	v_mov_b32_e32 v14, v5
.LBB42_19:
	s_andn2_b64 vcc, exec, s[0:1]
	s_cbranch_vccz .LBB42_23
; %bb.20:
	v_mov_b32_e32 v8, v0
	s_mov_b32 s8, s11
	v_mov_b32_e32 v6, v13
	v_mov_b32_e32 v7, v1
	s_waitcnt vmcnt(0)
	v_mov_b32_e32 v5, v14
	s_mul_hi_i32 s11, s8, s15
	s_cmp_lg_u64 s[10:11], 0
	s_mul_i32 s4, s8, s15
	s_cbranch_scc1 .LBB42_9
	s_branch .LBB42_15
.LBB42_21:
                                        ; implicit-def: $sgpr20_sgpr21
	s_load_dwordx4 s[16:19], s[4:5], 0x44
	s_branch .LBB42_2
.LBB42_22:
                                        ; implicit-def: $vgpr2_vgpr3
	s_branch .LBB42_5
.LBB42_23:
	v_div_scale_f32 v0, s[0:1], v13, v13, v14
	v_rcp_f32_e32 v1, v0
	v_div_scale_f32 v4, vcc, v14, v13, v14
	s_waitcnt vmcnt(0)
	v_fma_f32 v5, -v0, v1, 1.0
	v_fmac_f32_e32 v1, v5, v1
	v_mul_f32_e32 v5, v4, v1
	v_fma_f32 v6, -v0, v5, v4
	v_fmac_f32_e32 v5, v6, v1
	v_fma_f32 v0, -v0, v5, v4
	v_div_fmas_f32 v0, v0, v1, v5
	v_div_fixup_f32 v0, v0, v13, v14
	global_store_dword v[2:3], v0, off
.LBB42_24:
	s_endpgm
	.section	.rodata,"a",@progbits
	.p2align	6, 0x0
	.amdhsa_kernel _ZL33flash_attn_stream_k_fixup_generalILi128ELi8ELi2EEvPfPK15HIP_vector_typeIfLj2EEiiiiS1_IjLj3EES5_S5_S5_
		.amdhsa_group_segment_fixed_size 0
		.amdhsa_private_segment_fixed_size 0
		.amdhsa_kernarg_size 336
		.amdhsa_user_sgpr_count 6
		.amdhsa_user_sgpr_private_segment_buffer 1
		.amdhsa_user_sgpr_dispatch_ptr 0
		.amdhsa_user_sgpr_queue_ptr 0
		.amdhsa_user_sgpr_kernarg_segment_ptr 1
		.amdhsa_user_sgpr_dispatch_id 0
		.amdhsa_user_sgpr_flat_scratch_init 0
		.amdhsa_user_sgpr_kernarg_preload_length 0
		.amdhsa_user_sgpr_kernarg_preload_offset 0
		.amdhsa_user_sgpr_private_segment_size 0
		.amdhsa_uses_dynamic_stack 0
		.amdhsa_system_sgpr_private_segment_wavefront_offset 0
		.amdhsa_system_sgpr_workgroup_id_x 1
		.amdhsa_system_sgpr_workgroup_id_y 1
		.amdhsa_system_sgpr_workgroup_id_z 1
		.amdhsa_system_sgpr_workgroup_info 0
		.amdhsa_system_vgpr_workitem_id 0
		.amdhsa_next_free_vgpr 22
		.amdhsa_next_free_sgpr 32
		.amdhsa_accum_offset 24
		.amdhsa_reserve_vcc 1
		.amdhsa_reserve_flat_scratch 0
		.amdhsa_float_round_mode_32 0
		.amdhsa_float_round_mode_16_64 0
		.amdhsa_float_denorm_mode_32 3
		.amdhsa_float_denorm_mode_16_64 3
		.amdhsa_dx10_clamp 1
		.amdhsa_ieee_mode 1
		.amdhsa_fp16_overflow 0
		.amdhsa_tg_split 0
		.amdhsa_exception_fp_ieee_invalid_op 0
		.amdhsa_exception_fp_denorm_src 0
		.amdhsa_exception_fp_ieee_div_zero 0
		.amdhsa_exception_fp_ieee_overflow 0
		.amdhsa_exception_fp_ieee_underflow 0
		.amdhsa_exception_fp_ieee_inexact 0
		.amdhsa_exception_int_div_zero 0
	.end_amdhsa_kernel
	.section	.text._ZL33flash_attn_stream_k_fixup_generalILi128ELi8ELi2EEvPfPK15HIP_vector_typeIfLj2EEiiiiS1_IjLj3EES5_S5_S5_,"axG",@progbits,_ZL33flash_attn_stream_k_fixup_generalILi128ELi8ELi2EEvPfPK15HIP_vector_typeIfLj2EEiiiiS1_IjLj3EES5_S5_S5_,comdat
.Lfunc_end42:
	.size	_ZL33flash_attn_stream_k_fixup_generalILi128ELi8ELi2EEvPfPK15HIP_vector_typeIfLj2EEiiiiS1_IjLj3EES5_S5_S5_, .Lfunc_end42-_ZL33flash_attn_stream_k_fixup_generalILi128ELi8ELi2EEvPfPK15HIP_vector_typeIfLj2EEiiiiS1_IjLj3EES5_S5_S5_
                                        ; -- End function
	.section	.AMDGPU.csdata,"",@progbits
; Kernel info:
; codeLenInByte = 2824
; NumSgprs: 36
; NumVgprs: 22
; NumAgprs: 0
; TotalNumVgprs: 22
; ScratchSize: 0
; MemoryBound: 0
; FloatMode: 240
; IeeeMode: 1
; LDSByteSize: 0 bytes/workgroup (compile time only)
; SGPRBlocks: 4
; VGPRBlocks: 2
; NumSGPRsForWavesPerEU: 36
; NumVGPRsForWavesPerEU: 22
; AccumOffset: 24
; Occupancy: 8
; WaveLimiterHint : 0
; COMPUTE_PGM_RSRC2:SCRATCH_EN: 0
; COMPUTE_PGM_RSRC2:USER_SGPR: 6
; COMPUTE_PGM_RSRC2:TRAP_HANDLER: 0
; COMPUTE_PGM_RSRC2:TGID_X_EN: 1
; COMPUTE_PGM_RSRC2:TGID_Y_EN: 1
; COMPUTE_PGM_RSRC2:TGID_Z_EN: 1
; COMPUTE_PGM_RSRC2:TIDIG_COMP_CNT: 0
; COMPUTE_PGM_RSRC3_GFX90A:ACCUM_OFFSET: 5
; COMPUTE_PGM_RSRC3_GFX90A:TG_SPLIT: 0
	.section	.text._ZL15flash_attn_tileILi128ELi128ELi4ELi2ELb0EEvPKcS1_S1_S1_S1_PKiPfP15HIP_vector_typeIfLj2EEffffjfiS5_IjLj3EEiiiiiiiiiiiliiliiiiil,"axG",@progbits,_ZL15flash_attn_tileILi128ELi128ELi4ELi2ELb0EEvPKcS1_S1_S1_S1_PKiPfP15HIP_vector_typeIfLj2EEffffjfiS5_IjLj3EEiiiiiiiiiiiliiliiiiil,comdat
	.globl	_ZL15flash_attn_tileILi128ELi128ELi4ELi2ELb0EEvPKcS1_S1_S1_S1_PKiPfP15HIP_vector_typeIfLj2EEffffjfiS5_IjLj3EEiiiiiiiiiiiliiliiiiil ; -- Begin function _ZL15flash_attn_tileILi128ELi128ELi4ELi2ELb0EEvPKcS1_S1_S1_S1_PKiPfP15HIP_vector_typeIfLj2EEffffjfiS5_IjLj3EEiiiiiiiiiiiliiliiiiil
	.p2align	8
	.type	_ZL15flash_attn_tileILi128ELi128ELi4ELi2ELb0EEvPKcS1_S1_S1_S1_PKiPfP15HIP_vector_typeIfLj2EEffffjfiS5_IjLj3EEiiiiiiiiiiiliiliiiiil,@function
_ZL15flash_attn_tileILi128ELi128ELi4ELi2ELb0EEvPKcS1_S1_S1_S1_PKiPfP15HIP_vector_typeIfLj2EEffffjfiS5_IjLj3EEiiiiiiiiiiiliiliiiiil: ; @_ZL15flash_attn_tileILi128ELi128ELi4ELi2ELb0EEvPKcS1_S1_S1_S1_PKiPfP15HIP_vector_typeIfLj2EEffffjfiS5_IjLj3EEiiiiiiiiiiiliiliiiiil
; %bb.0:
	s_load_dwordx4 s[28:31], s[4:5], 0x5c
	s_load_dwordx2 s[34:35], s[4:5], 0x80
	s_load_dwordx16 s[12:27], s[4:5], 0x0
	s_mov_b64 s[36:37], 0
	s_waitcnt lgkmcnt(0)
	s_lshr_b32 s0, s31, 31
	s_add_i32 s0, s31, s0
	s_ashr_i32 s0, s0, 1
	v_cvt_f32_u32_e32 v1, s0
	s_sub_i32 s1, 0, s0
	v_rcp_iflag_f32_e32 v1, v1
	v_mul_f32_e32 v1, 0x4f7ffffe, v1
	v_cvt_u32_f32_e32 v1, v1
	v_readfirstlane_b32 s2, v1
	s_mul_i32 s1, s1, s2
	s_mul_hi_u32 s1, s2, s1
	s_add_i32 s2, s2, s1
	s_mul_hi_u32 s1, s8, s2
	s_mul_i32 s2, s1, s0
	s_sub_i32 s2, s8, s2
	s_add_i32 s3, s1, 1
	s_sub_i32 s9, s2, s0
	s_cmp_ge_u32 s2, s0
	s_cselect_b32 s1, s3, s1
	s_cselect_b32 s2, s9, s2
	s_add_i32 s3, s1, 1
	s_cmp_ge_u32 s2, s0
	s_cselect_b32 s33, s3, s1
	s_abs_i32 s0, s35
	v_cvt_f32_u32_e32 v1, s0
	s_lshl_b32 s1, s8, 1
	s_mul_i32 s8, s33, s31
	s_xor_b32 s2, s31, s35
	v_rcp_iflag_f32_e32 v1, v1
	s_sub_i32 s9, 0, s0
	s_sub_i32 s35, s1, s8
	s_abs_i32 s3, s31
	v_mul_f32_e32 v1, 0x4f7ffffe, v1
	v_cvt_u32_f32_e32 v1, v1
	s_ashr_i32 s2, s2, 31
	v_readfirstlane_b32 s1, v1
	s_mul_i32 s9, s9, s1
	s_mul_hi_u32 s8, s1, s9
	s_add_i32 s1, s1, s8
	s_mul_hi_u32 s1, s3, s1
	s_mul_i32 s8, s1, s0
	s_sub_i32 s3, s3, s8
	s_add_i32 s9, s1, 1
	s_sub_i32 s8, s3, s0
	s_cmp_ge_u32 s3, s0
	s_cselect_b32 s1, s9, s1
	s_cselect_b32 s3, s8, s3
	s_add_i32 s8, s1, 1
	s_cmp_ge_u32 s3, s0
	s_cselect_b32 s0, s8, s1
	s_xor_b32 s0, s0, s2
	s_sub_i32 s9, s0, s2
	s_abs_i32 s8, s9
	v_cvt_f32_u32_e32 v1, s8
	s_load_dwordx2 s[0:1], s[4:5], 0xb8
	s_cmp_eq_u64 s[18:19], 0
	v_rcp_iflag_f32_e32 v1, v1
	v_mul_f32_e32 v1, 0x4f7ffffe, v1
	v_cvt_u32_f32_e32 v1, v1
	v_readfirstlane_b32 s10, v1
	s_cbranch_scc1 .LBB43_2
; %bb.1:
	s_waitcnt lgkmcnt(0)
	s_abs_i32 s0, s0
	v_cvt_f32_u32_e32 v1, s0
	s_sub_i32 s37, 0, s0
	s_abs_i32 s36, s33
	s_ashr_i32 s11, s33, 31
	v_rcp_iflag_f32_e32 v1, v1
	s_load_dwordx2 s[2:3], s[4:5], 0xc8
	v_mul_f32_e32 v1, 0x4f7ffffe, v1
	v_cvt_u32_f32_e32 v1, v1
	v_readfirstlane_b32 s38, v1
	s_mul_i32 s37, s37, s38
	s_mul_hi_u32 s37, s38, s37
	s_add_i32 s38, s38, s37
	s_mul_hi_u32 s37, s36, s38
	s_mul_i32 s37, s37, s0
	s_sub_i32 s36, s36, s37
	s_sub_i32 s37, s36, s0
	s_cmp_ge_u32 s36, s0
	s_cselect_b32 s36, s37, s36
	s_sub_i32 s37, s36, s0
	s_cmp_ge_u32 s36, s0
	s_cselect_b32 s0, s37, s36
	s_xor_b32 s0, s0, s11
	s_sub_i32 s0, s0, s11
	s_ashr_i32 s11, s0, 31
	s_waitcnt lgkmcnt(0)
	s_mul_i32 s3, s0, s3
	s_mul_hi_u32 s36, s0, s2
	s_add_i32 s3, s36, s3
	s_mul_i32 s11, s11, s2
	s_add_i32 s3, s3, s11
	s_mul_i32 s0, s0, s2
	s_add_u32 s36, s18, s0
	s_addc_u32 s37, s19, s3
.LBB43_2:
	s_load_dwordx4 s[40:43], s[4:5], 0x70
	v_bfe_u32 v1, v0, 10, 10
	v_lshrrev_b32_e32 v2, 1, v1
	v_lshl_add_u32 v30, s6, 2, v2
	v_mul_hi_u32 v2, s28, v30
	s_waitcnt lgkmcnt(0)
	s_mul_i32 s0, s33, s42
	s_ashr_i32 s3, s0, 31
	s_mul_i32 s2, s35, s41
	s_add_u32 s0, s12, s0
	s_addc_u32 s3, s13, s3
	s_ashr_i32 s11, s2, 31
	s_add_u32 s0, s0, s2
	s_addc_u32 s11, s3, s11
	s_ashr_i32 s2, s41, 31
	v_mov_b32_e32 v3, s41
	v_add_u32_e32 v2, v30, v2
	v_and_b32_e32 v9, 1, v1
	v_alignbit_b32 v3, s2, v3, 2
	v_lshrrev_b32_e32 v2, s29, v2
	v_mul_lo_u32 v4, v3, v9
	v_mul_lo_u32 v2, v2, s30
	s_ashr_i32 s12, s40, 31
	v_mov_b32_e32 v3, s40
	s_lshr_b32 s3, s2, 2
	v_sub_u32_e32 v2, v30, v2
	v_alignbit_b32 v3, s12, v3, 2
	v_mul_lo_u32 v5, s3, v9
	v_mad_u64_u32 v[6:7], s[2:3], v3, v2, 0
	v_mov_b32_e32 v8, v7
	s_lshr_b32 s2, s12, 2
	v_mad_u64_u32 v[10:11], s[2:3], s2, v2, v[8:9]
	v_lshlrev_b64 v[4:5], 2, v[4:5]
	v_mov_b32_e32 v7, v10
	v_and_b32_e32 v8, 0x3ff, v0
	v_mov_b32_e32 v0, s11
	v_add_co_u32_e32 v3, vcc, s0, v4
	v_addc_co_u32_e32 v0, vcc, v0, v5, vcc
	v_lshlrev_b64 v[4:5], 2, v[6:7]
	v_add_co_u32_e32 v3, vcc, v3, v4
	v_addc_co_u32_e32 v0, vcc, v0, v5, vcc
	v_lshlrev_b32_e32 v4, 4, v8
	v_add_co_u32_e32 v4, vcc, v3, v4
	v_addc_co_u32_e32 v5, vcc, 0, v0, vcc
	global_load_dwordx4 v[4:7], v[4:5], off
	s_load_dword s0, s[4:5], 0x40
	v_lshlrev_b32_e32 v0, 6, v1
	v_lshlrev_b32_e32 v3, 1, v8
	v_add_lshl_u32 v0, v0, v3, 2
	s_cmp_eq_u64 s[22:23], 0
	s_waitcnt vmcnt(0) lgkmcnt(0)
	v_pk_mul_f32 v[4:5], v[4:5], s[0:1] op_sel_hi:[1,0]
	v_pk_mul_f32 v[6:7], v[6:7], s[0:1] op_sel_hi:[1,0]
	v_cvt_f16_f32_e32 v10, v5
	v_cvt_f16_f32_e32 v5, v7
	;; [unrolled: 1-line block ×4, first 2 shown]
	v_pack_b32_f16 v5, v6, v5
	v_pack_b32_f16 v4, v4, v10
	ds_write_b64 v0, v[4:5] offset:17408
	s_waitcnt lgkmcnt(0)
	s_barrier
	s_cbranch_scc1 .LBB43_4
; %bb.3:
	s_load_dword s0, s[4:5], 0xd0
	s_mov_b32 s3, 0
	s_waitcnt lgkmcnt(0)
	s_mul_i32 s0, s0, s33
	s_add_i32 s2, s0, s6
	s_lshl_b64 s[2:3], s[2:3], 2
	s_add_u32 s2, s22, s2
	s_addc_u32 s3, s23, s3
	s_load_dword s34, s[2:3], 0x0
.LBB43_4:
	s_lshl_b32 s6, s7, 6
	s_waitcnt lgkmcnt(0)
	s_cmp_lt_i32 s6, s34
	v_mbcnt_lo_u32_b32 v0, -1, 0
	s_cbranch_scc1 .LBB43_6
; %bb.5:
	v_mbcnt_hi_u32_b32 v11, -1, v0
	v_and_b32_e32 v3, 0x60, v11
	s_mov_b32 s0, 0
	v_add_u32_e32 v29, 32, v3
	v_xor_b32_e32 v36, 16, v11
	v_xor_b32_e32 v35, 8, v11
	v_xor_b32_e32 v34, 4, v11
	v_xor_b32_e32 v33, 2, v11
	v_xor_b32_e32 v32, 1, v11
	s_mov_b64 s[2:3], 0
	s_mov_b32 s11, 0xfeffffff
	s_branch .LBB43_7
.LBB43_6:
	s_mov_b64 s[2:3], -1
                                        ; implicit-def: $sgpr11
                                        ; implicit-def: $sgpr0
                                        ; implicit-def: $vgpr11
                                        ; implicit-def: $vgpr29
                                        ; implicit-def: $vgpr36
                                        ; implicit-def: $vgpr35
                                        ; implicit-def: $vgpr34
                                        ; implicit-def: $vgpr33
                                        ; implicit-def: $vgpr32
.LBB43_7:
	v_lshlrev_b32_e32 v31, 2, v8
	s_andn2_b64 vcc, exec, s[2:3]
	v_mov_b32_e32 v28, s11
	v_mov_b32_e32 v62, s0
	;; [unrolled: 1-line block ×4, first 2 shown]
	s_cbranch_vccnz .LBB43_10
; %bb.8:
	s_load_dwordx2 s[2:3], s[4:5], 0x8c
	s_load_dwordx4 s[40:43], s[4:5], 0x98
	s_sub_i32 s0, 0, s8
	s_mul_i32 s0, s0, s10
	s_mul_hi_u32 s0, s10, s0
	s_waitcnt lgkmcnt(0)
	s_ashr_i32 s23, s2, 2
	s_ashr_i32 s2, s33, 31
	s_mul_i32 s18, s33, s41
	s_mul_hi_u32 s19, s33, s40
	s_add_i32 s18, s19, s18
	s_mul_i32 s19, s2, s40
	s_abs_i32 s12, s35
	s_add_i32 s10, s10, s0
	s_ashr_i32 s13, s35, 31
	s_ashr_i32 s9, s9, 31
	;; [unrolled: 1-line block ×4, first 2 shown]
	s_add_i32 s18, s18, s19
	s_mul_i32 s19, s33, s40
	s_mul_hi_u32 s0, s12, s10
	s_add_u32 s14, s14, s19
	s_addc_u32 s15, s15, s18
	s_xor_b32 s9, s13, s9
	s_mul_i32 s13, s0, s8
	s_sub_i32 s12, s12, s13
	s_add_i32 s13, s0, 1
	s_sub_i32 s18, s12, s8
	s_cmp_ge_u32 s12, s8
	s_cselect_b32 s0, s13, s0
	s_cselect_b32 s12, s18, s12
	s_add_i32 s13, s0, 1
	s_cmp_ge_u32 s12, s8
	s_cselect_b32 s0, s13, s0
	s_load_dwordx2 s[10:11], s[4:5], 0xa8
	s_xor_b32 s0, s0, s9
	s_sub_i32 s0, s0, s9
	s_mul_i32 s3, s0, s3
	s_ashr_i32 s8, s3, 31
	s_add_u32 s28, s14, s3
	s_addc_u32 s29, s15, s8
	s_waitcnt lgkmcnt(0)
	s_mul_i32 s3, s33, s11
	s_mul_hi_u32 s8, s33, s10
	s_add_i32 s3, s8, s3
	s_mul_i32 s2, s2, s10
	s_add_i32 s3, s3, s2
	s_mul_i32 s2, s33, s10
	s_add_u32 s2, s16, s2
	s_mul_i32 s0, s0, s43
	s_addc_u32 s3, s17, s3
	s_ashr_i32 s8, s0, 31
	v_lshrrev_b32_e32 v3, 4, v8
	v_and_b32_e32 v4, 60, v31
	s_add_u32 s38, s2, s0
	v_lshl_add_u32 v3, v1, 1, v3
	v_lshlrev_b32_e32 v5, 2, v4
	s_movk_i32 s0, 0x110
	s_addc_u32 s39, s3, s8
	v_mad_u32_u24 v37, v3, s0, v5
	v_mul_lo_u32 v6, s23, v3
	s_lshl_b32 s0, s23, 4
	v_add_u32_e32 v14, s0, v6
	v_add_u32_e32 v16, s0, v14
	v_mov_b32_e32 v10, 0x4400
	v_add_u32_e32 v18, s0, v16
	v_lshl_add_u32 v42, v1, 8, v10
	v_mad_u64_u32 v[10:11], s[0:1], v2, s1, v[8:9]
	v_mov_b32_e32 v2, 0x4c00
	v_lshl_add_u32 v44, v1, 7, v2
	v_mul_lo_u32 v2, s22, v3
	s_lshl_b32 s0, s22, 4
	v_add_u32_e32 v22, s0, v2
	v_add_u32_e32 v24, s0, v22
	v_add_u32_e32 v26, s0, v24
	v_mbcnt_hi_u32_b32 v11, -1, v0
	v_ashrrev_i32_e32 v7, 31, v6
	v_ashrrev_i32_e32 v15, 31, v14
	;; [unrolled: 1-line block ×4, first 2 shown]
	v_lshl_or_b32 v46, v3, 8, v5
	v_ashrrev_i32_e32 v3, 31, v2
	v_ashrrev_i32_e32 v23, 31, v22
	v_ashrrev_i32_e32 v25, 31, v24
	v_ashrrev_i32_e32 v27, 31, v26
	v_lshlrev_b32_e32 v50, 3, v8
	s_add_u32 s18, s4, 0xd0
	v_and_b32_e32 v0, 0x60, v11
	v_mov_b32_e32 v39, 0
	v_add_u32_e32 v38, 0x1100, v37
	v_add_u32_e32 v40, 0x2200, v37
	;; [unrolled: 1-line block ×3, first 2 shown]
	v_mul_u32_u24_e32 v43, 0x110, v8
	v_lshl_add_u32 v45, v8, 1, v44
	v_add_u32_e32 v47, 0x1000, v46
	v_add_u32_e32 v48, 0x2000, v46
	;; [unrolled: 1-line block ×3, first 2 shown]
	s_addc_u32 s19, s5, 0
	v_mov_b32_e32 v28, 0xfeffffff
	v_lshlrev_b64 v[12:13], 2, v[6:7]
	v_lshlrev_b32_e32 v51, 2, v4
	v_lshlrev_b64 v[14:15], 2, v[14:15]
	v_lshlrev_b64 v[16:17], 2, v[16:17]
	;; [unrolled: 1-line block ×3, first 2 shown]
	v_mov_b32_e32 v52, s37
	v_add_u32_e32 v29, 32, v0
	v_xor_b32_e32 v36, 16, v11
	v_xor_b32_e32 v35, 8, v11
	;; [unrolled: 1-line block ×5, first 2 shown]
	s_mov_b32 s37, 0x3fb8aa3b
	s_mov_b32 s40, 0xc2ce8ed0
	;; [unrolled: 1-line block ×3, first 2 shown]
	v_mov_b32_e32 v53, 0x7f800000
	v_lshlrev_b64 v[20:21], 2, v[2:3]
	v_lshlrev_b64 v[22:23], 2, v[22:23]
	;; [unrolled: 1-line block ×4, first 2 shown]
	v_add_u32_e32 v54, 0x800, v50
	v_add_u32_e32 v55, 0x1000, v50
	;; [unrolled: 1-line block ×7, first 2 shown]
	v_mov_b32_e32 v61, 0
	v_mov_b32_e32 v62, 0
.LBB43_9:                               ; =>This Inner Loop Header: Depth=1
	s_mul_hi_i32 s13, s6, s23
	s_mul_i32 s12, s6, s23
	v_add_u32_e32 v2, s6, v10
	v_cmp_lt_i32_e64 s[0:1], v35, v29
	v_cmp_lt_i32_e64 s[10:11], v32, v29
	v_cndmask_b32_e64 v7, v11, v35, s[0:1]
	s_lshl_b64 s[0:1], s[12:13], 2
	v_ashrrev_i32_e32 v3, 31, v2
	v_cmp_lt_i32_e32 vcc, v36, v29
	v_cmp_lt_i32_e64 s[8:9], v33, v29
	v_cndmask_b32_e64 v63, v11, v32, s[10:11]
	s_add_u32 s10, s28, s0
	v_lshlrev_b64 v[2:3], 1, v[2:3]
	v_cmp_lt_i32_e64 s[2:3], v34, v29
	v_mov_b32_e32 v5, v62
	s_mul_hi_i32 s15, s6, s22
	s_mul_i32 s14, s6, s22
	v_cndmask_b32_e32 v6, v11, v36, vcc
	v_cndmask_b32_e64 v62, v11, v33, s[8:9]
	s_addc_u32 s12, s29, s1
	v_add_co_u32_e32 v2, vcc, s36, v2
	v_mov_b32_e32 v4, v28
	v_cndmask_b32_e64 v28, v11, v34, s[2:3]
	v_lshlrev_b32_e32 v92, 2, v6
	v_lshlrev_b32_e32 v93, 2, v7
	;; [unrolled: 1-line block ×4, first 2 shown]
	s_lshl_b64 s[42:43], s[14:15], 2
	v_add_co_u32_e64 v6, s[0:1], s10, v14
	v_add_co_u32_e64 v7, s[2:3], s10, v16
	;; [unrolled: 1-line block ×4, first 2 shown]
	v_addc_co_u32_e32 v3, vcc, v52, v3, vcc
	v_mov_b32_e32 v64, s12
	v_mov_b32_e32 v65, s12
	;; [unrolled: 1-line block ×4, first 2 shown]
	s_add_u32 s42, s38, s42
	v_add_co_u32_e32 v6, vcc, v6, v51
	v_add_co_u32_e64 v78, s[12:13], v7, v51
	v_add_co_u32_e64 v80, s[14:15], v62, v51
	;; [unrolled: 1-line block ×3, first 2 shown]
	v_addc_co_u32_e64 v7, s[10:11], v64, v13, s[10:11]
	v_addc_co_u32_e64 v62, s[0:1], v65, v15, s[0:1]
	;; [unrolled: 1-line block ×4, first 2 shown]
	v_add_co_u32_e64 v65, s[0:1], s42, v20
	v_add_co_u32_e64 v66, s[2:3], s42, v22
	;; [unrolled: 1-line block ×4, first 2 shown]
	v_addc_co_u32_e64 v83, s[16:17], 0, v7, s[16:17]
	v_addc_co_u32_e32 v7, vcc, 0, v62, vcc
	v_addc_co_u32_e64 v79, vcc, 0, v63, s[12:13]
	v_addc_co_u32_e64 v81, vcc, 0, v64, s[14:15]
	v_add_co_u32_e32 v84, vcc, v66, v51
	v_add_co_u32_e64 v86, s[12:13], v67, v51
	v_add_co_u32_e64 v88, s[14:15], v68, v51
	;; [unrolled: 1-line block ×3, first 2 shown]
	global_load_dwordx4 v[62:65], v[82:83], off
	global_load_dwordx4 v[66:69], v[6:7], off
	;; [unrolled: 1-line block ×4, first 2 shown]
	v_mov_b32_e32 v0, 0
	v_mov_b32_e32 v1, 0
	s_waitcnt vmcnt(3)
	ds_write_b128 v37, v[62:65]
	s_waitcnt vmcnt(2)
	ds_write_b128 v38, v[66:69]
	;; [unrolled: 2-line block ×4, first 2 shown]
	s_waitcnt lgkmcnt(0)
	s_barrier
	ds_read_b128 v[62:65], v43
	ds_read_b128 v[66:69], v42
	ds_read_b128 v[70:73], v43 offset:8704
	s_waitcnt lgkmcnt(1)
	;;#ASMSTART
	v_dot2_f32_f16 v0, v62, v66, v0
	;;#ASMEND
	;;#ASMSTART
	v_dot2_f32_f16 v0, v63, v67, v0
	;;#ASMEND
	;;#ASMSTART
	v_dot2_f32_f16 v0, v64, v68, v0
	;;#ASMEND
	;;#ASMSTART
	v_dot2_f32_f16 v0, v65, v69, v0
	;;#ASMEND
	s_waitcnt lgkmcnt(0)
	;;#ASMSTART
	v_dot2_f32_f16 v1, v70, v66, v1
	;;#ASMEND
	;;#ASMSTART
	v_dot2_f32_f16 v1, v71, v67, v1
	;;#ASMEND
	;;#ASMSTART
	v_dot2_f32_f16 v1, v72, v68, v1
	;;#ASMEND
	;;#ASMSTART
	v_dot2_f32_f16 v1, v73, v69, v1
	;;#ASMEND
	ds_read_b128 v[62:65], v43 offset:16
	ds_read_b128 v[66:69], v42 offset:16
	ds_read_b128 v[70:73], v43 offset:8720
	s_waitcnt lgkmcnt(1)
	;;#ASMSTART
	v_dot2_f32_f16 v0, v62, v66, v0
	;;#ASMEND
	;;#ASMSTART
	v_dot2_f32_f16 v0, v63, v67, v0
	;;#ASMEND
	;;#ASMSTART
	v_dot2_f32_f16 v0, v64, v68, v0
	;;#ASMEND
	;;#ASMSTART
	v_dot2_f32_f16 v0, v65, v69, v0
	;;#ASMEND
	s_waitcnt lgkmcnt(0)
	;;#ASMSTART
	v_dot2_f32_f16 v1, v70, v66, v1
	;;#ASMEND
	;;#ASMSTART
	v_dot2_f32_f16 v1, v71, v67, v1
	;;#ASMEND
	;;#ASMSTART
	v_dot2_f32_f16 v1, v72, v68, v1
	;;#ASMEND
	;;#ASMSTART
	v_dot2_f32_f16 v1, v73, v69, v1
	;;#ASMEND
	ds_read_b128 v[62:65], v43 offset:32
	ds_read_b128 v[66:69], v42 offset:32
	;; [unrolled: 29-line block ×15, first 2 shown]
	ds_read_b128 v[70:73], v43 offset:8944
	s_waitcnt lgkmcnt(1)
	;;#ASMSTART
	v_dot2_f32_f16 v0, v62, v66, v0
	;;#ASMEND
	;;#ASMSTART
	v_dot2_f32_f16 v0, v63, v67, v0
	;;#ASMEND
	;; [unrolled: 3-line block ×3, first 2 shown]
	s_addc_u32 s43, s39, s43
	;;#ASMSTART
	v_dot2_f32_f16 v0, v65, v69, v0
	;;#ASMEND
	s_waitcnt lgkmcnt(0)
	;;#ASMSTART
	v_dot2_f32_f16 v1, v70, v66, v1
	;;#ASMEND
	v_mov_b32_e32 v85, s43
	v_mov_b32_e32 v87, s43
	;;#ASMSTART
	v_dot2_f32_f16 v1, v71, v67, v1
	;;#ASMEND
	v_mov_b32_e32 v91, s43
	v_addc_co_u32_e64 v6, s[0:1], v85, v21, s[0:1]
	v_addc_co_u32_e64 v7, s[0:1], v87, v23, s[2:3]
	;;#ASMSTART
	v_dot2_f32_f16 v1, v72, v68, v1
	;;#ASMEND
	v_addc_co_u32_e64 v79, s[0:1], v91, v27, s[10:11]
	v_addc_co_u32_e64 v91, s[0:1], 0, v6, s[16:17]
	v_addc_co_u32_e32 v85, vcc, 0, v7, vcc
	;;#ASMSTART
	v_dot2_f32_f16 v1, v73, v69, v1
	;;#ASMEND
	flat_load_ushort v6, v[2:3] offset:64
	flat_load_ushort v7, v[2:3]
	v_mov_b32_e32 v89, s43
	v_addc_co_u32_e64 v78, s[0:1], v89, v25, s[8:9]
	v_addc_co_u32_e64 v87, vcc, 0, v78, s[12:13]
	v_addc_co_u32_e64 v89, vcc, 0, v79, s[14:15]
	s_waitcnt lgkmcnt(0)
	s_barrier
	global_load_dwordx4 v[64:67], v[90:91], off
	global_load_dwordx4 v[68:71], v[84:85], off
	;; [unrolled: 1-line block ×4, first 2 shown]
	v_lshlrev_b32_e32 v28, 2, v28
	s_waitcnt vmcnt(0)
	v_cvt_f32_f16_e32 v3, v6
	v_cvt_f32_f16_e32 v2, v7
	v_pk_add_f32 v[0:1], v[0:1], v[2:3]
	v_add_f32_e32 v2, 0x40051340, v0
	v_add_f32_e32 v3, 0x40051340, v1
	v_max3_f32 v2, v4, v2, v3
	ds_bpermute_b32 v3, v92, v2
	s_waitcnt lgkmcnt(0)
	v_max_f32_e32 v3, v3, v3
	v_max_f32_e32 v2, v2, v3
	ds_bpermute_b32 v3, v93, v2
	s_waitcnt lgkmcnt(0)
	v_max_f32_e32 v3, v3, v3
	v_max_f32_e32 v2, v2, v3
	;; [unrolled: 4-line block ×5, first 2 shown]
	v_pk_add_f32 v[0:1], v[0:1], v[28:29] op_sel_hi:[1,0] neg_lo:[0,1] neg_hi:[0,1]
	v_sub_f32_e32 v2, v4, v28
	v_mul_f32_e32 v4, 0x3fb8aa3b, v0
	v_mul_f32_e32 v3, 0x3fb8aa3b, v1
	v_fma_f32 v63, v0, s37, -v4
	v_rndne_f32_e32 v80, v4
	v_mul_f32_e32 v6, 0x3fb8aa3b, v2
	v_cmp_ngt_f32_e32 vcc, s40, v0
	v_cmp_nlt_f32_e64 s[8:9], s41, v0
	v_fma_f32 v7, v1, s37, -v3
	v_rndne_f32_e32 v62, v3
	v_fmac_f32_e32 v63, 0x32a5705f, v0
	v_sub_f32_e32 v0, v4, v80
	v_cmp_ngt_f32_e64 s[2:3], s40, v1
	v_cmp_nlt_f32_e64 s[12:13], s41, v1
	v_fma_f32 v81, v2, s37, -v6
	v_rndne_f32_e32 v82, v6
	v_fmac_f32_e32 v7, 0x32a5705f, v1
	v_sub_f32_e32 v1, v3, v62
	v_add_f32_e32 v0, v0, v63
	v_cmp_ngt_f32_e64 s[0:1], s40, v2
	v_cmp_nlt_f32_e64 s[10:11], s41, v2
	v_cvt_i32_f32_e32 v4, v80
	v_fmac_f32_e32 v81, 0x32a5705f, v2
	v_sub_f32_e32 v2, v6, v82
	v_add_f32_e32 v1, v1, v7
	v_exp_f32_e32 v0, v0
	v_cvt_i32_f32_e32 v3, v62
	v_add_f32_e32 v2, v2, v81
	v_exp_f32_e32 v1, v1
	v_cvt_i32_f32_e32 v6, v82
	v_exp_f32_e32 v2, v2
	v_ldexp_f32 v0, v0, v4
	v_ldexp_f32 v1, v1, v3
	v_cndmask_b32_e32 v0, 0, v0, vcc
	v_ldexp_f32 v2, v2, v6
	v_cndmask_b32_e64 v1, 0, v1, s[2:3]
	v_cndmask_b32_e64 v0, v53, v0, s[8:9]
	;; [unrolled: 1-line block ×4, first 2 shown]
	v_cvt_f16_f32_e32 v3, v0
	v_cndmask_b32_e64 v2, v53, v2, s[10:11]
	v_add_f32_e32 v62, v0, v1
	v_cvt_f16_f32_e32 v0, v1
	v_cvt_f16_f32_e32 v63, v2
	v_fmac_f32_e32 v62, v5, v2
	ds_write_b16 v45, v3
	ds_write_b16 v45, v0 offset:64
	ds_write_b128 v46, v[64:67]
	ds_write_b128 v47, v[68:71]
	;; [unrolled: 1-line block ×4, first 2 shown]
	s_waitcnt lgkmcnt(0)
	s_barrier
	ds_read2_b64 v[64:67], v50 offset1:32
	ds_read_b128 v[68:71], v44
	ds_read_b128 v[72:75], v44 offset:16
	ds_read_b128 v[4:7], v44 offset:32
	;; [unrolled: 1-line block ×3, first 2 shown]
	ds_read2_b64 v[76:79], v50 offset0:64 offset1:96
	ds_read2_b64 v[80:83], v50 offset0:128 offset1:160
	ds_read2_b64 v[84:87], v50 offset0:192 offset1:224
	ds_read2_b64 v[88:91], v54 offset1:32
	ds_read2_b64 v[92:95], v54 offset0:64 offset1:96
	ds_read2_b64 v[96:99], v54 offset0:128 offset1:160
	ds_read2_b64 v[100:103], v54 offset0:192 offset1:224
	ds_read2_b64 v[104:107], v55 offset1:32
	;; [unrolled: 4-line block ×5, first 2 shown]
	s_waitcnt lgkmcnt(14)
	v_pk_mul_f16 v64, v64, v68 op_sel_hi:[1,0]
	v_pk_mul_f16 v65, v65, v68 op_sel_hi:[1,0]
	v_pk_fma_f16 v39, v39, v63, v64 op_sel_hi:[1,0,1]
	v_pk_fma_f16 v61, v61, v63, v65 op_sel_hi:[1,0,1]
	v_pk_fma_f16 v39, v66, v68, v39 op_sel:[0,1,0]
	v_pk_fma_f16 v61, v67, v68, v61 op_sel:[0,1,0]
	v_pk_fma_f16 v39, v76, v69, v39 op_sel_hi:[1,0,1]
	v_pk_fma_f16 v61, v77, v69, v61 op_sel_hi:[1,0,1]
	v_pk_fma_f16 v39, v78, v69, v39 op_sel:[0,1,0]
	v_pk_fma_f16 v61, v79, v69, v61 op_sel:[0,1,0]
	;; [unrolled: 4-line block ×7, first 2 shown]
	s_waitcnt lgkmcnt(13)
	v_pk_fma_f16 v39, v100, v75, v39 op_sel_hi:[1,0,1]
	v_pk_fma_f16 v61, v101, v75, v61 op_sel_hi:[1,0,1]
	v_pk_fma_f16 v39, v102, v75, v39 op_sel:[0,1,0]
	v_pk_fma_f16 v61, v103, v75, v61 op_sel:[0,1,0]
	s_waitcnt lgkmcnt(12)
	v_pk_fma_f16 v39, v104, v4, v39 op_sel_hi:[1,0,1]
	v_pk_fma_f16 v61, v105, v4, v61 op_sel_hi:[1,0,1]
	v_pk_fma_f16 v39, v106, v4, v39 op_sel:[0,1,0]
	v_pk_fma_f16 v4, v107, v4, v61 op_sel:[0,1,0]
	;; [unrolled: 5-line block ×6, first 2 shown]
	s_waitcnt lgkmcnt(7)
	v_pk_fma_f16 v39, v124, v1, v39 op_sel_hi:[1,0,1]
	v_pk_fma_f16 v0, v125, v1, v0 op_sel_hi:[1,0,1]
	ds_read_b128 v[156:159], v44 offset:64
	ds_read_b128 v[64:67], v44 offset:80
	v_pk_fma_f16 v39, v126, v1, v39 op_sel:[0,1,0]
	v_pk_fma_f16 v0, v127, v1, v0 op_sel:[0,1,0]
	s_waitcnt lgkmcnt(8)
	v_pk_fma_f16 v1, v128, v2, v39 op_sel_hi:[1,0,1]
	v_pk_fma_f16 v0, v129, v2, v0 op_sel_hi:[1,0,1]
	v_pk_fma_f16 v1, v130, v2, v1 op_sel:[0,1,0]
	v_pk_fma_f16 v0, v131, v2, v0 op_sel:[0,1,0]
	s_waitcnt lgkmcnt(7)
	v_pk_fma_f16 v1, v132, v3, v1 op_sel_hi:[1,0,1]
	v_pk_fma_f16 v0, v133, v3, v0 op_sel_hi:[1,0,1]
	;; [unrolled: 5-line block ×3, first 2 shown]
	v_pk_fma_f16 v1, v138, v156, v1 op_sel:[0,1,0]
	v_pk_fma_f16 v0, v139, v156, v0 op_sel:[0,1,0]
	v_pk_fma_f16 v1, v140, v157, v1 op_sel_hi:[1,0,1]
	v_pk_fma_f16 v0, v141, v157, v0 op_sel_hi:[1,0,1]
	v_pk_fma_f16 v1, v142, v157, v1 op_sel:[0,1,0]
	v_pk_fma_f16 v0, v143, v157, v0 op_sel:[0,1,0]
	v_pk_fma_f16 v1, v144, v158, v1 op_sel_hi:[1,0,1]
	v_pk_fma_f16 v0, v145, v158, v0 op_sel_hi:[1,0,1]
	ds_read2_b64 v[76:79], v58 offset0:64 offset1:96
	v_pk_fma_f16 v1, v146, v158, v1 op_sel:[0,1,0]
	v_pk_fma_f16 v0, v147, v158, v0 op_sel:[0,1,0]
	v_pk_fma_f16 v1, v148, v159, v1 op_sel_hi:[1,0,1]
	v_pk_fma_f16 v0, v149, v159, v0 op_sel_hi:[1,0,1]
	ds_read2_b64 v[80:83], v58 offset0:128 offset1:160
	v_pk_fma_f16 v1, v150, v159, v1 op_sel:[0,1,0]
	v_pk_fma_f16 v0, v151, v159, v0 op_sel:[0,1,0]
	s_waitcnt lgkmcnt(2)
	v_pk_fma_f16 v1, v152, v64, v1 op_sel_hi:[1,0,1]
	v_pk_fma_f16 v0, v153, v64, v0 op_sel_hi:[1,0,1]
	v_pk_fma_f16 v1, v154, v64, v1 op_sel:[0,1,0]
	v_pk_fma_f16 v0, v155, v64, v0 op_sel:[0,1,0]
	ds_read2_b64 v[68:71], v58 offset0:192 offset1:224
	ds_read2_b64 v[84:87], v59 offset1:32
	s_waitcnt lgkmcnt(3)
	v_pk_fma_f16 v1, v76, v65, v1 op_sel_hi:[1,0,1]
	v_pk_fma_f16 v0, v77, v65, v0 op_sel_hi:[1,0,1]
	ds_read2_b64 v[88:91], v59 offset0:64 offset1:96
	ds_read2_b64 v[92:95], v59 offset0:128 offset1:160
	;; [unrolled: 1-line block ×3, first 2 shown]
	ds_read2_b64 v[72:75], v60 offset1:32
	ds_read_b128 v[100:103], v44 offset:96
	v_pk_fma_f16 v1, v78, v65, v1 op_sel:[0,1,0]
	v_pk_fma_f16 v0, v79, v65, v0 op_sel:[0,1,0]
	s_waitcnt lgkmcnt(7)
	v_pk_fma_f16 v1, v80, v66, v1 op_sel_hi:[1,0,1]
	v_pk_fma_f16 v0, v81, v66, v0 op_sel_hi:[1,0,1]
	v_pk_fma_f16 v1, v82, v66, v1 op_sel:[0,1,0]
	v_pk_fma_f16 v0, v83, v66, v0 op_sel:[0,1,0]
	s_waitcnt lgkmcnt(6)
	v_pk_fma_f16 v1, v68, v67, v1 op_sel_hi:[1,0,1]
	v_pk_fma_f16 v0, v69, v67, v0 op_sel_hi:[1,0,1]
	v_pk_fma_f16 v1, v70, v67, v1 op_sel:[0,1,0]
	v_pk_fma_f16 v0, v71, v67, v0 op_sel:[0,1,0]
	s_waitcnt lgkmcnt(0)
	v_pk_fma_f16 v1, v84, v100, v1 op_sel_hi:[1,0,1]
	v_pk_fma_f16 v0, v85, v100, v0 op_sel_hi:[1,0,1]
	v_pk_fma_f16 v1, v86, v100, v1 op_sel:[0,1,0]
	v_pk_fma_f16 v0, v87, v100, v0 op_sel:[0,1,0]
	v_pk_fma_f16 v1, v88, v101, v1 op_sel_hi:[1,0,1]
	v_pk_fma_f16 v0, v89, v101, v0 op_sel_hi:[1,0,1]
	ds_read_b128 v[104:107], v44 offset:112
	v_pk_fma_f16 v1, v90, v101, v1 op_sel:[0,1,0]
	v_pk_fma_f16 v0, v91, v101, v0 op_sel:[0,1,0]
	v_pk_fma_f16 v1, v92, v102, v1 op_sel_hi:[1,0,1]
	v_pk_fma_f16 v0, v93, v102, v0 op_sel_hi:[1,0,1]
	ds_read2_b64 v[108:111], v60 offset0:64 offset1:96
	v_pk_fma_f16 v1, v94, v102, v1 op_sel:[0,1,0]
	v_pk_fma_f16 v0, v95, v102, v0 op_sel:[0,1,0]
	v_pk_fma_f16 v1, v96, v103, v1 op_sel_hi:[1,0,1]
	v_pk_fma_f16 v0, v97, v103, v0 op_sel_hi:[1,0,1]
	ds_read2_b64 v[112:115], v60 offset0:128 offset1:160
	v_pk_fma_f16 v1, v98, v103, v1 op_sel:[0,1,0]
	v_pk_fma_f16 v0, v99, v103, v0 op_sel:[0,1,0]
	ds_read2_b64 v[4:7], v60 offset0:192 offset1:224
	s_waitcnt lgkmcnt(0)
	s_barrier
	s_load_dword s0, s[18:19], 0x4
	v_pk_fma_f16 v1, v72, v104, v1 op_sel_hi:[1,0,1]
	v_pk_fma_f16 v0, v73, v104, v0 op_sel_hi:[1,0,1]
	v_pk_fma_f16 v1, v74, v104, v1 op_sel:[0,1,0]
	v_pk_fma_f16 v0, v75, v104, v0 op_sel:[0,1,0]
	v_pk_fma_f16 v1, v108, v105, v1 op_sel_hi:[1,0,1]
	v_pk_fma_f16 v0, v109, v105, v0 op_sel_hi:[1,0,1]
	v_pk_fma_f16 v1, v110, v105, v1 op_sel:[0,1,0]
	v_pk_fma_f16 v0, v111, v105, v0 op_sel:[0,1,0]
	v_pk_fma_f16 v1, v112, v106, v1 op_sel_hi:[1,0,1]
	v_pk_fma_f16 v0, v113, v106, v0 op_sel_hi:[1,0,1]
	s_waitcnt lgkmcnt(0)
	s_lshl_b32 s0, s0, 6
	v_pk_fma_f16 v1, v114, v106, v1 op_sel:[0,1,0]
	v_pk_fma_f16 v0, v115, v106, v0 op_sel:[0,1,0]
	s_add_i32 s6, s0, s6
	v_pk_fma_f16 v1, v4, v107, v1 op_sel_hi:[1,0,1]
	v_pk_fma_f16 v0, v5, v107, v0 op_sel_hi:[1,0,1]
	s_cmp_lt_i32 s6, s34
	v_pk_fma_f16 v39, v6, v107, v1 op_sel:[0,1,0]
	v_pk_fma_f16 v61, v7, v107, v0 op_sel:[0,1,0]
	s_cbranch_scc1 .LBB43_9
.LBB43_10:
	v_cmp_lt_i32_e32 vcc, v36, v29
	v_cndmask_b32_e32 v0, v11, v36, vcc
	v_lshlrev_b32_e32 v0, 2, v0
	ds_bpermute_b32 v0, v0, v62
	v_cmp_lt_i32_e32 vcc, v35, v29
	v_cndmask_b32_e32 v1, v11, v35, vcc
	v_lshlrev_b32_e32 v1, 2, v1
	v_cmp_lt_i32_e32 vcc, v34, v29
	s_waitcnt lgkmcnt(0)
	v_add_f32_e32 v0, v62, v0
	ds_bpermute_b32 v1, v1, v0
	v_cndmask_b32_e32 v2, v11, v34, vcc
	v_lshlrev_b32_e32 v2, 2, v2
	v_cmp_lt_i32_e32 vcc, v33, v29
	s_cmp_eq_u64 s[20:21], 0
	s_waitcnt lgkmcnt(0)
	v_add_f32_e32 v0, v0, v1
	ds_bpermute_b32 v1, v2, v0
	v_cndmask_b32_e32 v2, v11, v33, vcc
	v_lshlrev_b32_e32 v2, 2, v2
	v_cmp_lt_i32_e32 vcc, v32, v29
	s_cselect_b64 s[0:1], -1, 0
	s_waitcnt lgkmcnt(0)
	v_add_f32_e32 v0, v0, v1
	ds_bpermute_b32 v1, v2, v0
	v_cndmask_b32_e32 v2, v11, v32, vcc
	v_lshlrev_b32_e32 v2, 2, v2
	s_cmp_lg_u32 s7, 0
	s_cselect_b64 s[2:3], -1, 0
	s_waitcnt lgkmcnt(0)
	v_add_f32_e32 v0, v0, v1
	ds_bpermute_b32 v1, v2, v0
	s_or_b64 s[0:1], s[2:3], s[0:1]
	s_and_b64 vcc, exec, s[0:1]
	s_waitcnt lgkmcnt(0)
	v_add_f32_e32 v29, v0, v1
	s_cbranch_vccnz .LBB43_13
; %bb.11:
	v_add_u32_e32 v0, s35, v9
	v_ashrrev_i32_e32 v1, 31, v0
	v_lshlrev_b64 v[0:1], 2, v[0:1]
	v_mov_b32_e32 v2, s21
	v_add_co_u32_e32 v0, vcc, s20, v0
	v_addc_co_u32_e32 v1, vcc, v2, v1, vcc
	global_load_dword v1, v[0:1], off
	v_max_f32_e32 v0, v28, v28
	s_mov_b32 s0, 0x3fb8aa3b
	s_mov_b32 s1, 0xc2ce8ed0
	s_waitcnt vmcnt(0)
	v_max_f32_e32 v2, v1, v1
	v_max_f32_e32 v0, v0, v2
	v_sub_f32_e32 v2, v28, v0
	v_sub_f32_e32 v1, v1, v0
	v_mul_f32_e32 v3, 0x3fb8aa3b, v2
	v_mul_f32_e32 v4, 0x3fb8aa3b, v1
	v_fma_f32 v5, v2, s0, -v3
	v_rndne_f32_e32 v6, v3
	v_fma_f32 v7, v1, s0, -v4
	v_rndne_f32_e32 v10, v4
	v_fmac_f32_e32 v5, 0x32a5705f, v2
	v_sub_f32_e32 v3, v3, v6
	v_fmac_f32_e32 v7, 0x32a5705f, v1
	v_sub_f32_e32 v4, v4, v10
	v_add_f32_e32 v3, v3, v5
	v_cvt_i32_f32_e32 v6, v6
	v_add_f32_e32 v4, v4, v7
	v_exp_f32_e32 v3, v3
	v_cvt_i32_f32_e32 v10, v10
	v_exp_f32_e32 v4, v4
	v_cmp_ngt_f32_e32 vcc, s1, v2
	v_ldexp_f32 v3, v3, v6
	s_mov_b32 s0, 0x42b17218
	v_ldexp_f32 v4, v4, v10
	v_cndmask_b32_e32 v3, 0, v3, vcc
	v_cmp_ngt_f32_e32 vcc, s1, v1
	v_mov_b32_e32 v5, 0x7f800000
	v_cndmask_b32_e32 v4, 0, v4, vcc
	v_cmp_nlt_f32_e32 vcc, s0, v2
	v_cndmask_b32_e32 v2, v5, v3, vcc
	v_cvt_f16_f32_e32 v3, v2
	v_cmp_nlt_f32_e32 vcc, s0, v1
	v_cndmask_b32_e32 v1, v5, v4, vcc
	v_fmac_f32_e32 v1, v29, v2
	v_pk_mul_f16 v39, v3, v39 op_sel_hi:[0,1]
	v_pk_mul_f16 v61, v3, v61 op_sel_hi:[0,1]
	v_pk_mov_b32 v[28:29], v[0:1], v[0:1] op_sel:[0,1]
	v_cmp_gt_i32_e32 vcc, s30, v30
	s_and_saveexec_b64 s[0:1], vcc
	s_cbranch_execnz .LBB43_14
.LBB43_12:
	s_endpgm
.LBB43_13:
	v_mov_b32_e32 v1, v29
	v_cmp_gt_i32_e32 vcc, s30, v30
	s_and_saveexec_b64 s[0:1], vcc
	s_cbranch_execz .LBB43_12
.LBB43_14:
	v_div_scale_f32 v0, s[0:1], v1, v1, 1.0
	v_rcp_f32_e32 v2, v0
	s_load_dword s2, s[4:5], 0xd4
	s_mul_i32 s33, s33, s30
	v_cvt_f32_f16_sdwa v7, v39 dst_sel:DWORD dst_unused:UNUSED_PAD src0_sel:WORD_1
	v_fma_f32 v3, -v0, v2, 1.0
	v_fmac_f32_e32 v2, v3, v2
	v_div_scale_f32 v3, vcc, 1.0, v1, 1.0
	v_mul_f32_e32 v4, v3, v2
	v_fma_f32 v5, -v0, v4, v3
	v_fmac_f32_e32 v4, v5, v2
	v_fma_f32 v0, -v0, v4, v3
	s_waitcnt lgkmcnt(0)
	s_cmp_lg_u32 s2, 1
	v_div_fmas_f32 v0, v0, v2, v4
	v_div_fixup_f32 v0, v0, v1, 1.0
	s_cselect_b64 s[0:1], -1, 0
	v_cndmask_b32_e64 v4, v0, 1.0, s[0:1]
	v_add_u32_e32 v0, s33, v30
	v_mul_lo_u32 v0, v0, s31
	v_add3_u32 v0, s35, v9, v0
	v_mul_lo_u32 v0, s2, v0
	v_add_u32_e32 v0, s7, v0
	v_lshl_add_u32 v2, v0, 7, v31
	v_mov_b32_e32 v3, 0
	v_lshlrev_b64 v[2:3], 2, v[2:3]
	v_cvt_f32_f16_e32 v6, v39
	v_cvt_f32_f16_sdwa v11, v61 dst_sel:DWORD dst_unused:UNUSED_PAD src0_sel:WORD_1
	v_cvt_f32_f16_e32 v10, v61
	v_mov_b32_e32 v1, s25
	v_add_co_u32_e32 v12, vcc, s24, v2
	v_addc_co_u32_e32 v13, vcc, v1, v3, vcc
	v_cmp_eq_u32_e32 vcc, 0, v8
	v_pk_mul_f32 v[2:3], v[4:5], v[6:7] op_sel_hi:[0,1]
	v_pk_mul_f32 v[4:5], v[4:5], v[10:11] op_sel_hi:[0,1]
	s_and_b64 s[0:1], vcc, s[0:1]
	global_store_dwordx4 v[12:13], v[2:5], off
	s_and_b64 exec, exec, s[0:1]
	s_cbranch_execz .LBB43_12
; %bb.15:
	v_ashrrev_i32_e32 v1, 31, v0
	v_lshlrev_b64 v[0:1], 3, v[0:1]
	v_mov_b32_e32 v2, s27
	v_add_co_u32_e32 v0, vcc, s26, v0
	v_addc_co_u32_e32 v1, vcc, v2, v1, vcc
	global_store_dwordx2 v[0:1], v[28:29], off
	s_endpgm
	.section	.rodata,"a",@progbits
	.p2align	6, 0x0
	.amdhsa_kernel _ZL15flash_attn_tileILi128ELi128ELi4ELi2ELb0EEvPKcS1_S1_S1_S1_PKiPfP15HIP_vector_typeIfLj2EEffffjfiS5_IjLj3EEiiiiiiiiiiiliiliiiiil
		.amdhsa_group_segment_fixed_size 20480
		.amdhsa_private_segment_fixed_size 0
		.amdhsa_kernarg_size 464
		.amdhsa_user_sgpr_count 6
		.amdhsa_user_sgpr_private_segment_buffer 1
		.amdhsa_user_sgpr_dispatch_ptr 0
		.amdhsa_user_sgpr_queue_ptr 0
		.amdhsa_user_sgpr_kernarg_segment_ptr 1
		.amdhsa_user_sgpr_dispatch_id 0
		.amdhsa_user_sgpr_flat_scratch_init 0
		.amdhsa_user_sgpr_kernarg_preload_length 0
		.amdhsa_user_sgpr_kernarg_preload_offset 0
		.amdhsa_user_sgpr_private_segment_size 0
		.amdhsa_uses_dynamic_stack 0
		.amdhsa_system_sgpr_private_segment_wavefront_offset 0
		.amdhsa_system_sgpr_workgroup_id_x 1
		.amdhsa_system_sgpr_workgroup_id_y 1
		.amdhsa_system_sgpr_workgroup_id_z 1
		.amdhsa_system_sgpr_workgroup_info 0
		.amdhsa_system_vgpr_workitem_id 1
		.amdhsa_next_free_vgpr 160
		.amdhsa_next_free_sgpr 44
		.amdhsa_accum_offset 160
		.amdhsa_reserve_vcc 1
		.amdhsa_reserve_flat_scratch 0
		.amdhsa_float_round_mode_32 0
		.amdhsa_float_round_mode_16_64 0
		.amdhsa_float_denorm_mode_32 3
		.amdhsa_float_denorm_mode_16_64 3
		.amdhsa_dx10_clamp 1
		.amdhsa_ieee_mode 1
		.amdhsa_fp16_overflow 0
		.amdhsa_tg_split 0
		.amdhsa_exception_fp_ieee_invalid_op 0
		.amdhsa_exception_fp_denorm_src 0
		.amdhsa_exception_fp_ieee_div_zero 0
		.amdhsa_exception_fp_ieee_overflow 0
		.amdhsa_exception_fp_ieee_underflow 0
		.amdhsa_exception_fp_ieee_inexact 0
		.amdhsa_exception_int_div_zero 0
	.end_amdhsa_kernel
	.section	.text._ZL15flash_attn_tileILi128ELi128ELi4ELi2ELb0EEvPKcS1_S1_S1_S1_PKiPfP15HIP_vector_typeIfLj2EEffffjfiS5_IjLj3EEiiiiiiiiiiiliiliiiiil,"axG",@progbits,_ZL15flash_attn_tileILi128ELi128ELi4ELi2ELb0EEvPKcS1_S1_S1_S1_PKiPfP15HIP_vector_typeIfLj2EEffffjfiS5_IjLj3EEiiiiiiiiiiiliiliiiiil,comdat
.Lfunc_end43:
	.size	_ZL15flash_attn_tileILi128ELi128ELi4ELi2ELb0EEvPKcS1_S1_S1_S1_PKiPfP15HIP_vector_typeIfLj2EEffffjfiS5_IjLj3EEiiiiiiiiiiiliiliiiiil, .Lfunc_end43-_ZL15flash_attn_tileILi128ELi128ELi4ELi2ELb0EEvPKcS1_S1_S1_S1_PKiPfP15HIP_vector_typeIfLj2EEffffjfiS5_IjLj3EEiiiiiiiiiiiliiliiiiil
                                        ; -- End function
	.section	.AMDGPU.csdata,"",@progbits
; Kernel info:
; codeLenInByte = 6416
; NumSgprs: 48
; NumVgprs: 160
; NumAgprs: 0
; TotalNumVgprs: 160
; ScratchSize: 0
; MemoryBound: 0
; FloatMode: 240
; IeeeMode: 1
; LDSByteSize: 20480 bytes/workgroup (compile time only)
; SGPRBlocks: 5
; VGPRBlocks: 19
; NumSGPRsForWavesPerEU: 48
; NumVGPRsForWavesPerEU: 160
; AccumOffset: 160
; Occupancy: 3
; WaveLimiterHint : 1
; COMPUTE_PGM_RSRC2:SCRATCH_EN: 0
; COMPUTE_PGM_RSRC2:USER_SGPR: 6
; COMPUTE_PGM_RSRC2:TRAP_HANDLER: 0
; COMPUTE_PGM_RSRC2:TGID_X_EN: 1
; COMPUTE_PGM_RSRC2:TGID_Y_EN: 1
; COMPUTE_PGM_RSRC2:TGID_Z_EN: 1
; COMPUTE_PGM_RSRC2:TIDIG_COMP_CNT: 1
; COMPUTE_PGM_RSRC3_GFX90A:ACCUM_OFFSET: 39
; COMPUTE_PGM_RSRC3_GFX90A:TG_SPLIT: 0
	.section	.text._ZL33flash_attn_stream_k_fixup_uniformILi128ELi4ELi2EEvPfPK15HIP_vector_typeIfLj2EEiiiiiiS1_IjLj3EES5_S5_,"axG",@progbits,_ZL33flash_attn_stream_k_fixup_uniformILi128ELi4ELi2EEvPfPK15HIP_vector_typeIfLj2EEiiiiiiS1_IjLj3EES5_S5_,comdat
	.globl	_ZL33flash_attn_stream_k_fixup_uniformILi128ELi4ELi2EEvPfPK15HIP_vector_typeIfLj2EEiiiiiiS1_IjLj3EES5_S5_ ; -- Begin function _ZL33flash_attn_stream_k_fixup_uniformILi128ELi4ELi2EEvPfPK15HIP_vector_typeIfLj2EEiiiiiiS1_IjLj3EES5_S5_
	.p2align	8
	.type	_ZL33flash_attn_stream_k_fixup_uniformILi128ELi4ELi2EEvPfPK15HIP_vector_typeIfLj2EEiiiiiiS1_IjLj3EES5_S5_,@function
_ZL33flash_attn_stream_k_fixup_uniformILi128ELi4ELi2EEvPfPK15HIP_vector_typeIfLj2EEiiiiiiS1_IjLj3EES5_S5_: ; @_ZL33flash_attn_stream_k_fixup_uniformILi128ELi4ELi2EEvPfPK15HIP_vector_typeIfLj2EEiiiiiiS1_IjLj3EES5_S5_
; %bb.0:
	s_load_dwordx8 s[12:19], s[4:5], 0x1c
	s_load_dwordx2 s[10:11], s[4:5], 0x10
	s_load_dwordx4 s[0:3], s[4:5], 0x3c
	s_waitcnt lgkmcnt(0)
	s_mul_hi_u32 s9, s15, s6
	s_add_i32 s9, s6, s9
	s_lshr_b32 s9, s9, s16
	s_mul_i32 s15, s9, s17
	s_sub_i32 s15, s6, s15
	s_mul_hi_u32 s16, s15, s18
	s_add_i32 s16, s15, s16
	s_lshr_b32 s16, s16, s19
	s_mul_i32 s0, s16, s0
	s_sub_i32 s0, s15, s0
	;; [unrolled: 5-line block ×3, first 2 shown]
	s_lshl_b32 s0, s17, 2
	s_lshl_b32 s15, s1, 1
	s_add_i32 s0, s0, s7
	s_cmp_lt_i32 s0, s10
	s_cselect_b64 s[0:1], -1, 0
	s_add_i32 s2, s15, s8
	s_cmp_lt_i32 s2, s13
	s_cselect_b64 s[2:3], -1, 0
	s_and_b64 s[0:1], s[0:1], s[2:3]
	s_andn2_b64 vcc, exec, s[0:1]
	s_cbranch_vccnz .LBB44_6
; %bb.1:
	s_load_dwordx4 s[0:3], s[4:5], 0x0
	s_mul_i32 s4, s9, s10
	s_add_i32 s4, s4, s7
	s_mul_i32 s4, s4, s11
	s_mul_i32 s16, s16, s13
	s_add_i32 s4, s4, s8
	s_add_i32 s4, s4, s16
	s_mul_i32 s5, s11, s17
	s_add_i32 s4, s4, s15
	s_lshl_b32 s5, s5, 9
	s_lshl_b32 s4, s4, 7
	s_add_i32 s5, s5, s4
	v_or_b32_e32 v2, s5, v0
	v_ashrrev_i32_e32 v3, 31, v2
	v_lshlrev_b64 v[2:3], 2, v[2:3]
	s_waitcnt lgkmcnt(0)
	v_mov_b32_e32 v1, s1
	v_add_co_u32_e32 v2, vcc, s0, v2
	v_addc_co_u32_e32 v3, vcc, v1, v3, vcc
	global_load_dword v8, v[2:3], off
	s_mul_i32 s9, s6, s14
	s_lshl_b32 s4, s7, 1
	s_add_i32 s11, s9, s14
	s_add_i32 s0, s4, s8
	s_lshl_b32 s1, s11, 3
	s_add_i32 s0, s0, s1
	s_add_i32 s0, s0, -8
	s_ashr_i32 s1, s0, 31
	s_lshl_b64 s[0:1], s[0:1], 3
	s_add_u32 s0, s2, s0
	s_addc_u32 s1, s3, s1
	s_load_dword s5, s[0:1], 0x4
	s_add_i32 s10, s11, -2
	s_cmp_lt_i32 s10, s9
	s_cbranch_scc1 .LBB44_4
; %bb.2:
	s_lshl_b32 s16, s12, 5
	s_ashr_i32 s17, s16, 31
	s_lshl_b64 s[16:17], s[16:17], 2
	s_add_u32 s10, s2, s16
	s_addc_u32 s13, s3, s17
	s_add_i32 s6, s6, 1
	s_load_dword s0, s[0:1], 0x0
	s_mul_i32 s1, s14, s6
	s_lshl_b32 s7, s7, 8
	s_lshl_b32 s14, s8, 7
	;; [unrolled: 1-line block ×3, first 2 shown]
	s_add_i32 s7, s14, s7
	s_lshl_b32 s1, s1, 3
	s_add_i32 s7, s7, s6
	s_add_i32 s1, s8, s1
	s_lshl_b32 s6, s12, 3
	s_add_i32 s1, s1, s6
	v_or_b32_e32 v0, s7, v0
	s_add_i32 s1, s1, s4
	s_add_i32 s11, s11, -1
	v_add_u32_e32 v0, 0xfffff800, v0
	s_add_i32 s4, s1, -16
	s_waitcnt lgkmcnt(0)
	v_mov_b32_e32 v7, s5
	v_mov_b32_e32 v6, s0
	;; [unrolled: 1-line block ×3, first 2 shown]
	s_mov_b32 s6, 0x3fb8aa3b
	s_mov_b32 s7, 0xc2ce8ed0
	;; [unrolled: 1-line block ×3, first 2 shown]
	v_mov_b32_e32 v5, 0x7f800000
	s_mov_b32 s12, 0xc1a00000
.LBB44_3:                               ; =>This Inner Loop Header: Depth=1
	v_ashrrev_i32_e32 v1, 31, v0
	v_lshlrev_b64 v[10:11], 2, v[0:1]
	v_add_co_u32_e32 v10, vcc, s10, v10
	v_addc_co_u32_e32 v11, vcc, v4, v11, vcc
	global_load_dword v1, v[10:11], off
	s_ashr_i32 s5, s4, 31
	s_lshl_b64 s[0:1], s[4:5], 3
	s_add_u32 s0, s2, s0
	s_addc_u32 s1, s3, s1
	s_load_dwordx2 s[14:15], s[0:1], 0x0
	s_waitcnt vmcnt(1)
	v_mov_b32_e32 v9, v8
	v_max_f32_e32 v8, v6, v6
	v_mov_b32_e32 v10, v7
	s_add_i32 s11, s11, -1
	s_waitcnt lgkmcnt(0)
	v_max_f32_e64 v7, s14, s14
	v_max_f32_e32 v7, v8, v7
	v_sub_f32_e32 v11, s14, v7
	v_sub_f32_e32 v8, v6, v7
	v_mul_f32_e32 v12, 0x3fb8aa3b, v11
	v_mov_b32_e32 v6, v7
	v_mul_f32_e32 v7, 0x3fb8aa3b, v8
	v_fma_f32 v15, v11, s6, -v12
	v_rndne_f32_e32 v16, v12
	v_fma_f32 v13, v8, s6, -v7
	v_rndne_f32_e32 v14, v7
	v_fmac_f32_e32 v15, 0x32a5705f, v11
	v_sub_f32_e32 v12, v12, v16
	v_fmac_f32_e32 v13, 0x32a5705f, v8
	v_sub_f32_e32 v7, v7, v14
	v_add_f32_e32 v12, v12, v15
	v_cvt_i32_f32_e32 v16, v16
	v_add_f32_e32 v7, v7, v13
	v_exp_f32_e32 v12, v12
	v_cvt_i32_f32_e32 v14, v14
	v_exp_f32_e32 v7, v7
	v_cmp_ngt_f32_e32 vcc, s7, v11
	v_ldexp_f32 v12, v12, v16
	v_cmp_ngt_f32_e64 s[0:1], s7, v8
	v_ldexp_f32 v7, v7, v14
	v_cndmask_b32_e32 v12, 0, v12, vcc
	v_cmp_nlt_f32_e32 vcc, s8, v11
	v_cndmask_b32_e64 v7, 0, v7, s[0:1]
	v_cmp_nlt_f32_e64 s[0:1], s8, v8
	v_cndmask_b32_e32 v12, v5, v12, vcc
	v_cmp_le_f32_e32 vcc, s12, v11
	v_cndmask_b32_e64 v7, v5, v7, s[0:1]
	v_cmp_le_f32_e64 s[0:1], s12, v8
	v_cndmask_b32_e32 v8, 0, v12, vcc
	s_add_i32 s4, s4, -8
	v_cndmask_b32_e64 v11, 0, v7, s[0:1]
	v_mul_f32_e32 v7, s15, v8
	v_add_u32_e32 v0, 0xfffffc00, v0
	s_cmp_le_i32 s11, s9
	v_fmac_f32_e32 v7, v10, v11
	s_waitcnt vmcnt(0)
	v_mul_f32_e32 v8, v1, v8
	v_fmac_f32_e32 v8, v9, v11
	s_cbranch_scc0 .LBB44_3
	s_branch .LBB44_5
.LBB44_4:
	s_waitcnt lgkmcnt(0)
	v_mov_b32_e32 v7, s5
.LBB44_5:
	s_waitcnt vmcnt(0)
	v_div_scale_f32 v0, s[0:1], v7, v7, v8
	v_rcp_f32_e32 v1, v0
	v_div_scale_f32 v4, vcc, v8, v7, v8
	v_fma_f32 v5, -v0, v1, 1.0
	v_fmac_f32_e32 v1, v5, v1
	v_mul_f32_e32 v5, v4, v1
	v_fma_f32 v6, -v0, v5, v4
	v_fmac_f32_e32 v5, v6, v1
	v_fma_f32 v0, -v0, v5, v4
	v_div_fmas_f32 v0, v0, v1, v5
	v_div_fixup_f32 v0, v0, v7, v8
	global_store_dword v[2:3], v0, off
.LBB44_6:
	s_endpgm
	.section	.rodata,"a",@progbits
	.p2align	6, 0x0
	.amdhsa_kernel _ZL33flash_attn_stream_k_fixup_uniformILi128ELi4ELi2EEvPfPK15HIP_vector_typeIfLj2EEiiiiiiS1_IjLj3EES5_S5_
		.amdhsa_group_segment_fixed_size 0
		.amdhsa_private_segment_fixed_size 0
		.amdhsa_kernarg_size 76
		.amdhsa_user_sgpr_count 6
		.amdhsa_user_sgpr_private_segment_buffer 1
		.amdhsa_user_sgpr_dispatch_ptr 0
		.amdhsa_user_sgpr_queue_ptr 0
		.amdhsa_user_sgpr_kernarg_segment_ptr 1
		.amdhsa_user_sgpr_dispatch_id 0
		.amdhsa_user_sgpr_flat_scratch_init 0
		.amdhsa_user_sgpr_kernarg_preload_length 0
		.amdhsa_user_sgpr_kernarg_preload_offset 0
		.amdhsa_user_sgpr_private_segment_size 0
		.amdhsa_uses_dynamic_stack 0
		.amdhsa_system_sgpr_private_segment_wavefront_offset 0
		.amdhsa_system_sgpr_workgroup_id_x 1
		.amdhsa_system_sgpr_workgroup_id_y 1
		.amdhsa_system_sgpr_workgroup_id_z 1
		.amdhsa_system_sgpr_workgroup_info 0
		.amdhsa_system_vgpr_workitem_id 0
		.amdhsa_next_free_vgpr 17
		.amdhsa_next_free_sgpr 20
		.amdhsa_accum_offset 20
		.amdhsa_reserve_vcc 1
		.amdhsa_reserve_flat_scratch 0
		.amdhsa_float_round_mode_32 0
		.amdhsa_float_round_mode_16_64 0
		.amdhsa_float_denorm_mode_32 3
		.amdhsa_float_denorm_mode_16_64 3
		.amdhsa_dx10_clamp 1
		.amdhsa_ieee_mode 1
		.amdhsa_fp16_overflow 0
		.amdhsa_tg_split 0
		.amdhsa_exception_fp_ieee_invalid_op 0
		.amdhsa_exception_fp_denorm_src 0
		.amdhsa_exception_fp_ieee_div_zero 0
		.amdhsa_exception_fp_ieee_overflow 0
		.amdhsa_exception_fp_ieee_underflow 0
		.amdhsa_exception_fp_ieee_inexact 0
		.amdhsa_exception_int_div_zero 0
	.end_amdhsa_kernel
	.section	.text._ZL33flash_attn_stream_k_fixup_uniformILi128ELi4ELi2EEvPfPK15HIP_vector_typeIfLj2EEiiiiiiS1_IjLj3EES5_S5_,"axG",@progbits,_ZL33flash_attn_stream_k_fixup_uniformILi128ELi4ELi2EEvPfPK15HIP_vector_typeIfLj2EEiiiiiiS1_IjLj3EES5_S5_,comdat
.Lfunc_end44:
	.size	_ZL33flash_attn_stream_k_fixup_uniformILi128ELi4ELi2EEvPfPK15HIP_vector_typeIfLj2EEiiiiiiS1_IjLj3EES5_S5_, .Lfunc_end44-_ZL33flash_attn_stream_k_fixup_uniformILi128ELi4ELi2EEvPfPK15HIP_vector_typeIfLj2EEiiiiiiS1_IjLj3EES5_S5_
                                        ; -- End function
	.section	.AMDGPU.csdata,"",@progbits
; Kernel info:
; codeLenInByte = 856
; NumSgprs: 24
; NumVgprs: 17
; NumAgprs: 0
; TotalNumVgprs: 17
; ScratchSize: 0
; MemoryBound: 0
; FloatMode: 240
; IeeeMode: 1
; LDSByteSize: 0 bytes/workgroup (compile time only)
; SGPRBlocks: 2
; VGPRBlocks: 2
; NumSGPRsForWavesPerEU: 24
; NumVGPRsForWavesPerEU: 17
; AccumOffset: 20
; Occupancy: 8
; WaveLimiterHint : 0
; COMPUTE_PGM_RSRC2:SCRATCH_EN: 0
; COMPUTE_PGM_RSRC2:USER_SGPR: 6
; COMPUTE_PGM_RSRC2:TRAP_HANDLER: 0
; COMPUTE_PGM_RSRC2:TGID_X_EN: 1
; COMPUTE_PGM_RSRC2:TGID_Y_EN: 1
; COMPUTE_PGM_RSRC2:TGID_Z_EN: 1
; COMPUTE_PGM_RSRC2:TIDIG_COMP_CNT: 0
; COMPUTE_PGM_RSRC3_GFX90A:ACCUM_OFFSET: 4
; COMPUTE_PGM_RSRC3_GFX90A:TG_SPLIT: 0
	.section	.text._ZL33flash_attn_stream_k_fixup_generalILi128ELi4ELi2EEvPfPK15HIP_vector_typeIfLj2EEiiiiS1_IjLj3EES5_S5_S5_,"axG",@progbits,_ZL33flash_attn_stream_k_fixup_generalILi128ELi4ELi2EEvPfPK15HIP_vector_typeIfLj2EEiiiiS1_IjLj3EES5_S5_S5_,comdat
	.globl	_ZL33flash_attn_stream_k_fixup_generalILi128ELi4ELi2EEvPfPK15HIP_vector_typeIfLj2EEiiiiS1_IjLj3EES5_S5_S5_ ; -- Begin function _ZL33flash_attn_stream_k_fixup_generalILi128ELi4ELi2EEvPfPK15HIP_vector_typeIfLj2EEiiiiS1_IjLj3EES5_S5_S5_
	.p2align	8
	.type	_ZL33flash_attn_stream_k_fixup_generalILi128ELi4ELi2EEvPfPK15HIP_vector_typeIfLj2EEiiiiS1_IjLj3EES5_S5_S5_,@function
_ZL33flash_attn_stream_k_fixup_generalILi128ELi4ELi2EEvPfPK15HIP_vector_typeIfLj2EEiiiiS1_IjLj3EES5_S5_S5_: ; @_ZL33flash_attn_stream_k_fixup_generalILi128ELi4ELi2EEvPfPK15HIP_vector_typeIfLj2EEiiiiS1_IjLj3EES5_S5_S5_
; %bb.0:
	s_load_dwordx4 s[12:15], s[4:5], 0x10
	s_load_dword s9, s[4:5], 0x50
	s_mov_b32 s2, 0
	s_waitcnt lgkmcnt(0)
	s_mul_hi_i32 s3, s15, s6
	s_cmp_lg_u64 s[2:3], 0
	s_mul_i32 s2, s15, s6
	s_cbranch_scc0 .LBB45_21
; %bb.1:
	v_cvt_f32_u32_e32 v1, s9
	v_cvt_f32_ubyte0_e32 v2, 0
	s_sub_u32 s10, 0, s9
	s_subb_u32 s11, 0, 0
	v_madmk_f32 v1, v2, 0x4f800000, v1
	v_rcp_f32_e32 v1, v1
	v_mul_f32_e32 v1, 0x5f7ffffc, v1
	v_mul_f32_e32 v2, 0x2f800000, v1
	v_trunc_f32_e32 v2, v2
	v_madmk_f32 v1, v2, 0xcf800000, v1
	v_cvt_u32_f32_e32 v2, v2
	v_cvt_u32_f32_e32 v1, v1
	v_readfirstlane_b32 s16, v2
	v_readfirstlane_b32 s17, v1
	s_mul_i32 s18, s10, s16
	s_mul_hi_u32 s20, s10, s17
	s_mul_i32 s19, s11, s17
	s_add_i32 s18, s20, s18
	s_add_i32 s18, s18, s19
	s_mul_i32 s21, s10, s17
	s_mul_hi_u32 s19, s17, s18
	s_mul_i32 s20, s17, s18
	s_mul_hi_u32 s17, s17, s21
	s_add_u32 s17, s17, s20
	s_addc_u32 s19, 0, s19
	s_mul_hi_u32 s22, s16, s21
	s_mul_i32 s21, s16, s21
	s_add_u32 s17, s17, s21
	s_mul_hi_u32 s20, s16, s18
	s_addc_u32 s17, s19, s22
	s_addc_u32 s19, s20, 0
	s_mul_i32 s18, s16, s18
	s_add_u32 s17, s17, s18
	s_addc_u32 s18, 0, s19
	v_add_co_u32_e32 v1, vcc, s17, v1
	s_cmp_lg_u64 vcc, 0
	s_addc_u32 s16, s16, s18
	v_readfirstlane_b32 s18, v1
	s_mul_i32 s17, s10, s16
	s_mul_hi_u32 s19, s10, s18
	s_add_i32 s17, s19, s17
	s_mul_i32 s11, s11, s18
	s_add_i32 s17, s17, s11
	s_mul_i32 s10, s10, s18
	s_mul_hi_u32 s19, s16, s10
	s_mul_i32 s20, s16, s10
	s_mul_i32 s22, s18, s17
	s_mul_hi_u32 s10, s18, s10
	s_mul_hi_u32 s21, s18, s17
	s_add_u32 s10, s10, s22
	s_addc_u32 s18, 0, s21
	s_add_u32 s10, s10, s20
	s_mul_hi_u32 s11, s16, s17
	s_addc_u32 s10, s18, s19
	s_addc_u32 s11, s11, 0
	s_mul_i32 s17, s16, s17
	s_add_u32 s10, s10, s17
	s_addc_u32 s11, 0, s11
	v_add_co_u32_e32 v1, vcc, s10, v1
	s_cmp_lg_u64 vcc, 0
	s_addc_u32 s18, s16, s11
	s_ashr_i32 s10, s3, 31
	s_add_u32 s16, s2, s10
	s_mov_b32 s11, s10
	s_addc_u32 s17, s3, s10
	s_xor_b64 s[16:17], s[16:17], s[10:11]
	v_readfirstlane_b32 s20, v1
	s_mul_i32 s19, s16, s18
	s_mul_hi_u32 s21, s16, s20
	s_mul_hi_u32 s3, s16, s18
	s_add_u32 s19, s21, s19
	s_addc_u32 s3, 0, s3
	s_mul_hi_u32 s22, s17, s20
	s_mul_i32 s20, s17, s20
	s_add_u32 s19, s19, s20
	s_mul_hi_u32 s21, s17, s18
	s_addc_u32 s3, s3, s22
	s_addc_u32 s19, s21, 0
	s_mul_i32 s18, s17, s18
	s_add_u32 s3, s3, s18
	s_addc_u32 s18, 0, s19
	s_add_u32 s19, s3, 1
	s_addc_u32 s20, s18, 0
	s_add_u32 s21, s3, 2
	s_mul_i32 s23, s9, s18
	s_mul_hi_u32 s24, s9, s3
	s_addc_u32 s22, s18, 0
	s_add_i32 s24, s24, s23
	s_mul_i32 s23, s9, s3
	v_mov_b32_e32 v1, s23
	v_sub_co_u32_e32 v1, vcc, s16, v1
	s_cmp_lg_u64 vcc, 0
	s_subb_u32 s16, s17, s24
	v_subrev_co_u32_e32 v2, vcc, s9, v1
	s_cmp_lg_u64 vcc, 0
	s_subb_u32 s17, s16, 0
	v_readfirstlane_b32 s23, v2
	s_cmp_ge_u32 s23, s9
	s_cselect_b32 s23, -1, 0
	s_cmp_eq_u32 s17, 0
	s_cselect_b32 s17, s23, -1
	s_cmp_lg_u32 s17, 0
	s_cselect_b32 s17, s22, s20
	v_readfirstlane_b32 s20, v1
	s_cselect_b32 s19, s21, s19
	s_cmp_ge_u32 s20, s9
	s_cselect_b32 s20, -1, 0
	s_cmp_eq_u32 s16, 0
	s_cselect_b32 s16, s20, -1
	s_cmp_lg_u32 s16, 0
	s_cselect_b32 s17, s17, s18
	s_cselect_b32 s16, s19, s3
	s_xor_b64 s[16:17], s[16:17], s[10:11]
	s_sub_u32 s20, s16, s10
	s_load_dwordx4 s[16:19], s[4:5], 0x44
	s_cbranch_execnz .LBB45_3
.LBB45_2:
	v_cvt_f32_u32_e32 v1, s9
	s_sub_i32 s0, 0, s9
	v_rcp_iflag_f32_e32 v1, v1
	v_mul_f32_e32 v1, 0x4f7ffffe, v1
	v_cvt_u32_f32_e32 v1, v1
	v_readfirstlane_b32 s1, v1
	s_mul_i32 s0, s0, s1
	s_mul_hi_u32 s0, s1, s0
	s_add_i32 s1, s1, s0
	s_mul_hi_u32 s0, s2, s1
	s_mul_i32 s3, s0, s9
	s_sub_i32 s2, s2, s3
	s_add_i32 s1, s0, 1
	s_sub_i32 s3, s2, s9
	s_cmp_ge_u32 s2, s9
	s_cselect_b32 s0, s1, s0
	s_cselect_b32 s2, s3, s2
	s_add_i32 s1, s0, 1
	s_cmp_ge_u32 s2, s9
	s_cselect_b32 s20, s1, s0
.LBB45_3:
	s_add_i32 s0, s6, 1
	s_mul_hi_i32 s3, s15, s0
	s_mov_b32 s2, 0
	s_cmp_lg_u64 s[2:3], 0
	s_mul_i32 s2, s15, s0
	s_cbranch_scc0 .LBB45_22
; %bb.4:
	v_cvt_f32_u32_e32 v1, s9
	v_cvt_f32_ubyte0_e32 v2, 0
	s_sub_u32 s10, 0, s9
	s_subb_u32 s11, 0, 0
	v_madmk_f32 v1, v2, 0x4f800000, v1
	v_rcp_f32_e32 v1, v1
	v_mul_f32_e32 v1, 0x5f7ffffc, v1
	v_mul_f32_e32 v2, 0x2f800000, v1
	v_trunc_f32_e32 v2, v2
	v_madmk_f32 v1, v2, 0xcf800000, v1
	v_cvt_u32_f32_e32 v2, v2
	v_cvt_u32_f32_e32 v1, v1
	s_waitcnt lgkmcnt(0)
	v_readfirstlane_b32 s19, v2
	v_readfirstlane_b32 s21, v1
	s_mul_i32 s22, s10, s19
	s_mul_hi_u32 s24, s10, s21
	s_mul_i32 s23, s11, s21
	s_add_i32 s22, s24, s22
	s_add_i32 s22, s22, s23
	s_mul_i32 s25, s10, s21
	s_mul_hi_u32 s23, s21, s22
	s_mul_i32 s24, s21, s22
	s_mul_hi_u32 s21, s21, s25
	s_add_u32 s21, s21, s24
	s_addc_u32 s23, 0, s23
	s_mul_hi_u32 s26, s19, s25
	s_mul_i32 s25, s19, s25
	s_add_u32 s21, s21, s25
	s_mul_hi_u32 s24, s19, s22
	s_addc_u32 s21, s23, s26
	s_addc_u32 s23, s24, 0
	s_mul_i32 s22, s19, s22
	s_add_u32 s21, s21, s22
	s_addc_u32 s22, 0, s23
	v_add_co_u32_e32 v1, vcc, s21, v1
	s_cmp_lg_u64 vcc, 0
	s_addc_u32 s19, s19, s22
	v_readfirstlane_b32 s22, v1
	s_mul_i32 s21, s10, s19
	s_mul_hi_u32 s23, s10, s22
	s_add_i32 s21, s23, s21
	s_mul_i32 s11, s11, s22
	s_add_i32 s21, s21, s11
	s_mul_i32 s10, s10, s22
	s_mul_hi_u32 s23, s19, s10
	s_mul_i32 s24, s19, s10
	s_mul_i32 s26, s22, s21
	s_mul_hi_u32 s10, s22, s10
	s_mul_hi_u32 s25, s22, s21
	s_add_u32 s10, s10, s26
	s_addc_u32 s22, 0, s25
	s_add_u32 s10, s10, s24
	s_mul_hi_u32 s11, s19, s21
	s_addc_u32 s10, s22, s23
	s_addc_u32 s11, s11, 0
	s_mul_i32 s21, s19, s21
	s_add_u32 s10, s10, s21
	s_addc_u32 s11, 0, s11
	v_add_co_u32_e32 v1, vcc, s10, v1
	s_cmp_lg_u64 vcc, 0
	s_addc_u32 s19, s19, s11
	s_ashr_i32 s10, s3, 31
	s_add_u32 s22, s2, s10
	s_mov_b32 s11, s10
	s_addc_u32 s23, s3, s10
	s_xor_b64 s[22:23], s[22:23], s[10:11]
	v_readfirstlane_b32 s21, v1
	s_mul_i32 s11, s22, s19
	s_mul_hi_u32 s24, s22, s21
	s_mul_hi_u32 s3, s22, s19
	s_add_u32 s11, s24, s11
	s_addc_u32 s3, 0, s3
	s_mul_hi_u32 s25, s23, s21
	s_mul_i32 s21, s23, s21
	s_add_u32 s11, s11, s21
	s_mul_hi_u32 s24, s23, s19
	s_addc_u32 s3, s3, s25
	s_addc_u32 s11, s24, 0
	s_mul_i32 s19, s23, s19
	s_add_u32 s3, s3, s19
	s_addc_u32 s11, 0, s11
	s_mul_i32 s11, s9, s11
	s_mul_hi_u32 s24, s9, s3
	s_add_i32 s24, s24, s11
	s_mul_i32 s11, s9, s3
	v_mov_b32_e32 v1, s11
	s_add_u32 s19, s3, 1
	s_add_u32 s21, s3, 2
	v_sub_co_u32_e32 v1, vcc, s22, v1
	s_cmp_lg_u64 vcc, 0
	s_subb_u32 s11, s23, s24
	v_subrev_co_u32_e32 v2, vcc, s9, v1
	s_cmp_lg_u64 vcc, 0
	s_subb_u32 s22, s11, 0
	v_cmp_le_u32_e32 vcc, s9, v2
	s_cmp_eq_u32 s22, 0
	v_cndmask_b32_e64 v2, 0, -1, vcc
	s_cselect_b64 vcc, -1, 0
	v_cndmask_b32_e32 v2, -1, v2, vcc
	v_mov_b32_e32 v3, s19
	v_mov_b32_e32 v4, s21
	v_cmp_ne_u32_e32 vcc, 0, v2
	v_cndmask_b32_e32 v2, v3, v4, vcc
	v_cmp_le_u32_e32 vcc, s9, v1
	s_cmp_eq_u32 s11, 0
	v_cndmask_b32_e64 v1, 0, -1, vcc
	s_cselect_b64 vcc, -1, 0
	v_cndmask_b32_e32 v1, -1, v1, vcc
	v_mov_b32_e32 v3, s3
	v_cmp_ne_u32_e32 vcc, 0, v1
	v_cndmask_b32_e32 v1, v3, v2, vcc
	v_xor_b32_e32 v1, s10, v1
	v_subrev_co_u32_e32 v2, vcc, s10, v1
	s_cbranch_execnz .LBB45_6
.LBB45_5:
	v_cvt_f32_u32_e32 v1, s9
	s_sub_i32 s0, 0, s9
	s_mov_b32 s1, 0
	v_rcp_iflag_f32_e32 v1, v1
	v_mul_f32_e32 v1, 0x4f7ffffe, v1
	v_cvt_u32_f32_e32 v1, v1
	v_readfirstlane_b32 s3, v1
	s_mul_i32 s0, s0, s3
	s_mul_hi_u32 s0, s3, s0
	s_add_i32 s3, s3, s0
	s_mul_hi_u32 s0, s2, s3
	s_mul_i32 s10, s0, s9
	s_sub_i32 s2, s2, s10
	s_add_i32 s3, s0, 1
	s_sub_i32 s10, s2, s9
	s_cmp_ge_u32 s2, s9
	s_cselect_b32 s0, s3, s0
	s_cselect_b32 s2, s10, s2
	s_add_i32 s3, s0, 1
	s_cmp_ge_u32 s2, s9
	s_cselect_b32 s0, s3, s0
	v_pk_mov_b32 v[2:3], s[0:1], s[0:1] op_sel:[0,1]
.LBB45_6:
	s_waitcnt lgkmcnt(0)
	s_mul_hi_u32 s0, s20, s16
	s_add_i32 s0, s0, s20
	v_mul_hi_u32 v1, v2, s16
	s_lshr_b32 s19, s0, s17
	v_add_u32_e32 v1, v1, v2
	s_mul_i32 s0, s19, s18
	v_lshrrev_b32_e32 v1, s17, v1
	s_cmp_eq_u32 s0, s20
	v_cmp_eq_u32_e64 s[0:1], s19, v1
	v_mul_lo_u32 v1, v1, s18
	v_cmp_eq_u32_e32 vcc, s20, v2
	s_cselect_b64 s[10:11], -1, 0
	v_cmp_ne_u32_e64 s[2:3], v1, v2
	s_and_b64 s[0:1], s[0:1], s[2:3]
	s_or_b64 s[2:3], vcc, s[10:11]
	s_or_b64 s[0:1], s[2:3], s[0:1]
	s_and_b64 vcc, exec, s[0:1]
	s_cbranch_vccnz .LBB45_24
; %bb.7:
	s_load_dwordx8 s[24:31], s[4:5], 0x20
	s_load_dword s0, s[4:5], 0x40
	s_mov_b32 s10, 0
	s_waitcnt lgkmcnt(0)
	s_mul_hi_u32 s1, s20, s24
	s_add_i32 s1, s1, s20
	s_lshr_b32 s11, s1, s25
	s_mul_i32 s1, s11, s26
	s_sub_i32 s1, s20, s1
	s_mul_hi_u32 s2, s1, s27
	s_add_i32 s2, s1, s2
	s_lshr_b32 s24, s2, s28
	s_mul_i32 s2, s24, s29
	s_sub_i32 s1, s1, s2
	s_mul_hi_u32 s2, s1, s30
	s_add_i32 s2, s1, s2
	s_lshr_b32 s2, s2, s31
	s_mul_i32 s0, s2, s0
	s_sub_i32 s0, s1, s0
	s_mul_hi_u32 s1, s0, s16
	s_add_i32 s0, s0, s1
	s_lshr_b32 s26, s0, s17
	s_lshl_b32 s0, s26, 2
	s_lshl_b32 s25, s2, 1
	s_add_i32 s0, s0, s7
	s_cmp_lt_i32 s0, s12
	s_cselect_b64 s[0:1], -1, 0
	s_add_i32 s2, s25, s8
	s_cmp_lt_i32 s2, s14
	s_cselect_b64 s[2:3], -1, 0
	s_and_b64 s[0:1], s[0:1], s[2:3]
	s_andn2_b64 vcc, exec, s[0:1]
	s_cbranch_vccnz .LBB45_24
; %bb.8:
	s_load_dwordx4 s[0:3], s[4:5], 0x0
	s_lshl_b32 s21, s7, 1
	s_lshl_b32 s4, s9, 5
	s_mov_b32 s5, s10
	s_add_i32 s21, s21, s8
	s_lshl_b64 s[4:5], s[4:5], 2
	s_waitcnt lgkmcnt(0)
	s_add_u32 s22, s2, s4
	s_mul_i32 s4, s11, s12
	s_addc_u32 s23, s3, s5
	s_add_i32 s4, s4, s7
	s_mul_i32 s4, s4, s13
	s_mul_i32 s24, s24, s14
	s_add_i32 s4, s4, s8
	s_add_i32 s4, s4, s24
	s_mul_i32 s5, s13, s26
	s_add_i32 s4, s4, s25
	s_lshl_b32 s5, s5, 9
	s_lshl_b32 s4, s4, 7
	s_add_i32 s5, s5, s4
	v_or_b32_e32 v2, s5, v0
	v_ashrrev_i32_e32 v3, 31, v2
	v_lshlrev_b64 v[2:3], 2, v[2:3]
	v_mov_b32_e32 v1, s1
	v_add_co_u32_e32 v2, vcc, s0, v2
	v_addc_co_u32_e32 v3, vcc, v1, v3, vcc
	global_load_dword v5, v[2:3], off
	v_lshl_or_b32 v4, s21, 7, v0
	v_cvt_f32_u32_e32 v0, s9
	v_cvt_f32_ubyte0_e32 v1, 0
	s_lshl_b32 s0, s6, 3
	s_add_i32 s0, s21, s0
	v_mac_f32_e32 v0, 0x4f800000, v1
	v_rcp_f32_e32 v0, v0
	v_cvt_f32_u32_e32 v1, s9
	s_ashr_i32 s1, s0, 31
	s_lshl_b64 s[0:1], s[0:1], 3
	v_mul_f32_e32 v0, 0x5f7ffffc, v0
	v_rcp_iflag_f32_e32 v1, v1
	s_add_u32 s0, s2, s0
	v_mul_f32_e32 v9, 0x2f800000, v0
	s_addc_u32 s1, s3, s1
	v_trunc_f32_e32 v10, v9
	s_load_dwordx2 s[0:1], s[0:1], 0x0
	v_mac_f32_e32 v0, 0xcf800000, v10
	v_cvt_u32_f32_e32 v9, v0
	v_mul_f32_e32 v0, 0x4f7ffffe, v1
	v_cvt_u32_f32_e32 v10, v10
	v_cvt_u32_f32_e32 v11, v0
	s_add_i32 s8, s6, -1
	s_waitcnt lgkmcnt(0)
	v_mov_b32_e32 v6, s1
	v_mov_b32_e32 v7, s0
	v_mov_b32_e32 v8, s20
	s_mov_b32 s6, 0x3fb8aa3b
	s_mov_b32 s7, 0xc2ce8ed0
	;; [unrolled: 1-line block ×4, first 2 shown]
	v_mov_b32_e32 v12, 0x7f800000
	s_mul_hi_i32 s11, s8, s15
	s_cmp_lg_u64 s[10:11], 0
	s_mul_i32 s4, s8, s15
	s_cbranch_scc0 .LBB45_15
.LBB45_9:
	s_sub_u32 s0, 0, s9
	v_readfirstlane_b32 s5, v9
	v_readfirstlane_b32 s24, v10
	s_subb_u32 s1, 0, 0
	s_mul_hi_u32 s20, s0, s5
	s_mul_i32 s25, s0, s24
	s_mul_i32 s14, s1, s5
	s_add_i32 s20, s20, s25
	s_add_i32 s20, s20, s14
	s_mul_i32 s26, s0, s5
	s_mul_hi_u32 s14, s5, s20
	s_mul_i32 s25, s5, s20
	s_mul_hi_u32 s5, s5, s26
	s_add_u32 s5, s5, s25
	s_addc_u32 s14, 0, s14
	s_mul_hi_u32 s27, s24, s26
	s_mul_i32 s26, s24, s26
	s_add_u32 s5, s5, s26
	s_mul_hi_u32 s25, s24, s20
	s_addc_u32 s5, s14, s27
	s_addc_u32 s14, s25, 0
	s_mul_i32 s20, s24, s20
	s_add_u32 s5, s5, s20
	s_addc_u32 s14, 0, s14
	v_add_co_u32_e32 v0, vcc, s5, v9
	s_cmp_lg_u64 vcc, 0
	s_addc_u32 s5, s24, s14
	v_readfirstlane_b32 s20, v0
	s_mul_i32 s14, s0, s5
	s_mul_hi_u32 s24, s0, s20
	s_add_i32 s14, s24, s14
	s_mul_i32 s1, s1, s20
	s_add_i32 s14, s14, s1
	s_mul_i32 s0, s0, s20
	s_mul_hi_u32 s24, s5, s0
	s_mul_i32 s25, s5, s0
	s_mul_i32 s27, s20, s14
	s_mul_hi_u32 s0, s20, s0
	s_mul_hi_u32 s26, s20, s14
	s_add_u32 s0, s0, s27
	s_addc_u32 s20, 0, s26
	s_add_u32 s0, s0, s25
	s_mul_hi_u32 s1, s5, s14
	s_addc_u32 s0, s20, s24
	s_addc_u32 s1, s1, 0
	s_mul_i32 s14, s5, s14
	s_add_u32 s0, s0, s14
	s_addc_u32 s1, 0, s1
	v_add_co_u32_e32 v0, vcc, s0, v0
	s_cmp_lg_u64 vcc, 0
	s_addc_u32 s5, s5, s1
	s_ashr_i32 s0, s11, 31
	s_add_u32 s24, s4, s0
	s_mov_b32 s1, s0
	s_addc_u32 s25, s11, s0
	s_xor_b64 s[24:25], s[24:25], s[0:1]
	v_readfirstlane_b32 s14, v0
	s_mul_i32 s11, s24, s5
	s_mul_hi_u32 s20, s24, s14
	s_mul_hi_u32 s1, s24, s5
	s_add_u32 s11, s20, s11
	s_addc_u32 s1, 0, s1
	s_mul_hi_u32 s26, s25, s14
	s_mul_i32 s14, s25, s14
	s_add_u32 s11, s11, s14
	s_mul_hi_u32 s20, s25, s5
	s_addc_u32 s1, s1, s26
	s_addc_u32 s11, s20, 0
	s_mul_i32 s5, s25, s5
	s_add_u32 s1, s1, s5
	s_addc_u32 s5, 0, s11
	s_mul_i32 s5, s9, s5
	s_mul_hi_u32 s20, s9, s1
	s_add_i32 s20, s20, s5
	s_mul_i32 s5, s9, s1
	v_mov_b32_e32 v0, s5
	s_add_u32 s11, s1, 1
	s_add_u32 s14, s1, 2
	v_sub_co_u32_e32 v0, vcc, s24, v0
	s_cmp_lg_u64 vcc, 0
	s_subb_u32 s5, s25, s20
	v_subrev_co_u32_e32 v1, vcc, s9, v0
	s_cmp_lg_u64 vcc, 0
	s_subb_u32 s20, s5, 0
	v_cmp_le_u32_e32 vcc, s9, v1
	s_cmp_eq_u32 s20, 0
	v_cndmask_b32_e64 v1, 0, -1, vcc
	s_cselect_b64 vcc, -1, 0
	v_cndmask_b32_e32 v1, -1, v1, vcc
	v_mov_b32_e32 v13, s11
	v_mov_b32_e32 v14, s14
	v_cmp_ne_u32_e32 vcc, 0, v1
	v_cndmask_b32_e32 v1, v13, v14, vcc
	v_cmp_le_u32_e32 vcc, s9, v0
	s_cmp_eq_u32 s5, 0
	v_cndmask_b32_e64 v0, 0, -1, vcc
	s_cselect_b64 vcc, -1, 0
	v_cndmask_b32_e32 v0, -1, v0, vcc
	v_mov_b32_e32 v13, s1
	v_cmp_ne_u32_e32 vcc, 0, v0
	v_cndmask_b32_e32 v0, v13, v1, vcc
	v_xor_b32_e32 v0, s0, v0
	v_subrev_co_u32_e32 v0, vcc, s0, v0
	s_cbranch_execnz .LBB45_11
.LBB45_10:
	s_sub_i32 s0, 0, s9
	v_mul_lo_u32 v0, s0, v11
	v_mul_hi_u32 v0, v11, v0
	v_add_u32_e32 v0, v11, v0
	v_mul_hi_u32 v0, s4, v0
	v_mul_lo_u32 v13, v0, s9
	v_sub_u32_e32 v13, s4, v13
	v_add_u32_e32 v1, 1, v0
	v_subrev_u32_e32 v14, s9, v13
	v_cmp_le_u32_e32 vcc, s9, v13
	v_cndmask_b32_e32 v13, v13, v14, vcc
	v_cndmask_b32_e32 v0, v0, v1, vcc
	v_add_u32_e32 v1, 1, v0
	v_cmp_le_u32_e32 vcc, s9, v13
	v_cndmask_b32_e32 v0, v0, v1, vcc
.LBB45_11:
	v_cmp_ne_u32_e32 vcc, v8, v0
	s_cbranch_vccz .LBB45_14
; %bb.12:
	s_add_i32 s0, s8, s9
	s_lshl_b32 s0, s0, 3
	v_mul_hi_u32 v1, v0, s16
	s_add_i32 s0, s0, s21
	s_mov_b32 s1, s10
	v_add_u32_e32 v1, v1, v0
	s_lshl_b64 s[0:1], s[0:1], 3
	v_lshrrev_b32_e32 v1, s17, v1
	s_add_u32 s4, s2, s0
	v_mul_lo_u32 v13, v1, s18
	s_addc_u32 s5, s3, s1
	v_cmp_eq_u32_e32 vcc, v13, v0
	v_cmp_gt_u32_e64 s[0:1], s19, v1
	s_or_b64 s[0:1], s[0:1], vcc
	s_and_b64 vcc, exec, s[0:1]
	s_cbranch_vccnz .LBB45_16
; %bb.13:
	s_add_i32 s11, s8, -1
	s_mov_b64 s[0:1], 0
	s_branch .LBB45_17
.LBB45_14:
                                        ; implicit-def: $sgpr0_sgpr1
                                        ; implicit-def: $vgpr14
                                        ; implicit-def: $vgpr1
                                        ; implicit-def: $vgpr13
                                        ; implicit-def: $sgpr11
                                        ; implicit-def: $vgpr0
	s_branch .LBB45_18
.LBB45_15:
                                        ; implicit-def: $vgpr0_vgpr1
	s_branch .LBB45_10
.LBB45_16:
	s_mov_b64 s[0:1], -1
	s_mov_b32 s11, s8
	v_mov_b32_e32 v0, v8
.LBB45_17:
	v_lshl_add_u32 v14, s8, 10, v4
	v_ashrrev_i32_e32 v15, 31, v14
	v_lshlrev_b64 v[14:15], 2, v[14:15]
	v_mov_b32_e32 v1, s23
	v_add_co_u32_e32 v14, vcc, s22, v14
	v_addc_co_u32_e32 v15, vcc, v1, v15, vcc
	global_load_dword v14, v[14:15], off
	s_load_dwordx2 s[4:5], s[4:5], 0x0
	v_max_f32_e32 v1, v7, v7
	s_waitcnt lgkmcnt(0)
	v_max_f32_e64 v13, s4, s4
	v_max_f32_e32 v1, v1, v13
	v_sub_f32_e32 v13, v7, v1
	v_sub_f32_e32 v15, s4, v1
	v_mul_f32_e32 v16, 0x3fb8aa3b, v13
	v_mul_f32_e32 v17, 0x3fb8aa3b, v15
	v_fma_f32 v18, v13, s6, -v16
	v_rndne_f32_e32 v19, v16
	v_fma_f32 v20, v15, s6, -v17
	v_rndne_f32_e32 v21, v17
	v_fmac_f32_e32 v18, 0x32a5705f, v13
	v_sub_f32_e32 v16, v16, v19
	v_fmac_f32_e32 v20, 0x32a5705f, v15
	v_sub_f32_e32 v17, v17, v21
	v_add_f32_e32 v16, v16, v18
	v_cvt_i32_f32_e32 v19, v19
	v_add_f32_e32 v17, v17, v20
	v_exp_f32_e32 v16, v16
	v_cvt_i32_f32_e32 v21, v21
	v_exp_f32_e32 v17, v17
	v_cmp_ngt_f32_e32 vcc, s7, v13
	v_ldexp_f32 v16, v16, v19
	v_cndmask_b32_e32 v16, 0, v16, vcc
	v_ldexp_f32 v17, v17, v21
	v_cmp_ngt_f32_e32 vcc, s7, v15
	v_cndmask_b32_e32 v17, 0, v17, vcc
	v_cmp_nlt_f32_e32 vcc, s12, v13
	v_cndmask_b32_e32 v16, v12, v16, vcc
	v_cmp_nlt_f32_e32 vcc, s12, v15
	v_cndmask_b32_e32 v17, v12, v17, vcc
	v_cmp_le_f32_e32 vcc, s13, v13
	v_cndmask_b32_e32 v16, 0, v16, vcc
	v_cmp_le_f32_e32 vcc, s13, v15
	v_cndmask_b32_e32 v15, 0, v17, vcc
	v_mul_f32_e32 v13, s5, v15
	v_fmac_f32_e32 v13, v6, v16
	s_waitcnt vmcnt(0)
	v_mul_f32_e32 v14, v14, v15
	v_fmac_f32_e32 v14, v5, v16
	s_cbranch_execnz .LBB45_19
.LBB45_18:
	s_add_i32 s11, s8, -1
	s_mov_b64 s[0:1], 0
	v_mov_b32_e32 v0, v8
	v_mov_b32_e32 v13, v6
	;; [unrolled: 1-line block ×3, first 2 shown]
	s_waitcnt vmcnt(0)
	v_mov_b32_e32 v14, v5
.LBB45_19:
	s_andn2_b64 vcc, exec, s[0:1]
	s_cbranch_vccz .LBB45_23
; %bb.20:
	v_mov_b32_e32 v8, v0
	s_mov_b32 s8, s11
	v_mov_b32_e32 v6, v13
	v_mov_b32_e32 v7, v1
	s_waitcnt vmcnt(0)
	v_mov_b32_e32 v5, v14
	s_mul_hi_i32 s11, s8, s15
	s_cmp_lg_u64 s[10:11], 0
	s_mul_i32 s4, s8, s15
	s_cbranch_scc1 .LBB45_9
	s_branch .LBB45_15
.LBB45_21:
                                        ; implicit-def: $sgpr20_sgpr21
	s_load_dwordx4 s[16:19], s[4:5], 0x44
	s_branch .LBB45_2
.LBB45_22:
                                        ; implicit-def: $vgpr2_vgpr3
	s_branch .LBB45_5
.LBB45_23:
	v_div_scale_f32 v0, s[0:1], v13, v13, v14
	v_rcp_f32_e32 v1, v0
	v_div_scale_f32 v4, vcc, v14, v13, v14
	s_waitcnt vmcnt(0)
	v_fma_f32 v5, -v0, v1, 1.0
	v_fmac_f32_e32 v1, v5, v1
	v_mul_f32_e32 v5, v4, v1
	v_fma_f32 v6, -v0, v5, v4
	v_fmac_f32_e32 v5, v6, v1
	v_fma_f32 v0, -v0, v5, v4
	v_div_fmas_f32 v0, v0, v1, v5
	v_div_fixup_f32 v0, v0, v13, v14
	global_store_dword v[2:3], v0, off
.LBB45_24:
	s_endpgm
	.section	.rodata,"a",@progbits
	.p2align	6, 0x0
	.amdhsa_kernel _ZL33flash_attn_stream_k_fixup_generalILi128ELi4ELi2EEvPfPK15HIP_vector_typeIfLj2EEiiiiS1_IjLj3EES5_S5_S5_
		.amdhsa_group_segment_fixed_size 0
		.amdhsa_private_segment_fixed_size 0
		.amdhsa_kernarg_size 336
		.amdhsa_user_sgpr_count 6
		.amdhsa_user_sgpr_private_segment_buffer 1
		.amdhsa_user_sgpr_dispatch_ptr 0
		.amdhsa_user_sgpr_queue_ptr 0
		.amdhsa_user_sgpr_kernarg_segment_ptr 1
		.amdhsa_user_sgpr_dispatch_id 0
		.amdhsa_user_sgpr_flat_scratch_init 0
		.amdhsa_user_sgpr_kernarg_preload_length 0
		.amdhsa_user_sgpr_kernarg_preload_offset 0
		.amdhsa_user_sgpr_private_segment_size 0
		.amdhsa_uses_dynamic_stack 0
		.amdhsa_system_sgpr_private_segment_wavefront_offset 0
		.amdhsa_system_sgpr_workgroup_id_x 1
		.amdhsa_system_sgpr_workgroup_id_y 1
		.amdhsa_system_sgpr_workgroup_id_z 1
		.amdhsa_system_sgpr_workgroup_info 0
		.amdhsa_system_vgpr_workitem_id 0
		.amdhsa_next_free_vgpr 22
		.amdhsa_next_free_sgpr 32
		.amdhsa_accum_offset 24
		.amdhsa_reserve_vcc 1
		.amdhsa_reserve_flat_scratch 0
		.amdhsa_float_round_mode_32 0
		.amdhsa_float_round_mode_16_64 0
		.amdhsa_float_denorm_mode_32 3
		.amdhsa_float_denorm_mode_16_64 3
		.amdhsa_dx10_clamp 1
		.amdhsa_ieee_mode 1
		.amdhsa_fp16_overflow 0
		.amdhsa_tg_split 0
		.amdhsa_exception_fp_ieee_invalid_op 0
		.amdhsa_exception_fp_denorm_src 0
		.amdhsa_exception_fp_ieee_div_zero 0
		.amdhsa_exception_fp_ieee_overflow 0
		.amdhsa_exception_fp_ieee_underflow 0
		.amdhsa_exception_fp_ieee_inexact 0
		.amdhsa_exception_int_div_zero 0
	.end_amdhsa_kernel
	.section	.text._ZL33flash_attn_stream_k_fixup_generalILi128ELi4ELi2EEvPfPK15HIP_vector_typeIfLj2EEiiiiS1_IjLj3EES5_S5_S5_,"axG",@progbits,_ZL33flash_attn_stream_k_fixup_generalILi128ELi4ELi2EEvPfPK15HIP_vector_typeIfLj2EEiiiiS1_IjLj3EES5_S5_S5_,comdat
.Lfunc_end45:
	.size	_ZL33flash_attn_stream_k_fixup_generalILi128ELi4ELi2EEvPfPK15HIP_vector_typeIfLj2EEiiiiS1_IjLj3EES5_S5_S5_, .Lfunc_end45-_ZL33flash_attn_stream_k_fixup_generalILi128ELi4ELi2EEvPfPK15HIP_vector_typeIfLj2EEiiiiS1_IjLj3EES5_S5_S5_
                                        ; -- End function
	.section	.AMDGPU.csdata,"",@progbits
; Kernel info:
; codeLenInByte = 2824
; NumSgprs: 36
; NumVgprs: 22
; NumAgprs: 0
; TotalNumVgprs: 22
; ScratchSize: 0
; MemoryBound: 0
; FloatMode: 240
; IeeeMode: 1
; LDSByteSize: 0 bytes/workgroup (compile time only)
; SGPRBlocks: 4
; VGPRBlocks: 2
; NumSGPRsForWavesPerEU: 36
; NumVGPRsForWavesPerEU: 22
; AccumOffset: 24
; Occupancy: 8
; WaveLimiterHint : 0
; COMPUTE_PGM_RSRC2:SCRATCH_EN: 0
; COMPUTE_PGM_RSRC2:USER_SGPR: 6
; COMPUTE_PGM_RSRC2:TRAP_HANDLER: 0
; COMPUTE_PGM_RSRC2:TGID_X_EN: 1
; COMPUTE_PGM_RSRC2:TGID_Y_EN: 1
; COMPUTE_PGM_RSRC2:TGID_Z_EN: 1
; COMPUTE_PGM_RSRC2:TIDIG_COMP_CNT: 0
; COMPUTE_PGM_RSRC3_GFX90A:ACCUM_OFFSET: 5
; COMPUTE_PGM_RSRC3_GFX90A:TG_SPLIT: 0
	.section	.text._ZL15flash_attn_tileILi128ELi128ELi2ELi2ELb0EEvPKcS1_S1_S1_S1_PKiPfP15HIP_vector_typeIfLj2EEffffjfiS5_IjLj3EEiiiiiiiiiiiliiliiiiil,"axG",@progbits,_ZL15flash_attn_tileILi128ELi128ELi2ELi2ELb0EEvPKcS1_S1_S1_S1_PKiPfP15HIP_vector_typeIfLj2EEffffjfiS5_IjLj3EEiiiiiiiiiiiliiliiiiil,comdat
	.globl	_ZL15flash_attn_tileILi128ELi128ELi2ELi2ELb0EEvPKcS1_S1_S1_S1_PKiPfP15HIP_vector_typeIfLj2EEffffjfiS5_IjLj3EEiiiiiiiiiiiliiliiiiil ; -- Begin function _ZL15flash_attn_tileILi128ELi128ELi2ELi2ELb0EEvPKcS1_S1_S1_S1_PKiPfP15HIP_vector_typeIfLj2EEffffjfiS5_IjLj3EEiiiiiiiiiiiliiliiiiil
	.p2align	8
	.type	_ZL15flash_attn_tileILi128ELi128ELi2ELi2ELb0EEvPKcS1_S1_S1_S1_PKiPfP15HIP_vector_typeIfLj2EEffffjfiS5_IjLj3EEiiiiiiiiiiiliiliiiiil,@function
_ZL15flash_attn_tileILi128ELi128ELi2ELi2ELb0EEvPKcS1_S1_S1_S1_PKiPfP15HIP_vector_typeIfLj2EEffffjfiS5_IjLj3EEiiiiiiiiiiiliiliiiiil: ; @_ZL15flash_attn_tileILi128ELi128ELi2ELi2ELb0EEvPKcS1_S1_S1_S1_PKiPfP15HIP_vector_typeIfLj2EEffffjfiS5_IjLj3EEiiiiiiiiiiiliiliiiiil
; %bb.0:
	s_load_dwordx4 s[28:31], s[4:5], 0x5c
	s_load_dwordx2 s[34:35], s[4:5], 0x80
	s_load_dwordx16 s[12:27], s[4:5], 0x0
	s_mov_b64 s[36:37], 0
	s_waitcnt lgkmcnt(0)
	s_lshr_b32 s0, s31, 31
	s_add_i32 s0, s31, s0
	s_ashr_i32 s0, s0, 1
	v_cvt_f32_u32_e32 v1, s0
	s_sub_i32 s1, 0, s0
	v_rcp_iflag_f32_e32 v1, v1
	v_mul_f32_e32 v1, 0x4f7ffffe, v1
	v_cvt_u32_f32_e32 v1, v1
	v_readfirstlane_b32 s2, v1
	s_mul_i32 s1, s1, s2
	s_mul_hi_u32 s1, s2, s1
	s_add_i32 s2, s2, s1
	s_mul_hi_u32 s1, s8, s2
	s_mul_i32 s2, s1, s0
	s_sub_i32 s2, s8, s2
	s_add_i32 s3, s1, 1
	s_sub_i32 s9, s2, s0
	s_cmp_ge_u32 s2, s0
	s_cselect_b32 s1, s3, s1
	s_cselect_b32 s2, s9, s2
	s_add_i32 s3, s1, 1
	s_cmp_ge_u32 s2, s0
	s_cselect_b32 s33, s3, s1
	s_abs_i32 s0, s35
	v_cvt_f32_u32_e32 v1, s0
	s_lshl_b32 s1, s8, 1
	s_mul_i32 s8, s33, s31
	s_xor_b32 s2, s31, s35
	v_rcp_iflag_f32_e32 v1, v1
	s_sub_i32 s9, 0, s0
	s_sub_i32 s35, s1, s8
	s_abs_i32 s3, s31
	v_mul_f32_e32 v1, 0x4f7ffffe, v1
	v_cvt_u32_f32_e32 v1, v1
	s_ashr_i32 s2, s2, 31
	v_readfirstlane_b32 s1, v1
	s_mul_i32 s9, s9, s1
	s_mul_hi_u32 s8, s1, s9
	s_add_i32 s1, s1, s8
	s_mul_hi_u32 s1, s3, s1
	s_mul_i32 s8, s1, s0
	s_sub_i32 s3, s3, s8
	s_add_i32 s9, s1, 1
	s_sub_i32 s8, s3, s0
	s_cmp_ge_u32 s3, s0
	s_cselect_b32 s1, s9, s1
	s_cselect_b32 s3, s8, s3
	s_add_i32 s8, s1, 1
	s_cmp_ge_u32 s3, s0
	s_cselect_b32 s0, s8, s1
	s_xor_b32 s0, s0, s2
	s_sub_i32 s9, s0, s2
	s_abs_i32 s8, s9
	v_cvt_f32_u32_e32 v1, s8
	s_load_dwordx2 s[0:1], s[4:5], 0xb8
	s_cmp_eq_u64 s[18:19], 0
	v_rcp_iflag_f32_e32 v1, v1
	v_mul_f32_e32 v1, 0x4f7ffffe, v1
	v_cvt_u32_f32_e32 v1, v1
	v_readfirstlane_b32 s10, v1
	s_cbranch_scc1 .LBB46_2
; %bb.1:
	s_waitcnt lgkmcnt(0)
	s_abs_i32 s0, s0
	v_cvt_f32_u32_e32 v1, s0
	s_sub_i32 s37, 0, s0
	s_abs_i32 s36, s33
	s_ashr_i32 s11, s33, 31
	v_rcp_iflag_f32_e32 v1, v1
	s_load_dwordx2 s[2:3], s[4:5], 0xc8
	v_mul_f32_e32 v1, 0x4f7ffffe, v1
	v_cvt_u32_f32_e32 v1, v1
	v_readfirstlane_b32 s38, v1
	s_mul_i32 s37, s37, s38
	s_mul_hi_u32 s37, s38, s37
	s_add_i32 s38, s38, s37
	s_mul_hi_u32 s37, s36, s38
	s_mul_i32 s37, s37, s0
	s_sub_i32 s36, s36, s37
	s_sub_i32 s37, s36, s0
	s_cmp_ge_u32 s36, s0
	s_cselect_b32 s36, s37, s36
	s_sub_i32 s37, s36, s0
	s_cmp_ge_u32 s36, s0
	s_cselect_b32 s0, s37, s36
	s_xor_b32 s0, s0, s11
	s_sub_i32 s0, s0, s11
	s_ashr_i32 s11, s0, 31
	s_waitcnt lgkmcnt(0)
	s_mul_i32 s3, s0, s3
	s_mul_hi_u32 s36, s0, s2
	s_add_i32 s3, s36, s3
	s_mul_i32 s11, s11, s2
	s_add_i32 s3, s3, s11
	s_mul_i32 s0, s0, s2
	s_add_u32 s36, s18, s0
	s_addc_u32 s37, s19, s3
.LBB46_2:
	s_load_dwordx4 s[40:43], s[4:5], 0x70
	v_bfe_u32 v1, v0, 10, 10
	v_lshrrev_b32_e32 v2, 1, v1
	v_lshl_add_u32 v54, s6, 1, v2
	v_mul_hi_u32 v2, s28, v54
	s_waitcnt lgkmcnt(0)
	s_mul_i32 s0, s33, s42
	s_ashr_i32 s3, s0, 31
	s_mul_i32 s2, s35, s41
	s_add_u32 s0, s12, s0
	s_addc_u32 s3, s13, s3
	s_ashr_i32 s11, s2, 31
	s_add_u32 s0, s0, s2
	s_addc_u32 s11, s3, s11
	s_ashr_i32 s2, s41, 31
	v_mov_b32_e32 v3, s41
	v_add_u32_e32 v2, v54, v2
	v_and_b32_e32 v17, 1, v1
	v_alignbit_b32 v3, s2, v3, 2
	v_lshrrev_b32_e32 v2, s29, v2
	v_mul_lo_u32 v4, v3, v17
	v_mul_lo_u32 v2, v2, s30
	s_ashr_i32 s12, s40, 31
	v_mov_b32_e32 v3, s40
	s_lshr_b32 s3, s2, 2
	v_sub_u32_e32 v2, v54, v2
	v_alignbit_b32 v3, s12, v3, 2
	v_mul_lo_u32 v5, s3, v17
	v_mad_u64_u32 v[6:7], s[2:3], v3, v2, 0
	v_mov_b32_e32 v8, v7
	s_lshr_b32 s2, s12, 2
	v_mad_u64_u32 v[8:9], s[2:3], s2, v2, v[8:9]
	v_lshlrev_b64 v[4:5], 2, v[4:5]
	v_mov_b32_e32 v7, v8
	v_and_b32_e32 v16, 0x3ff, v0
	v_mov_b32_e32 v0, s11
	v_add_co_u32_e32 v3, vcc, s0, v4
	v_addc_co_u32_e32 v0, vcc, v0, v5, vcc
	v_lshlrev_b64 v[4:5], 2, v[6:7]
	v_add_co_u32_e32 v3, vcc, v3, v4
	v_addc_co_u32_e32 v0, vcc, v0, v5, vcc
	v_lshlrev_b32_e32 v4, 4, v16
	v_add_co_u32_e32 v4, vcc, v3, v4
	v_addc_co_u32_e32 v5, vcc, 0, v0, vcc
	global_load_dwordx4 v[4:7], v[4:5], off
	s_load_dword s0, s[4:5], 0x40
	v_lshlrev_b32_e32 v0, 6, v1
	v_lshlrev_b32_e32 v3, 1, v16
	v_add_lshl_u32 v0, v0, v3, 2
	s_cmp_eq_u64 s[22:23], 0
	s_waitcnt vmcnt(0) lgkmcnt(0)
	v_pk_mul_f32 v[4:5], v[4:5], s[0:1] op_sel_hi:[1,0]
	v_pk_mul_f32 v[6:7], v[6:7], s[0:1] op_sel_hi:[1,0]
	v_cvt_f16_f32_e32 v8, v5
	v_cvt_f16_f32_e32 v5, v7
	;; [unrolled: 1-line block ×4, first 2 shown]
	v_pack_b32_f16 v5, v6, v5
	v_pack_b32_f16 v4, v4, v8
	ds_write_b64 v0, v[4:5] offset:17408
	s_waitcnt lgkmcnt(0)
	s_barrier
	s_cbranch_scc1 .LBB46_4
; %bb.3:
	s_load_dword s0, s[4:5], 0xd0
	s_mov_b32 s3, 0
	s_waitcnt lgkmcnt(0)
	s_mul_i32 s0, s0, s33
	s_add_i32 s2, s0, s6
	s_lshl_b64 s[2:3], s[2:3], 2
	s_add_u32 s2, s22, s2
	s_addc_u32 s3, s23, s3
	s_load_dword s34, s[2:3], 0x0
.LBB46_4:
	s_lshl_b32 s6, s7, 6
	s_waitcnt lgkmcnt(0)
	s_cmp_lt_i32 s6, s34
	v_mbcnt_lo_u32_b32 v0, -1, 0
	s_cbranch_scc1 .LBB46_6
; %bb.5:
	v_mbcnt_hi_u32_b32 v19, -1, v0
	v_and_b32_e32 v3, 0x60, v19
	s_mov_b32 s0, 0
	v_add_u32_e32 v53, 32, v3
	v_xor_b32_e32 v66, 16, v19
	v_xor_b32_e32 v64, 8, v19
	;; [unrolled: 1-line block ×5, first 2 shown]
	s_mov_b64 s[2:3], 0
	s_mov_b32 s11, 0xfeffffff
	s_branch .LBB46_7
.LBB46_6:
	s_mov_b64 s[2:3], -1
                                        ; implicit-def: $sgpr11
                                        ; implicit-def: $sgpr0
                                        ; implicit-def: $vgpr19
                                        ; implicit-def: $vgpr53
                                        ; implicit-def: $vgpr66
                                        ; implicit-def: $vgpr64
                                        ; implicit-def: $vgpr63
                                        ; implicit-def: $vgpr61
                                        ; implicit-def: $vgpr59
.LBB46_7:
	v_lshlrev_b32_e32 v55, 2, v16
	s_andn2_b64 vcc, exec, s[2:3]
	v_mov_b32_e32 v52, s11
	v_mov_b32_e32 v94, s0
	;; [unrolled: 1-line block ×4, first 2 shown]
	s_cbranch_vccnz .LBB46_10
; %bb.8:
	s_load_dwordx2 s[2:3], s[4:5], 0x8c
	s_load_dwordx4 s[40:43], s[4:5], 0x98
	s_sub_i32 s0, 0, s8
	s_mul_i32 s0, s0, s10
	s_mul_hi_u32 s0, s10, s0
	s_waitcnt lgkmcnt(0)
	s_ashr_i32 s23, s2, 2
	s_ashr_i32 s2, s33, 31
	s_mul_i32 s18, s33, s41
	s_mul_hi_u32 s19, s33, s40
	s_add_i32 s18, s19, s18
	s_mul_i32 s19, s2, s40
	s_abs_i32 s12, s35
	s_add_i32 s10, s10, s0
	s_ashr_i32 s13, s35, 31
	s_ashr_i32 s9, s9, 31
	;; [unrolled: 1-line block ×4, first 2 shown]
	s_add_i32 s18, s18, s19
	s_mul_i32 s19, s33, s40
	s_mul_hi_u32 s0, s12, s10
	s_add_u32 s14, s14, s19
	s_addc_u32 s15, s15, s18
	s_xor_b32 s9, s13, s9
	s_mul_i32 s13, s0, s8
	s_sub_i32 s12, s12, s13
	s_add_i32 s13, s0, 1
	s_sub_i32 s18, s12, s8
	s_cmp_ge_u32 s12, s8
	s_cselect_b32 s0, s13, s0
	s_cselect_b32 s12, s18, s12
	s_add_i32 s13, s0, 1
	s_cmp_ge_u32 s12, s8
	s_cselect_b32 s0, s13, s0
	s_load_dwordx2 s[10:11], s[4:5], 0xa8
	s_xor_b32 s0, s0, s9
	s_sub_i32 s0, s0, s9
	s_mul_i32 s3, s0, s3
	s_ashr_i32 s8, s3, 31
	s_add_u32 s28, s14, s3
	s_addc_u32 s29, s15, s8
	s_waitcnt lgkmcnt(0)
	s_mul_i32 s3, s33, s11
	s_mul_hi_u32 s8, s33, s10
	s_add_i32 s3, s8, s3
	s_mul_i32 s2, s2, s10
	s_add_i32 s3, s3, s2
	s_mul_i32 s2, s33, s10
	s_add_u32 s2, s16, s2
	s_mul_i32 s0, s0, s43
	s_addc_u32 s3, s17, s3
	s_ashr_i32 s8, s0, 31
	v_lshrrev_b32_e32 v3, 4, v16
	v_and_b32_e32 v4, 60, v55
	s_add_u32 s38, s2, s0
	v_lshl_add_u32 v3, v1, 1, v3
	v_lshlrev_b32_e32 v5, 2, v4
	s_movk_i32 s0, 0x110
	s_addc_u32 s39, s3, s8
	v_mad_u32_u24 v57, v3, s0, v5
	v_mul_lo_u32 v6, s23, v3
	s_lshl_b32 s0, s23, 3
	v_add_u32_e32 v8, s0, v6
	v_add_u32_e32 v10, s0, v8
	;; [unrolled: 1-line block ×6, first 2 shown]
	v_mov_b32_e32 v18, 0x4400
	v_add_u32_e32 v34, s0, v32
	v_lshl_add_u32 v71, v1, 8, v18
	v_mad_u64_u32 v[18:19], s[0:1], v2, s1, v[16:17]
	v_mov_b32_e32 v2, 0x4800
	v_lshl_add_u32 v73, v1, 7, v2
	v_mul_lo_u32 v2, s22, v3
	s_lshl_b32 s0, s22, 3
	v_add_u32_e32 v38, s0, v2
	v_add_u32_e32 v40, s0, v38
	v_add_u32_e32 v42, s0, v40
	v_add_u32_e32 v44, s0, v42
	v_add_u32_e32 v46, s0, v44
	v_add_u32_e32 v48, s0, v46
	v_add_u32_e32 v50, s0, v48
	v_mbcnt_hi_u32_b32 v19, -1, v0
	v_ashrrev_i32_e32 v7, 31, v6
	v_ashrrev_i32_e32 v9, 31, v8
	;; [unrolled: 1-line block ×8, first 2 shown]
	v_lshl_or_b32 v75, v3, 8, v5
	v_ashrrev_i32_e32 v3, 31, v2
	v_ashrrev_i32_e32 v39, 31, v38
	;; [unrolled: 1-line block ×8, first 2 shown]
	v_lshlrev_b32_e32 v83, 3, v16
	s_add_u32 s18, s4, 0xd0
	v_and_b32_e32 v0, 0x60, v19
	v_mov_b32_e32 v56, 0
	v_add_u32_e32 v58, 0x880, v57
	v_add_u32_e32 v60, 0x1100, v57
	;; [unrolled: 1-line block ×7, first 2 shown]
	v_mul_u32_u24_e32 v72, 0x110, v16
	v_lshl_add_u32 v74, v16, 1, v73
	v_add_u32_e32 v76, 0x800, v75
	v_add_u32_e32 v77, 0x1000, v75
	;; [unrolled: 1-line block ×7, first 2 shown]
	s_addc_u32 s19, s5, 0
	v_mov_b32_e32 v52, 0xfeffffff
	v_lshlrev_b64 v[20:21], 2, v[6:7]
	v_lshlrev_b32_e32 v84, 2, v4
	v_lshlrev_b64 v[22:23], 2, v[8:9]
	v_lshlrev_b64 v[24:25], 2, v[10:11]
	;; [unrolled: 1-line block ×7, first 2 shown]
	v_mov_b32_e32 v85, s37
	v_add_u32_e32 v53, 32, v0
	v_xor_b32_e32 v66, 16, v19
	v_xor_b32_e32 v64, 8, v19
	;; [unrolled: 1-line block ×5, first 2 shown]
	s_mov_b32 s37, 0x3fb8aa3b
	s_mov_b32 s40, 0xc2ce8ed0
	s_mov_b32 s41, 0x42b17218
	v_mov_b32_e32 v86, 0x7f800000
	v_lshlrev_b64 v[36:37], 2, v[2:3]
	v_lshlrev_b64 v[38:39], 2, v[38:39]
	;; [unrolled: 1-line block ×8, first 2 shown]
	v_add_u32_e32 v87, 0x800, v83
	v_add_u32_e32 v88, 0x1000, v83
	;; [unrolled: 1-line block ×7, first 2 shown]
	v_mov_b32_e32 v68, 0
	v_mov_b32_e32 v94, 0
.LBB46_9:                               ; =>This Inner Loop Header: Depth=1
	v_cmp_lt_i32_e32 vcc, v66, v53
	v_cndmask_b32_e32 v5, v19, v66, vcc
	v_cmp_lt_i32_e32 vcc, v64, v53
	v_add_u32_e32 v2, s6, v18
	v_cndmask_b32_e32 v6, v19, v64, vcc
	v_cmp_lt_i32_e32 vcc, v63, v53
	s_mul_hi_i32 s1, s6, s23
	s_mul_i32 s0, s6, s23
	v_cndmask_b32_e32 v7, v19, v63, vcc
	v_cmp_lt_i32_e32 vcc, v61, v53
	v_ashrrev_i32_e32 v3, 31, v2
	v_cndmask_b32_e32 v8, v19, v61, vcc
	v_cmp_lt_i32_e32 vcc, v59, v53
	s_lshl_b64 s[0:1], s[0:1], 2
	v_lshlrev_b64 v[2:3], 1, v[2:3]
	v_cndmask_b32_e32 v9, v19, v59, vcc
	s_add_u32 s16, s28, s0
	v_add_co_u32_e32 v2, vcc, s36, v2
	s_addc_u32 s14, s29, s1
	v_addc_co_u32_e32 v3, vcc, v85, v3, vcc
	s_mul_hi_i32 s3, s6, s22
	s_mul_i32 s2, s6, s22
	v_lshlrev_b32_e32 v133, 2, v7
	v_lshlrev_b32_e32 v134, 2, v8
	v_mov_b32_e32 v7, s14
	v_add_co_u32_e32 v8, vcc, s16, v22
	v_lshlrev_b32_e32 v135, 2, v9
	s_lshl_b64 s[42:43], s[2:3], 2
	v_mov_b32_e32 v9, s14
	v_add_co_u32_e64 v10, s[0:1], s16, v24
	v_mov_b32_e32 v11, s14
	v_add_co_u32_e64 v12, s[2:3], s16, v26
	v_addc_co_u32_e32 v7, vcc, v7, v23, vcc
	v_mov_b32_e32 v4, v52
	v_lshlrev_b32_e32 v52, 2, v6
	v_mov_b32_e32 v6, s14
	v_mov_b32_e32 v13, s14
	v_add_co_u32_e64 v15, s[8:9], s16, v28
	v_mov_b32_e32 v95, s14
	v_add_co_u32_e64 v96, s[10:11], s16, v30
	;; [unrolled: 2-line block ×4, first 2 shown]
	v_add_co_u32_e64 v103, s[16:17], s16, v20
	v_add_co_u32_e32 v14, vcc, v8, v84
	v_addc_co_u32_e64 v8, s[0:1], v9, v25, s[0:1]
	v_addc_co_u32_e64 v9, s[2:3], v11, v27, s[2:3]
	v_mov_b32_e32 v132, v94
	v_addc_co_u32_e64 v6, s[16:17], v6, v21, s[16:17]
	v_add_co_u32_e64 v94, s[0:1], v10, v84
	v_add_co_u32_e64 v98, s[2:3], v12, v84
	v_addc_co_u32_e64 v10, s[8:9], v13, v29, s[8:9]
	v_addc_co_u32_e64 v11, s[10:11], v95, v31, s[10:11]
	;; [unrolled: 1-line block ×4, first 2 shown]
	v_add_co_u32_e64 v102, s[8:9], v15, v84
	v_add_co_u32_e64 v106, s[10:11], v96, v84
	v_add_co_u32_e64 v110, s[12:13], v99, v84
	v_add_co_u32_e64 v114, s[14:15], v101, v84
	v_add_co_u32_e64 v96, s[16:17], v103, v84
	v_addc_co_u32_e64 v97, s[16:17], 0, v6, s[16:17]
	v_addc_co_u32_e32 v15, vcc, 0, v7, vcc
	v_addc_co_u32_e64 v95, vcc, 0, v8, s[0:1]
	v_addc_co_u32_e64 v99, vcc, 0, v9, s[2:3]
	;; [unrolled: 1-line block ×6, first 2 shown]
	global_load_dwordx4 v[6:9], v[96:97], off
	global_load_dwordx4 v[10:13], v[14:15], off
                                        ; kill: killed $vgpr96 killed $vgpr97
                                        ; kill: killed $vgpr14 killed $vgpr15
	s_nop 0
	global_load_dwordx4 v[94:97], v[94:95], off
	s_nop 0
	global_load_dwordx4 v[98:101], v[98:99], off
	;; [unrolled: 2-line block ×6, first 2 shown]
	s_waitcnt vmcnt(7)
	ds_write_b128 v57, v[6:9]
	s_waitcnt vmcnt(6)
	ds_write_b128 v58, v[10:13]
	s_waitcnt vmcnt(5)
	ds_write_b128 v60, v[94:97]
	s_waitcnt vmcnt(4)
	ds_write_b128 v62, v[98:101]
	s_waitcnt vmcnt(3)
	ds_write_b128 v65, v[102:105]
	s_waitcnt vmcnt(2)
	ds_write_b128 v67, v[106:109]
	s_waitcnt vmcnt(1)
	ds_write_b128 v69, v[110:113]
	s_waitcnt vmcnt(0)
	ds_write_b128 v70, v[114:117]
	s_waitcnt lgkmcnt(0)
	s_barrier
	ds_read_b128 v[6:9], v72
	ds_read_b128 v[10:13], v71
	ds_read_b128 v[94:97], v72 offset:8704
	v_mov_b32_e32 v0, 0
	s_waitcnt lgkmcnt(1)
	;;#ASMSTART
	v_dot2_f32_f16 v0, v6, v10, v0
	;;#ASMEND
	;;#ASMSTART
	v_dot2_f32_f16 v0, v7, v11, v0
	;;#ASMEND
	v_mov_b32_e32 v1, 0
	;;#ASMSTART
	v_dot2_f32_f16 v0, v8, v12, v0
	;;#ASMEND
	;;#ASMSTART
	v_dot2_f32_f16 v0, v9, v13, v0
	;;#ASMEND
	s_waitcnt lgkmcnt(0)
	;;#ASMSTART
	v_dot2_f32_f16 v1, v94, v10, v1
	;;#ASMEND
	;;#ASMSTART
	v_dot2_f32_f16 v1, v95, v11, v1
	;;#ASMEND
	;;#ASMSTART
	v_dot2_f32_f16 v1, v96, v12, v1
	;;#ASMEND
	;;#ASMSTART
	v_dot2_f32_f16 v1, v97, v13, v1
	;;#ASMEND
	ds_read_b128 v[6:9], v72 offset:16
	ds_read_b128 v[10:13], v71 offset:16
	ds_read_b128 v[94:97], v72 offset:8720
	s_waitcnt lgkmcnt(1)
	;;#ASMSTART
	v_dot2_f32_f16 v0, v6, v10, v0
	;;#ASMEND
	;;#ASMSTART
	v_dot2_f32_f16 v0, v7, v11, v0
	;;#ASMEND
	;;#ASMSTART
	v_dot2_f32_f16 v0, v8, v12, v0
	;;#ASMEND
	;;#ASMSTART
	v_dot2_f32_f16 v0, v9, v13, v0
	;;#ASMEND
	s_waitcnt lgkmcnt(0)
	;;#ASMSTART
	v_dot2_f32_f16 v1, v94, v10, v1
	;;#ASMEND
	;;#ASMSTART
	v_dot2_f32_f16 v1, v95, v11, v1
	;;#ASMEND
	;;#ASMSTART
	v_dot2_f32_f16 v1, v96, v12, v1
	;;#ASMEND
	;;#ASMSTART
	v_dot2_f32_f16 v1, v97, v13, v1
	;;#ASMEND
	ds_read_b128 v[6:9], v72 offset:32
	ds_read_b128 v[10:13], v71 offset:32
	ds_read_b128 v[94:97], v72 offset:8736
	s_waitcnt lgkmcnt(1)
	;;#ASMSTART
	v_dot2_f32_f16 v0, v6, v10, v0
	;;#ASMEND
	;;#ASMSTART
	v_dot2_f32_f16 v0, v7, v11, v0
	;;#ASMEND
	;; [unrolled: 29-line block ×15, first 2 shown]
	;;#ASMSTART
	v_dot2_f32_f16 v0, v8, v12, v0
	;;#ASMEND
	;;#ASMSTART
	v_dot2_f32_f16 v0, v9, v13, v0
	;;#ASMEND
	s_waitcnt lgkmcnt(0)
	;;#ASMSTART
	v_dot2_f32_f16 v1, v94, v10, v1
	;;#ASMEND
	;;#ASMSTART
	v_dot2_f32_f16 v1, v95, v11, v1
	;;#ASMEND
	;; [unrolled: 3-line block ×4, first 2 shown]
	flat_load_ushort v94, v[2:3] offset:64
	s_nop 0
	flat_load_ushort v2, v[2:3]
	s_add_u32 s42, s38, s42
	s_addc_u32 s43, s39, s43
	v_mov_b32_e32 v118, s43
	v_add_co_u32_e32 v119, vcc, s42, v36
	v_mov_b32_e32 v120, s43
	v_add_co_u32_e64 v121, s[0:1], s42, v38
	v_mov_b32_e32 v122, s43
	v_add_co_u32_e64 v123, s[2:3], s42, v40
	v_addc_co_u32_e32 v15, vcc, v118, v37, vcc
	v_addc_co_u32_e64 v138, vcc, v120, v39, s[0:1]
	v_mov_b32_e32 v124, s43
	v_add_co_u32_e64 v125, s[8:9], s42, v42
	v_add_co_u32_e32 v14, vcc, v121, v84
	v_addc_co_u32_e64 v121, s[0:1], v122, v41, s[2:3]
	v_mov_b32_e32 v126, s43
	v_add_co_u32_e64 v127, s[10:11], s42, v44
	v_add_co_u32_e64 v118, s[0:1], v123, v84
	v_addc_co_u32_e64 v123, s[2:3], v124, v43, s[8:9]
	v_mov_b32_e32 v128, s43
	v_add_co_u32_e64 v129, s[12:13], s42, v46
	v_add_co_u32_e64 v120, s[2:3], v125, v84
	v_addc_co_u32_e64 v125, s[8:9], v126, v45, s[10:11]
	v_mov_b32_e32 v130, s43
	v_add_co_u32_e64 v131, s[14:15], s42, v48
	v_mov_b32_e32 v136, s43
	v_add_co_u32_e64 v137, s[16:17], s42, v50
	v_add_co_u32_e64 v122, s[8:9], v127, v84
	v_addc_co_u32_e64 v127, s[10:11], v128, v47, s[12:13]
	v_add_co_u32_e64 v124, s[10:11], v129, v84
	v_addc_co_u32_e64 v129, s[12:13], v130, v49, s[14:15]
	v_addc_co_u32_e64 v136, s[14:15], v136, v51, s[16:17]
	v_add_co_u32_e64 v130, s[16:17], v119, v84
	v_add_co_u32_e64 v126, s[12:13], v131, v84
	;; [unrolled: 1-line block ×3, first 2 shown]
	v_addc_co_u32_e64 v131, s[16:17], 0, v15, s[16:17]
	v_addc_co_u32_e32 v15, vcc, 0, v138, vcc
	v_addc_co_u32_e64 v119, vcc, 0, v121, s[0:1]
	v_addc_co_u32_e64 v121, vcc, 0, v123, s[2:3]
	;; [unrolled: 1-line block ×6, first 2 shown]
	s_waitcnt lgkmcnt(0)
	s_barrier
	global_load_dwordx4 v[6:9], v[130:131], off
	global_load_dwordx4 v[10:13], v[14:15], off
	;; [unrolled: 1-line block ×6, first 2 shown]
                                        ; kill: killed $vgpr130 killed $vgpr131
                                        ; kill: killed $vgpr120 killed $vgpr121
                                        ; kill: killed $vgpr118 killed $vgpr119
                                        ; kill: killed $vgpr124 killed $vgpr125
                                        ; kill: killed $vgpr14 killed $vgpr15
                                        ; kill: killed $vgpr122 killed $vgpr123
	global_load_dwordx4 v[112:115], v[126:127], off
	s_nop 0
	global_load_dwordx4 v[116:119], v[128:129], off
	s_waitcnt vmcnt(0)
	v_cvt_f32_f16_e32 v3, v94
	v_cvt_f32_f16_e32 v2, v2
	v_lshlrev_b32_e32 v5, 2, v5
	v_pk_add_f32 v[0:1], v[0:1], v[2:3]
	v_add_f32_e32 v2, 0x40051340, v0
	v_add_f32_e32 v3, 0x40051340, v1
	v_max3_f32 v2, v4, v2, v3
	ds_bpermute_b32 v3, v5, v2
	s_waitcnt lgkmcnt(0)
	v_max_f32_e32 v3, v3, v3
	v_max_f32_e32 v2, v2, v3
	ds_bpermute_b32 v3, v52, v2
	s_waitcnt lgkmcnt(0)
	v_max_f32_e32 v3, v3, v3
	v_max_f32_e32 v2, v2, v3
	;; [unrolled: 4-line block ×5, first 2 shown]
	v_pk_add_f32 v[0:1], v[0:1], v[52:53] op_sel_hi:[1,0] neg_lo:[0,1] neg_hi:[0,1]
	v_sub_f32_e32 v2, v4, v52
	v_mul_f32_e32 v4, 0x3fb8aa3b, v0
	v_mul_f32_e32 v3, 0x3fb8aa3b, v1
	;; [unrolled: 1-line block ×3, first 2 shown]
	v_fma_f32 v94, v0, s37, -v4
	v_rndne_f32_e32 v95, v4
	v_fma_f32 v14, v1, s37, -v3
	v_rndne_f32_e32 v15, v3
	;; [unrolled: 2-line block ×3, first 2 shown]
	v_fmac_f32_e32 v94, 0x32a5705f, v0
	v_sub_f32_e32 v4, v4, v95
	v_fmac_f32_e32 v14, 0x32a5705f, v1
	v_sub_f32_e32 v3, v3, v15
	;; [unrolled: 2-line block ×3, first 2 shown]
	v_add_f32_e32 v4, v4, v94
	v_cvt_i32_f32_e32 v95, v95
	v_add_f32_e32 v3, v3, v14
	v_add_f32_e32 v5, v5, v120
	v_exp_f32_e32 v4, v4
	v_cvt_i32_f32_e32 v15, v15
	v_cvt_i32_f32_e32 v121, v121
	v_exp_f32_e32 v3, v3
	v_exp_f32_e32 v5, v5
	v_ldexp_f32 v4, v4, v95
	v_cmp_ngt_f32_e32 vcc, s40, v0
	v_ldexp_f32 v3, v3, v15
	v_ldexp_f32 v5, v5, v121
	v_cmp_ngt_f32_e64 s[0:1], s40, v2
	v_cmp_ngt_f32_e64 s[2:3], s40, v1
	v_cndmask_b32_e32 v4, 0, v4, vcc
	v_cmp_nlt_f32_e32 vcc, s41, v0
	v_cndmask_b32_e64 v3, 0, v3, s[2:3]
	v_cndmask_b32_e64 v0, 0, v5, s[0:1]
	v_cmp_nlt_f32_e64 s[0:1], s41, v2
	v_cmp_nlt_f32_e64 s[2:3], s41, v1
	v_cndmask_b32_e32 v2, v86, v4, vcc
	v_cndmask_b32_e64 v1, v86, v3, s[2:3]
	v_cvt_f16_f32_e32 v3, v2
	v_cndmask_b32_e64 v0, v86, v0, s[0:1]
	v_add_f32_e32 v94, v2, v1
	v_cvt_f16_f32_e32 v1, v1
	v_cvt_f16_f32_e32 v95, v0
	v_fmac_f32_e32 v94, v132, v0
	ds_write_b16 v74, v3
	ds_write_b16 v74, v1 offset:64
	ds_write_b128 v75, v[6:9]
	ds_write_b128 v76, v[10:13]
	;; [unrolled: 1-line block ×8, first 2 shown]
	s_waitcnt lgkmcnt(0)
	s_barrier
	ds_read2_b64 v[96:99], v83 offset1:32
	ds_read_b128 v[12:15], v73
	ds_read_b128 v[8:11], v73 offset:16
	ds_read_b128 v[4:7], v73 offset:32
	;; [unrolled: 1-line block ×3, first 2 shown]
	ds_read2_b64 v[100:103], v83 offset0:64 offset1:96
	ds_read2_b64 v[104:107], v83 offset0:128 offset1:160
	ds_read2_b64 v[108:111], v83 offset0:192 offset1:224
	ds_read2_b64 v[112:115], v87 offset1:32
	ds_read2_b64 v[116:119], v87 offset0:64 offset1:96
	ds_read2_b64 v[120:123], v87 offset0:128 offset1:160
	ds_read2_b64 v[124:127], v87 offset0:192 offset1:224
	ds_read2_b64 v[128:131], v88 offset1:32
	;; [unrolled: 4-line block ×5, first 2 shown]
	ds_read_b128 v[180:183], v73 offset:64
	ds_read_b128 v[184:187], v73 offset:80
	ds_read2_b64 v[188:191], v91 offset0:64 offset1:96
	ds_read2_b64 v[192:195], v91 offset0:128 offset1:160
	;; [unrolled: 1-line block ×3, first 2 shown]
	ds_read2_b64 v[200:203], v92 offset1:32
	ds_read2_b64 v[204:207], v92 offset0:64 offset1:96
	ds_read2_b64 v[208:211], v92 offset0:128 offset1:160
	;; [unrolled: 1-line block ×3, first 2 shown]
	ds_read2_b64 v[216:219], v93 offset1:32
	ds_read_b128 v[220:223], v73 offset:96
	ds_read_b128 v[224:227], v73 offset:112
	ds_read2_b64 v[228:231], v93 offset0:64 offset1:96
	ds_read2_b64 v[232:235], v93 offset0:128 offset1:160
	;; [unrolled: 1-line block ×3, first 2 shown]
	s_waitcnt lgkmcnt(14)
	v_pk_mul_f16 v96, v96, v12 op_sel_hi:[1,0]
	v_pk_mul_f16 v97, v97, v12 op_sel_hi:[1,0]
	v_pk_fma_f16 v56, v56, v95, v96 op_sel_hi:[1,0,1]
	v_pk_fma_f16 v68, v68, v95, v97 op_sel_hi:[1,0,1]
	v_pk_fma_f16 v56, v98, v12, v56 op_sel:[0,1,0]
	v_pk_fma_f16 v12, v99, v12, v68 op_sel:[0,1,0]
	v_pk_fma_f16 v56, v100, v13, v56 op_sel_hi:[1,0,1]
	v_pk_fma_f16 v12, v101, v13, v12 op_sel_hi:[1,0,1]
	v_pk_fma_f16 v56, v102, v13, v56 op_sel:[0,1,0]
	v_pk_fma_f16 v12, v103, v13, v12 op_sel:[0,1,0]
	;; [unrolled: 4-line block ×20, first 2 shown]
	s_waitcnt lgkmcnt(13)
	v_pk_fma_f16 v1, v176, v184, v1 op_sel_hi:[1,0,1]
	v_pk_fma_f16 v0, v177, v184, v0 op_sel_hi:[1,0,1]
	v_pk_fma_f16 v1, v178, v184, v1 op_sel:[0,1,0]
	v_pk_fma_f16 v0, v179, v184, v0 op_sel:[0,1,0]
	s_waitcnt lgkmcnt(12)
	v_pk_fma_f16 v1, v188, v185, v1 op_sel_hi:[1,0,1]
	v_pk_fma_f16 v0, v189, v185, v0 op_sel_hi:[1,0,1]
	v_pk_fma_f16 v1, v190, v185, v1 op_sel:[0,1,0]
	v_pk_fma_f16 v0, v191, v185, v0 op_sel:[0,1,0]
	;; [unrolled: 5-line block ×5, first 2 shown]
	v_pk_fma_f16 v1, v204, v221, v1 op_sel_hi:[1,0,1]
	v_pk_fma_f16 v0, v205, v221, v0 op_sel_hi:[1,0,1]
	v_pk_fma_f16 v1, v206, v221, v1 op_sel:[0,1,0]
	v_pk_fma_f16 v0, v207, v221, v0 op_sel:[0,1,0]
	v_pk_fma_f16 v1, v208, v222, v1 op_sel_hi:[1,0,1]
	v_pk_fma_f16 v0, v209, v222, v0 op_sel_hi:[1,0,1]
	v_pk_fma_f16 v1, v210, v222, v1 op_sel:[0,1,0]
	v_pk_fma_f16 v0, v211, v222, v0 op_sel:[0,1,0]
	;; [unrolled: 4-line block ×3, first 2 shown]
	s_waitcnt lgkmcnt(0)
	s_barrier
	s_load_dword s0, s[18:19], 0x4
	v_pk_fma_f16 v1, v216, v224, v1 op_sel_hi:[1,0,1]
	v_pk_fma_f16 v0, v217, v224, v0 op_sel_hi:[1,0,1]
	v_pk_fma_f16 v1, v218, v224, v1 op_sel:[0,1,0]
	v_pk_fma_f16 v0, v219, v224, v0 op_sel:[0,1,0]
	v_pk_fma_f16 v1, v228, v225, v1 op_sel_hi:[1,0,1]
	v_pk_fma_f16 v0, v229, v225, v0 op_sel_hi:[1,0,1]
	v_pk_fma_f16 v1, v230, v225, v1 op_sel:[0,1,0]
	v_pk_fma_f16 v0, v231, v225, v0 op_sel:[0,1,0]
	v_pk_fma_f16 v1, v232, v226, v1 op_sel_hi:[1,0,1]
	v_pk_fma_f16 v0, v233, v226, v0 op_sel_hi:[1,0,1]
	s_waitcnt lgkmcnt(0)
	s_lshl_b32 s0, s0, 6
	v_pk_fma_f16 v1, v234, v226, v1 op_sel:[0,1,0]
	v_pk_fma_f16 v0, v235, v226, v0 op_sel:[0,1,0]
	s_add_i32 s6, s0, s6
	v_pk_fma_f16 v1, v236, v227, v1 op_sel_hi:[1,0,1]
	v_pk_fma_f16 v0, v237, v227, v0 op_sel_hi:[1,0,1]
	s_cmp_lt_i32 s6, s34
	v_pk_fma_f16 v56, v238, v227, v1 op_sel:[0,1,0]
	v_pk_fma_f16 v68, v239, v227, v0 op_sel:[0,1,0]
	s_cbranch_scc1 .LBB46_9
.LBB46_10:
	v_cmp_lt_i32_e32 vcc, v66, v53
	v_cndmask_b32_e32 v0, v19, v66, vcc
	v_lshlrev_b32_e32 v0, 2, v0
	ds_bpermute_b32 v0, v0, v94
	v_cmp_lt_i32_e32 vcc, v64, v53
	v_cndmask_b32_e32 v1, v19, v64, vcc
	v_lshlrev_b32_e32 v1, 2, v1
	v_cmp_lt_i32_e32 vcc, v63, v53
	s_waitcnt lgkmcnt(0)
	v_add_f32_e32 v0, v94, v0
	ds_bpermute_b32 v1, v1, v0
	v_cndmask_b32_e32 v2, v19, v63, vcc
	v_lshlrev_b32_e32 v2, 2, v2
	v_cmp_lt_i32_e32 vcc, v61, v53
	s_cmp_eq_u64 s[20:21], 0
	s_waitcnt lgkmcnt(0)
	v_add_f32_e32 v0, v0, v1
	ds_bpermute_b32 v1, v2, v0
	v_cndmask_b32_e32 v2, v19, v61, vcc
	v_lshlrev_b32_e32 v2, 2, v2
	v_cmp_lt_i32_e32 vcc, v59, v53
	s_cselect_b64 s[0:1], -1, 0
	s_waitcnt lgkmcnt(0)
	v_add_f32_e32 v0, v0, v1
	ds_bpermute_b32 v1, v2, v0
	v_cndmask_b32_e32 v2, v19, v59, vcc
	v_lshlrev_b32_e32 v2, 2, v2
	s_cmp_lg_u32 s7, 0
	s_cselect_b64 s[2:3], -1, 0
	s_waitcnt lgkmcnt(0)
	v_add_f32_e32 v0, v0, v1
	ds_bpermute_b32 v1, v2, v0
	s_or_b64 s[0:1], s[2:3], s[0:1]
	s_and_b64 vcc, exec, s[0:1]
	s_waitcnt lgkmcnt(0)
	v_add_f32_e32 v53, v0, v1
	s_cbranch_vccnz .LBB46_13
; %bb.11:
	v_add_u32_e32 v0, s35, v17
	v_ashrrev_i32_e32 v1, 31, v0
	v_lshlrev_b64 v[0:1], 2, v[0:1]
	v_mov_b32_e32 v2, s21
	v_add_co_u32_e32 v0, vcc, s20, v0
	v_addc_co_u32_e32 v1, vcc, v2, v1, vcc
	global_load_dword v1, v[0:1], off
	v_max_f32_e32 v0, v52, v52
	s_mov_b32 s0, 0x3fb8aa3b
	s_mov_b32 s1, 0xc2ce8ed0
	s_waitcnt vmcnt(0)
	v_max_f32_e32 v2, v1, v1
	v_max_f32_e32 v0, v0, v2
	v_sub_f32_e32 v2, v52, v0
	v_sub_f32_e32 v1, v1, v0
	v_mul_f32_e32 v3, 0x3fb8aa3b, v2
	v_mul_f32_e32 v4, 0x3fb8aa3b, v1
	v_fma_f32 v5, v2, s0, -v3
	v_rndne_f32_e32 v6, v3
	v_fma_f32 v7, v1, s0, -v4
	v_rndne_f32_e32 v8, v4
	v_fmac_f32_e32 v5, 0x32a5705f, v2
	v_sub_f32_e32 v3, v3, v6
	v_fmac_f32_e32 v7, 0x32a5705f, v1
	v_sub_f32_e32 v4, v4, v8
	v_add_f32_e32 v3, v3, v5
	v_cvt_i32_f32_e32 v6, v6
	v_add_f32_e32 v4, v4, v7
	v_exp_f32_e32 v3, v3
	v_cvt_i32_f32_e32 v8, v8
	v_exp_f32_e32 v4, v4
	v_cmp_ngt_f32_e32 vcc, s1, v2
	v_ldexp_f32 v3, v3, v6
	s_mov_b32 s0, 0x42b17218
	v_ldexp_f32 v4, v4, v8
	v_cndmask_b32_e32 v3, 0, v3, vcc
	v_cmp_ngt_f32_e32 vcc, s1, v1
	v_mov_b32_e32 v5, 0x7f800000
	v_cndmask_b32_e32 v4, 0, v4, vcc
	v_cmp_nlt_f32_e32 vcc, s0, v2
	v_cndmask_b32_e32 v2, v5, v3, vcc
	v_cvt_f16_f32_e32 v3, v2
	v_cmp_nlt_f32_e32 vcc, s0, v1
	v_cndmask_b32_e32 v1, v5, v4, vcc
	v_fmac_f32_e32 v1, v53, v2
	v_pk_mul_f16 v56, v3, v56 op_sel_hi:[0,1]
	v_pk_mul_f16 v68, v3, v68 op_sel_hi:[0,1]
	v_pk_mov_b32 v[52:53], v[0:1], v[0:1] op_sel:[0,1]
	v_cmp_gt_i32_e32 vcc, s30, v54
	s_and_saveexec_b64 s[0:1], vcc
	s_cbranch_execnz .LBB46_14
.LBB46_12:
	s_endpgm
.LBB46_13:
	v_mov_b32_e32 v1, v53
	v_cmp_gt_i32_e32 vcc, s30, v54
	s_and_saveexec_b64 s[0:1], vcc
	s_cbranch_execz .LBB46_12
.LBB46_14:
	v_div_scale_f32 v0, s[0:1], v1, v1, 1.0
	v_rcp_f32_e32 v2, v0
	s_load_dword s2, s[4:5], 0xd4
	s_mul_i32 s33, s33, s30
	v_cvt_f32_f16_sdwa v7, v56 dst_sel:DWORD dst_unused:UNUSED_PAD src0_sel:WORD_1
	v_fma_f32 v3, -v0, v2, 1.0
	v_fmac_f32_e32 v2, v3, v2
	v_div_scale_f32 v3, vcc, 1.0, v1, 1.0
	v_mul_f32_e32 v4, v3, v2
	v_fma_f32 v5, -v0, v4, v3
	v_fmac_f32_e32 v4, v5, v2
	v_fma_f32 v0, -v0, v4, v3
	s_waitcnt lgkmcnt(0)
	s_cmp_lg_u32 s2, 1
	v_div_fmas_f32 v0, v0, v2, v4
	v_div_fixup_f32 v0, v0, v1, 1.0
	s_cselect_b64 s[0:1], -1, 0
	v_cndmask_b32_e64 v4, v0, 1.0, s[0:1]
	v_add_u32_e32 v0, s33, v54
	v_mul_lo_u32 v0, v0, s31
	v_add3_u32 v0, s35, v17, v0
	v_mul_lo_u32 v0, s2, v0
	v_add_u32_e32 v0, s7, v0
	v_lshl_add_u32 v2, v0, 7, v55
	v_mov_b32_e32 v3, 0
	v_lshlrev_b64 v[2:3], 2, v[2:3]
	v_cvt_f32_f16_e32 v6, v56
	v_cvt_f32_f16_sdwa v9, v68 dst_sel:DWORD dst_unused:UNUSED_PAD src0_sel:WORD_1
	v_cvt_f32_f16_e32 v8, v68
	v_mov_b32_e32 v1, s25
	v_add_co_u32_e32 v10, vcc, s24, v2
	v_addc_co_u32_e32 v11, vcc, v1, v3, vcc
	v_cmp_eq_u32_e32 vcc, 0, v16
	v_pk_mul_f32 v[2:3], v[4:5], v[6:7] op_sel_hi:[0,1]
	v_pk_mul_f32 v[4:5], v[4:5], v[8:9] op_sel_hi:[0,1]
	s_and_b64 s[0:1], vcc, s[0:1]
	global_store_dwordx4 v[10:11], v[2:5], off
	s_and_b64 exec, exec, s[0:1]
	s_cbranch_execz .LBB46_12
; %bb.15:
	v_ashrrev_i32_e32 v1, 31, v0
	v_lshlrev_b64 v[0:1], 3, v[0:1]
	v_mov_b32_e32 v2, s27
	v_add_co_u32_e32 v0, vcc, s26, v0
	v_addc_co_u32_e32 v1, vcc, v2, v1, vcc
	global_store_dwordx2 v[0:1], v[52:53], off
	s_endpgm
	.section	.rodata,"a",@progbits
	.p2align	6, 0x0
	.amdhsa_kernel _ZL15flash_attn_tileILi128ELi128ELi2ELi2ELb0EEvPKcS1_S1_S1_S1_PKiPfP15HIP_vector_typeIfLj2EEffffjfiS5_IjLj3EEiiiiiiiiiiiliiliiiiil
		.amdhsa_group_segment_fixed_size 18944
		.amdhsa_private_segment_fixed_size 0
		.amdhsa_kernarg_size 464
		.amdhsa_user_sgpr_count 6
		.amdhsa_user_sgpr_private_segment_buffer 1
		.amdhsa_user_sgpr_dispatch_ptr 0
		.amdhsa_user_sgpr_queue_ptr 0
		.amdhsa_user_sgpr_kernarg_segment_ptr 1
		.amdhsa_user_sgpr_dispatch_id 0
		.amdhsa_user_sgpr_flat_scratch_init 0
		.amdhsa_user_sgpr_kernarg_preload_length 0
		.amdhsa_user_sgpr_kernarg_preload_offset 0
		.amdhsa_user_sgpr_private_segment_size 0
		.amdhsa_uses_dynamic_stack 0
		.amdhsa_system_sgpr_private_segment_wavefront_offset 0
		.amdhsa_system_sgpr_workgroup_id_x 1
		.amdhsa_system_sgpr_workgroup_id_y 1
		.amdhsa_system_sgpr_workgroup_id_z 1
		.amdhsa_system_sgpr_workgroup_info 0
		.amdhsa_system_vgpr_workitem_id 1
		.amdhsa_next_free_vgpr 240
		.amdhsa_next_free_sgpr 44
		.amdhsa_accum_offset 240
		.amdhsa_reserve_vcc 1
		.amdhsa_reserve_flat_scratch 0
		.amdhsa_float_round_mode_32 0
		.amdhsa_float_round_mode_16_64 0
		.amdhsa_float_denorm_mode_32 3
		.amdhsa_float_denorm_mode_16_64 3
		.amdhsa_dx10_clamp 1
		.amdhsa_ieee_mode 1
		.amdhsa_fp16_overflow 0
		.amdhsa_tg_split 0
		.amdhsa_exception_fp_ieee_invalid_op 0
		.amdhsa_exception_fp_denorm_src 0
		.amdhsa_exception_fp_ieee_div_zero 0
		.amdhsa_exception_fp_ieee_overflow 0
		.amdhsa_exception_fp_ieee_underflow 0
		.amdhsa_exception_fp_ieee_inexact 0
		.amdhsa_exception_int_div_zero 0
	.end_amdhsa_kernel
	.section	.text._ZL15flash_attn_tileILi128ELi128ELi2ELi2ELb0EEvPKcS1_S1_S1_S1_PKiPfP15HIP_vector_typeIfLj2EEffffjfiS5_IjLj3EEiiiiiiiiiiiliiliiiiil,"axG",@progbits,_ZL15flash_attn_tileILi128ELi128ELi2ELi2ELb0EEvPKcS1_S1_S1_S1_PKiPfP15HIP_vector_typeIfLj2EEffffjfiS5_IjLj3EEiiiiiiiiiiiliiliiiiil,comdat
.Lfunc_end46:
	.size	_ZL15flash_attn_tileILi128ELi128ELi2ELi2ELb0EEvPKcS1_S1_S1_S1_PKiPfP15HIP_vector_typeIfLj2EEffffjfiS5_IjLj3EEiiiiiiiiiiiliiliiiiil, .Lfunc_end46-_ZL15flash_attn_tileILi128ELi128ELi2ELi2ELb0EEvPKcS1_S1_S1_S1_PKiPfP15HIP_vector_typeIfLj2EEffffjfiS5_IjLj3EEiiiiiiiiiiiliiliiiiil
                                        ; -- End function
	.section	.AMDGPU.csdata,"",@progbits
; Kernel info:
; codeLenInByte = 6976
; NumSgprs: 48
; NumVgprs: 240
; NumAgprs: 0
; TotalNumVgprs: 240
; ScratchSize: 0
; MemoryBound: 0
; FloatMode: 240
; IeeeMode: 1
; LDSByteSize: 18944 bytes/workgroup (compile time only)
; SGPRBlocks: 5
; VGPRBlocks: 29
; NumSGPRsForWavesPerEU: 48
; NumVGPRsForWavesPerEU: 240
; AccumOffset: 240
; Occupancy: 2
; WaveLimiterHint : 1
; COMPUTE_PGM_RSRC2:SCRATCH_EN: 0
; COMPUTE_PGM_RSRC2:USER_SGPR: 6
; COMPUTE_PGM_RSRC2:TRAP_HANDLER: 0
; COMPUTE_PGM_RSRC2:TGID_X_EN: 1
; COMPUTE_PGM_RSRC2:TGID_Y_EN: 1
; COMPUTE_PGM_RSRC2:TGID_Z_EN: 1
; COMPUTE_PGM_RSRC2:TIDIG_COMP_CNT: 1
; COMPUTE_PGM_RSRC3_GFX90A:ACCUM_OFFSET: 59
; COMPUTE_PGM_RSRC3_GFX90A:TG_SPLIT: 0
	.section	.text._ZL33flash_attn_stream_k_fixup_uniformILi128ELi2ELi2EEvPfPK15HIP_vector_typeIfLj2EEiiiiiiS1_IjLj3EES5_S5_,"axG",@progbits,_ZL33flash_attn_stream_k_fixup_uniformILi128ELi2ELi2EEvPfPK15HIP_vector_typeIfLj2EEiiiiiiS1_IjLj3EES5_S5_,comdat
	.globl	_ZL33flash_attn_stream_k_fixup_uniformILi128ELi2ELi2EEvPfPK15HIP_vector_typeIfLj2EEiiiiiiS1_IjLj3EES5_S5_ ; -- Begin function _ZL33flash_attn_stream_k_fixup_uniformILi128ELi2ELi2EEvPfPK15HIP_vector_typeIfLj2EEiiiiiiS1_IjLj3EES5_S5_
	.p2align	8
	.type	_ZL33flash_attn_stream_k_fixup_uniformILi128ELi2ELi2EEvPfPK15HIP_vector_typeIfLj2EEiiiiiiS1_IjLj3EES5_S5_,@function
_ZL33flash_attn_stream_k_fixup_uniformILi128ELi2ELi2EEvPfPK15HIP_vector_typeIfLj2EEiiiiiiS1_IjLj3EES5_S5_: ; @_ZL33flash_attn_stream_k_fixup_uniformILi128ELi2ELi2EEvPfPK15HIP_vector_typeIfLj2EEiiiiiiS1_IjLj3EES5_S5_
; %bb.0:
	s_load_dwordx8 s[12:19], s[4:5], 0x1c
	s_load_dwordx2 s[10:11], s[4:5], 0x10
	s_load_dwordx4 s[0:3], s[4:5], 0x3c
	s_waitcnt lgkmcnt(0)
	s_mul_hi_u32 s9, s15, s6
	s_add_i32 s9, s6, s9
	s_lshr_b32 s9, s9, s16
	s_mul_i32 s15, s9, s17
	s_sub_i32 s15, s6, s15
	s_mul_hi_u32 s16, s15, s18
	s_add_i32 s16, s15, s16
	s_lshr_b32 s16, s16, s19
	s_mul_i32 s0, s16, s0
	s_sub_i32 s0, s15, s0
	;; [unrolled: 5-line block ×3, first 2 shown]
	s_lshl_b32 s0, s17, 1
	s_lshl_b32 s15, s1, 1
	s_add_i32 s0, s0, s7
	s_cmp_lt_i32 s0, s10
	s_cselect_b64 s[0:1], -1, 0
	s_add_i32 s2, s15, s8
	s_cmp_lt_i32 s2, s13
	s_cselect_b64 s[2:3], -1, 0
	s_and_b64 s[0:1], s[0:1], s[2:3]
	s_andn2_b64 vcc, exec, s[0:1]
	s_cbranch_vccnz .LBB47_6
; %bb.1:
	s_load_dwordx4 s[0:3], s[4:5], 0x0
	s_mul_i32 s4, s9, s10
	s_add_i32 s4, s4, s7
	s_mul_i32 s4, s4, s11
	s_mul_i32 s16, s16, s13
	s_add_i32 s4, s4, s8
	s_add_i32 s4, s4, s16
	s_mul_i32 s5, s11, s17
	s_add_i32 s4, s4, s15
	s_lshl_b32 s5, s5, 8
	s_lshl_b32 s4, s4, 7
	s_add_i32 s5, s5, s4
	v_or_b32_e32 v2, s5, v0
	v_ashrrev_i32_e32 v3, 31, v2
	v_lshlrev_b64 v[2:3], 2, v[2:3]
	s_waitcnt lgkmcnt(0)
	v_mov_b32_e32 v1, s1
	v_add_co_u32_e32 v2, vcc, s0, v2
	v_addc_co_u32_e32 v3, vcc, v1, v3, vcc
	global_load_dword v8, v[2:3], off
	s_mul_i32 s9, s6, s14
	s_lshl_b32 s4, s7, 1
	s_add_i32 s11, s9, s14
	s_add_i32 s0, s4, s8
	s_lshl_b32 s1, s11, 2
	s_add_i32 s0, s0, s1
	s_add_i32 s0, s0, -4
	s_ashr_i32 s1, s0, 31
	s_lshl_b64 s[0:1], s[0:1], 3
	s_add_u32 s0, s2, s0
	s_addc_u32 s1, s3, s1
	s_load_dword s5, s[0:1], 0x4
	s_add_i32 s10, s11, -2
	s_cmp_lt_i32 s10, s9
	s_cbranch_scc1 .LBB47_4
; %bb.2:
	s_lshl_b32 s16, s12, 4
	s_ashr_i32 s17, s16, 31
	s_lshl_b64 s[16:17], s[16:17], 2
	s_add_u32 s10, s2, s16
	s_addc_u32 s13, s3, s17
	s_add_i32 s6, s6, 1
	s_load_dword s0, s[0:1], 0x0
	s_mul_i32 s1, s14, s6
	s_lshl_b32 s7, s7, 8
	s_lshl_b32 s14, s8, 7
	;; [unrolled: 1-line block ×3, first 2 shown]
	s_add_i32 s7, s14, s7
	s_lshl_b32 s1, s1, 2
	s_add_i32 s7, s7, s6
	s_add_i32 s1, s8, s1
	s_lshl_b32 s6, s12, 2
	s_add_i32 s1, s1, s6
	v_or_b32_e32 v0, s7, v0
	s_add_i32 s1, s1, s4
	s_add_i32 s11, s11, -1
	v_add_u32_e32 v0, 0xfffffc00, v0
	s_add_i32 s4, s1, -8
	s_waitcnt lgkmcnt(0)
	v_mov_b32_e32 v7, s5
	v_mov_b32_e32 v6, s0
	;; [unrolled: 1-line block ×3, first 2 shown]
	s_mov_b32 s6, 0x3fb8aa3b
	s_mov_b32 s7, 0xc2ce8ed0
	;; [unrolled: 1-line block ×3, first 2 shown]
	v_mov_b32_e32 v5, 0x7f800000
	s_mov_b32 s12, 0xc1a00000
.LBB47_3:                               ; =>This Inner Loop Header: Depth=1
	v_ashrrev_i32_e32 v1, 31, v0
	v_lshlrev_b64 v[10:11], 2, v[0:1]
	v_add_co_u32_e32 v10, vcc, s10, v10
	v_addc_co_u32_e32 v11, vcc, v4, v11, vcc
	global_load_dword v1, v[10:11], off
	s_ashr_i32 s5, s4, 31
	s_lshl_b64 s[0:1], s[4:5], 3
	s_add_u32 s0, s2, s0
	s_addc_u32 s1, s3, s1
	s_load_dwordx2 s[14:15], s[0:1], 0x0
	s_waitcnt vmcnt(1)
	v_mov_b32_e32 v9, v8
	v_max_f32_e32 v8, v6, v6
	v_mov_b32_e32 v10, v7
	s_add_i32 s11, s11, -1
	s_waitcnt lgkmcnt(0)
	v_max_f32_e64 v7, s14, s14
	v_max_f32_e32 v7, v8, v7
	v_sub_f32_e32 v11, s14, v7
	v_sub_f32_e32 v8, v6, v7
	v_mul_f32_e32 v12, 0x3fb8aa3b, v11
	v_mov_b32_e32 v6, v7
	v_mul_f32_e32 v7, 0x3fb8aa3b, v8
	v_fma_f32 v15, v11, s6, -v12
	v_rndne_f32_e32 v16, v12
	v_fma_f32 v13, v8, s6, -v7
	v_rndne_f32_e32 v14, v7
	v_fmac_f32_e32 v15, 0x32a5705f, v11
	v_sub_f32_e32 v12, v12, v16
	v_fmac_f32_e32 v13, 0x32a5705f, v8
	v_sub_f32_e32 v7, v7, v14
	v_add_f32_e32 v12, v12, v15
	v_cvt_i32_f32_e32 v16, v16
	v_add_f32_e32 v7, v7, v13
	v_exp_f32_e32 v12, v12
	v_cvt_i32_f32_e32 v14, v14
	v_exp_f32_e32 v7, v7
	v_cmp_ngt_f32_e32 vcc, s7, v11
	v_ldexp_f32 v12, v12, v16
	v_cmp_ngt_f32_e64 s[0:1], s7, v8
	v_ldexp_f32 v7, v7, v14
	v_cndmask_b32_e32 v12, 0, v12, vcc
	v_cmp_nlt_f32_e32 vcc, s8, v11
	v_cndmask_b32_e64 v7, 0, v7, s[0:1]
	v_cmp_nlt_f32_e64 s[0:1], s8, v8
	v_cndmask_b32_e32 v12, v5, v12, vcc
	v_cmp_le_f32_e32 vcc, s12, v11
	v_cndmask_b32_e64 v7, v5, v7, s[0:1]
	v_cmp_le_f32_e64 s[0:1], s12, v8
	v_cndmask_b32_e32 v8, 0, v12, vcc
	s_add_i32 s4, s4, -4
	v_cndmask_b32_e64 v11, 0, v7, s[0:1]
	v_mul_f32_e32 v7, s15, v8
	v_add_u32_e32 v0, 0xfffffe00, v0
	s_cmp_le_i32 s11, s9
	v_fmac_f32_e32 v7, v10, v11
	s_waitcnt vmcnt(0)
	v_mul_f32_e32 v8, v1, v8
	v_fmac_f32_e32 v8, v9, v11
	s_cbranch_scc0 .LBB47_3
	s_branch .LBB47_5
.LBB47_4:
	s_waitcnt lgkmcnt(0)
	v_mov_b32_e32 v7, s5
.LBB47_5:
	s_waitcnt vmcnt(0)
	v_div_scale_f32 v0, s[0:1], v7, v7, v8
	v_rcp_f32_e32 v1, v0
	v_div_scale_f32 v4, vcc, v8, v7, v8
	v_fma_f32 v5, -v0, v1, 1.0
	v_fmac_f32_e32 v1, v5, v1
	v_mul_f32_e32 v5, v4, v1
	v_fma_f32 v6, -v0, v5, v4
	v_fmac_f32_e32 v5, v6, v1
	v_fma_f32 v0, -v0, v5, v4
	v_div_fmas_f32 v0, v0, v1, v5
	v_div_fixup_f32 v0, v0, v7, v8
	global_store_dword v[2:3], v0, off
.LBB47_6:
	s_endpgm
	.section	.rodata,"a",@progbits
	.p2align	6, 0x0
	.amdhsa_kernel _ZL33flash_attn_stream_k_fixup_uniformILi128ELi2ELi2EEvPfPK15HIP_vector_typeIfLj2EEiiiiiiS1_IjLj3EES5_S5_
		.amdhsa_group_segment_fixed_size 0
		.amdhsa_private_segment_fixed_size 0
		.amdhsa_kernarg_size 76
		.amdhsa_user_sgpr_count 6
		.amdhsa_user_sgpr_private_segment_buffer 1
		.amdhsa_user_sgpr_dispatch_ptr 0
		.amdhsa_user_sgpr_queue_ptr 0
		.amdhsa_user_sgpr_kernarg_segment_ptr 1
		.amdhsa_user_sgpr_dispatch_id 0
		.amdhsa_user_sgpr_flat_scratch_init 0
		.amdhsa_user_sgpr_kernarg_preload_length 0
		.amdhsa_user_sgpr_kernarg_preload_offset 0
		.amdhsa_user_sgpr_private_segment_size 0
		.amdhsa_uses_dynamic_stack 0
		.amdhsa_system_sgpr_private_segment_wavefront_offset 0
		.amdhsa_system_sgpr_workgroup_id_x 1
		.amdhsa_system_sgpr_workgroup_id_y 1
		.amdhsa_system_sgpr_workgroup_id_z 1
		.amdhsa_system_sgpr_workgroup_info 0
		.amdhsa_system_vgpr_workitem_id 0
		.amdhsa_next_free_vgpr 17
		.amdhsa_next_free_sgpr 20
		.amdhsa_accum_offset 20
		.amdhsa_reserve_vcc 1
		.amdhsa_reserve_flat_scratch 0
		.amdhsa_float_round_mode_32 0
		.amdhsa_float_round_mode_16_64 0
		.amdhsa_float_denorm_mode_32 3
		.amdhsa_float_denorm_mode_16_64 3
		.amdhsa_dx10_clamp 1
		.amdhsa_ieee_mode 1
		.amdhsa_fp16_overflow 0
		.amdhsa_tg_split 0
		.amdhsa_exception_fp_ieee_invalid_op 0
		.amdhsa_exception_fp_denorm_src 0
		.amdhsa_exception_fp_ieee_div_zero 0
		.amdhsa_exception_fp_ieee_overflow 0
		.amdhsa_exception_fp_ieee_underflow 0
		.amdhsa_exception_fp_ieee_inexact 0
		.amdhsa_exception_int_div_zero 0
	.end_amdhsa_kernel
	.section	.text._ZL33flash_attn_stream_k_fixup_uniformILi128ELi2ELi2EEvPfPK15HIP_vector_typeIfLj2EEiiiiiiS1_IjLj3EES5_S5_,"axG",@progbits,_ZL33flash_attn_stream_k_fixup_uniformILi128ELi2ELi2EEvPfPK15HIP_vector_typeIfLj2EEiiiiiiS1_IjLj3EES5_S5_,comdat
.Lfunc_end47:
	.size	_ZL33flash_attn_stream_k_fixup_uniformILi128ELi2ELi2EEvPfPK15HIP_vector_typeIfLj2EEiiiiiiS1_IjLj3EES5_S5_, .Lfunc_end47-_ZL33flash_attn_stream_k_fixup_uniformILi128ELi2ELi2EEvPfPK15HIP_vector_typeIfLj2EEiiiiiiS1_IjLj3EES5_S5_
                                        ; -- End function
	.section	.AMDGPU.csdata,"",@progbits
; Kernel info:
; codeLenInByte = 856
; NumSgprs: 24
; NumVgprs: 17
; NumAgprs: 0
; TotalNumVgprs: 17
; ScratchSize: 0
; MemoryBound: 0
; FloatMode: 240
; IeeeMode: 1
; LDSByteSize: 0 bytes/workgroup (compile time only)
; SGPRBlocks: 2
; VGPRBlocks: 2
; NumSGPRsForWavesPerEU: 24
; NumVGPRsForWavesPerEU: 17
; AccumOffset: 20
; Occupancy: 8
; WaveLimiterHint : 0
; COMPUTE_PGM_RSRC2:SCRATCH_EN: 0
; COMPUTE_PGM_RSRC2:USER_SGPR: 6
; COMPUTE_PGM_RSRC2:TRAP_HANDLER: 0
; COMPUTE_PGM_RSRC2:TGID_X_EN: 1
; COMPUTE_PGM_RSRC2:TGID_Y_EN: 1
; COMPUTE_PGM_RSRC2:TGID_Z_EN: 1
; COMPUTE_PGM_RSRC2:TIDIG_COMP_CNT: 0
; COMPUTE_PGM_RSRC3_GFX90A:ACCUM_OFFSET: 4
; COMPUTE_PGM_RSRC3_GFX90A:TG_SPLIT: 0
	.section	.text._ZL33flash_attn_stream_k_fixup_generalILi128ELi2ELi2EEvPfPK15HIP_vector_typeIfLj2EEiiiiS1_IjLj3EES5_S5_S5_,"axG",@progbits,_ZL33flash_attn_stream_k_fixup_generalILi128ELi2ELi2EEvPfPK15HIP_vector_typeIfLj2EEiiiiS1_IjLj3EES5_S5_S5_,comdat
	.globl	_ZL33flash_attn_stream_k_fixup_generalILi128ELi2ELi2EEvPfPK15HIP_vector_typeIfLj2EEiiiiS1_IjLj3EES5_S5_S5_ ; -- Begin function _ZL33flash_attn_stream_k_fixup_generalILi128ELi2ELi2EEvPfPK15HIP_vector_typeIfLj2EEiiiiS1_IjLj3EES5_S5_S5_
	.p2align	8
	.type	_ZL33flash_attn_stream_k_fixup_generalILi128ELi2ELi2EEvPfPK15HIP_vector_typeIfLj2EEiiiiS1_IjLj3EES5_S5_S5_,@function
_ZL33flash_attn_stream_k_fixup_generalILi128ELi2ELi2EEvPfPK15HIP_vector_typeIfLj2EEiiiiS1_IjLj3EES5_S5_S5_: ; @_ZL33flash_attn_stream_k_fixup_generalILi128ELi2ELi2EEvPfPK15HIP_vector_typeIfLj2EEiiiiS1_IjLj3EES5_S5_S5_
; %bb.0:
	s_load_dwordx4 s[12:15], s[4:5], 0x10
	s_load_dword s9, s[4:5], 0x50
	s_mov_b32 s2, 0
	s_waitcnt lgkmcnt(0)
	s_mul_hi_i32 s3, s15, s6
	s_cmp_lg_u64 s[2:3], 0
	s_mul_i32 s2, s15, s6
	s_cbranch_scc0 .LBB48_21
; %bb.1:
	v_cvt_f32_u32_e32 v1, s9
	v_cvt_f32_ubyte0_e32 v2, 0
	s_sub_u32 s10, 0, s9
	s_subb_u32 s11, 0, 0
	v_madmk_f32 v1, v2, 0x4f800000, v1
	v_rcp_f32_e32 v1, v1
	v_mul_f32_e32 v1, 0x5f7ffffc, v1
	v_mul_f32_e32 v2, 0x2f800000, v1
	v_trunc_f32_e32 v2, v2
	v_madmk_f32 v1, v2, 0xcf800000, v1
	v_cvt_u32_f32_e32 v2, v2
	v_cvt_u32_f32_e32 v1, v1
	v_readfirstlane_b32 s16, v2
	v_readfirstlane_b32 s17, v1
	s_mul_i32 s18, s10, s16
	s_mul_hi_u32 s20, s10, s17
	s_mul_i32 s19, s11, s17
	s_add_i32 s18, s20, s18
	s_add_i32 s18, s18, s19
	s_mul_i32 s21, s10, s17
	s_mul_hi_u32 s19, s17, s18
	s_mul_i32 s20, s17, s18
	s_mul_hi_u32 s17, s17, s21
	s_add_u32 s17, s17, s20
	s_addc_u32 s19, 0, s19
	s_mul_hi_u32 s22, s16, s21
	s_mul_i32 s21, s16, s21
	s_add_u32 s17, s17, s21
	s_mul_hi_u32 s20, s16, s18
	s_addc_u32 s17, s19, s22
	s_addc_u32 s19, s20, 0
	s_mul_i32 s18, s16, s18
	s_add_u32 s17, s17, s18
	s_addc_u32 s18, 0, s19
	v_add_co_u32_e32 v1, vcc, s17, v1
	s_cmp_lg_u64 vcc, 0
	s_addc_u32 s16, s16, s18
	v_readfirstlane_b32 s18, v1
	s_mul_i32 s17, s10, s16
	s_mul_hi_u32 s19, s10, s18
	s_add_i32 s17, s19, s17
	s_mul_i32 s11, s11, s18
	s_add_i32 s17, s17, s11
	s_mul_i32 s10, s10, s18
	s_mul_hi_u32 s19, s16, s10
	s_mul_i32 s20, s16, s10
	s_mul_i32 s22, s18, s17
	s_mul_hi_u32 s10, s18, s10
	s_mul_hi_u32 s21, s18, s17
	s_add_u32 s10, s10, s22
	s_addc_u32 s18, 0, s21
	s_add_u32 s10, s10, s20
	s_mul_hi_u32 s11, s16, s17
	s_addc_u32 s10, s18, s19
	s_addc_u32 s11, s11, 0
	s_mul_i32 s17, s16, s17
	s_add_u32 s10, s10, s17
	s_addc_u32 s11, 0, s11
	v_add_co_u32_e32 v1, vcc, s10, v1
	s_cmp_lg_u64 vcc, 0
	s_addc_u32 s18, s16, s11
	s_ashr_i32 s10, s3, 31
	s_add_u32 s16, s2, s10
	s_mov_b32 s11, s10
	s_addc_u32 s17, s3, s10
	s_xor_b64 s[16:17], s[16:17], s[10:11]
	v_readfirstlane_b32 s20, v1
	s_mul_i32 s19, s16, s18
	s_mul_hi_u32 s21, s16, s20
	s_mul_hi_u32 s3, s16, s18
	s_add_u32 s19, s21, s19
	s_addc_u32 s3, 0, s3
	s_mul_hi_u32 s22, s17, s20
	s_mul_i32 s20, s17, s20
	s_add_u32 s19, s19, s20
	s_mul_hi_u32 s21, s17, s18
	s_addc_u32 s3, s3, s22
	s_addc_u32 s19, s21, 0
	s_mul_i32 s18, s17, s18
	s_add_u32 s3, s3, s18
	s_addc_u32 s18, 0, s19
	s_add_u32 s19, s3, 1
	s_addc_u32 s20, s18, 0
	s_add_u32 s21, s3, 2
	s_mul_i32 s23, s9, s18
	s_mul_hi_u32 s24, s9, s3
	s_addc_u32 s22, s18, 0
	s_add_i32 s24, s24, s23
	s_mul_i32 s23, s9, s3
	v_mov_b32_e32 v1, s23
	v_sub_co_u32_e32 v1, vcc, s16, v1
	s_cmp_lg_u64 vcc, 0
	s_subb_u32 s16, s17, s24
	v_subrev_co_u32_e32 v2, vcc, s9, v1
	s_cmp_lg_u64 vcc, 0
	s_subb_u32 s17, s16, 0
	v_readfirstlane_b32 s23, v2
	s_cmp_ge_u32 s23, s9
	s_cselect_b32 s23, -1, 0
	s_cmp_eq_u32 s17, 0
	s_cselect_b32 s17, s23, -1
	s_cmp_lg_u32 s17, 0
	s_cselect_b32 s17, s22, s20
	v_readfirstlane_b32 s20, v1
	s_cselect_b32 s19, s21, s19
	s_cmp_ge_u32 s20, s9
	s_cselect_b32 s20, -1, 0
	s_cmp_eq_u32 s16, 0
	s_cselect_b32 s16, s20, -1
	s_cmp_lg_u32 s16, 0
	s_cselect_b32 s17, s17, s18
	s_cselect_b32 s16, s19, s3
	s_xor_b64 s[16:17], s[16:17], s[10:11]
	s_sub_u32 s20, s16, s10
	s_load_dwordx4 s[16:19], s[4:5], 0x44
	s_cbranch_execnz .LBB48_3
.LBB48_2:
	v_cvt_f32_u32_e32 v1, s9
	s_sub_i32 s0, 0, s9
	v_rcp_iflag_f32_e32 v1, v1
	v_mul_f32_e32 v1, 0x4f7ffffe, v1
	v_cvt_u32_f32_e32 v1, v1
	v_readfirstlane_b32 s1, v1
	s_mul_i32 s0, s0, s1
	s_mul_hi_u32 s0, s1, s0
	s_add_i32 s1, s1, s0
	s_mul_hi_u32 s0, s2, s1
	s_mul_i32 s3, s0, s9
	s_sub_i32 s2, s2, s3
	s_add_i32 s1, s0, 1
	s_sub_i32 s3, s2, s9
	s_cmp_ge_u32 s2, s9
	s_cselect_b32 s0, s1, s0
	s_cselect_b32 s2, s3, s2
	s_add_i32 s1, s0, 1
	s_cmp_ge_u32 s2, s9
	s_cselect_b32 s20, s1, s0
.LBB48_3:
	s_add_i32 s0, s6, 1
	s_mul_hi_i32 s3, s15, s0
	s_mov_b32 s2, 0
	s_cmp_lg_u64 s[2:3], 0
	s_mul_i32 s2, s15, s0
	s_cbranch_scc0 .LBB48_22
; %bb.4:
	v_cvt_f32_u32_e32 v1, s9
	v_cvt_f32_ubyte0_e32 v2, 0
	s_sub_u32 s10, 0, s9
	s_subb_u32 s11, 0, 0
	v_madmk_f32 v1, v2, 0x4f800000, v1
	v_rcp_f32_e32 v1, v1
	v_mul_f32_e32 v1, 0x5f7ffffc, v1
	v_mul_f32_e32 v2, 0x2f800000, v1
	v_trunc_f32_e32 v2, v2
	v_madmk_f32 v1, v2, 0xcf800000, v1
	v_cvt_u32_f32_e32 v2, v2
	v_cvt_u32_f32_e32 v1, v1
	s_waitcnt lgkmcnt(0)
	v_readfirstlane_b32 s19, v2
	v_readfirstlane_b32 s21, v1
	s_mul_i32 s22, s10, s19
	s_mul_hi_u32 s24, s10, s21
	s_mul_i32 s23, s11, s21
	s_add_i32 s22, s24, s22
	s_add_i32 s22, s22, s23
	s_mul_i32 s25, s10, s21
	s_mul_hi_u32 s23, s21, s22
	s_mul_i32 s24, s21, s22
	s_mul_hi_u32 s21, s21, s25
	s_add_u32 s21, s21, s24
	s_addc_u32 s23, 0, s23
	s_mul_hi_u32 s26, s19, s25
	s_mul_i32 s25, s19, s25
	s_add_u32 s21, s21, s25
	s_mul_hi_u32 s24, s19, s22
	s_addc_u32 s21, s23, s26
	s_addc_u32 s23, s24, 0
	s_mul_i32 s22, s19, s22
	s_add_u32 s21, s21, s22
	s_addc_u32 s22, 0, s23
	v_add_co_u32_e32 v1, vcc, s21, v1
	s_cmp_lg_u64 vcc, 0
	s_addc_u32 s19, s19, s22
	v_readfirstlane_b32 s22, v1
	s_mul_i32 s21, s10, s19
	s_mul_hi_u32 s23, s10, s22
	s_add_i32 s21, s23, s21
	s_mul_i32 s11, s11, s22
	s_add_i32 s21, s21, s11
	s_mul_i32 s10, s10, s22
	s_mul_hi_u32 s23, s19, s10
	s_mul_i32 s24, s19, s10
	s_mul_i32 s26, s22, s21
	s_mul_hi_u32 s10, s22, s10
	s_mul_hi_u32 s25, s22, s21
	s_add_u32 s10, s10, s26
	s_addc_u32 s22, 0, s25
	s_add_u32 s10, s10, s24
	s_mul_hi_u32 s11, s19, s21
	s_addc_u32 s10, s22, s23
	s_addc_u32 s11, s11, 0
	s_mul_i32 s21, s19, s21
	s_add_u32 s10, s10, s21
	s_addc_u32 s11, 0, s11
	v_add_co_u32_e32 v1, vcc, s10, v1
	s_cmp_lg_u64 vcc, 0
	s_addc_u32 s19, s19, s11
	s_ashr_i32 s10, s3, 31
	s_add_u32 s22, s2, s10
	s_mov_b32 s11, s10
	s_addc_u32 s23, s3, s10
	s_xor_b64 s[22:23], s[22:23], s[10:11]
	v_readfirstlane_b32 s21, v1
	s_mul_i32 s11, s22, s19
	s_mul_hi_u32 s24, s22, s21
	s_mul_hi_u32 s3, s22, s19
	s_add_u32 s11, s24, s11
	s_addc_u32 s3, 0, s3
	s_mul_hi_u32 s25, s23, s21
	s_mul_i32 s21, s23, s21
	s_add_u32 s11, s11, s21
	s_mul_hi_u32 s24, s23, s19
	s_addc_u32 s3, s3, s25
	s_addc_u32 s11, s24, 0
	s_mul_i32 s19, s23, s19
	s_add_u32 s3, s3, s19
	s_addc_u32 s11, 0, s11
	s_mul_i32 s11, s9, s11
	s_mul_hi_u32 s24, s9, s3
	s_add_i32 s24, s24, s11
	s_mul_i32 s11, s9, s3
	v_mov_b32_e32 v1, s11
	s_add_u32 s19, s3, 1
	s_add_u32 s21, s3, 2
	v_sub_co_u32_e32 v1, vcc, s22, v1
	s_cmp_lg_u64 vcc, 0
	s_subb_u32 s11, s23, s24
	v_subrev_co_u32_e32 v2, vcc, s9, v1
	s_cmp_lg_u64 vcc, 0
	s_subb_u32 s22, s11, 0
	v_cmp_le_u32_e32 vcc, s9, v2
	s_cmp_eq_u32 s22, 0
	v_cndmask_b32_e64 v2, 0, -1, vcc
	s_cselect_b64 vcc, -1, 0
	v_cndmask_b32_e32 v2, -1, v2, vcc
	v_mov_b32_e32 v3, s19
	v_mov_b32_e32 v4, s21
	v_cmp_ne_u32_e32 vcc, 0, v2
	v_cndmask_b32_e32 v2, v3, v4, vcc
	v_cmp_le_u32_e32 vcc, s9, v1
	s_cmp_eq_u32 s11, 0
	v_cndmask_b32_e64 v1, 0, -1, vcc
	s_cselect_b64 vcc, -1, 0
	v_cndmask_b32_e32 v1, -1, v1, vcc
	v_mov_b32_e32 v3, s3
	v_cmp_ne_u32_e32 vcc, 0, v1
	v_cndmask_b32_e32 v1, v3, v2, vcc
	v_xor_b32_e32 v1, s10, v1
	v_subrev_co_u32_e32 v2, vcc, s10, v1
	s_cbranch_execnz .LBB48_6
.LBB48_5:
	v_cvt_f32_u32_e32 v1, s9
	s_sub_i32 s0, 0, s9
	s_mov_b32 s1, 0
	v_rcp_iflag_f32_e32 v1, v1
	v_mul_f32_e32 v1, 0x4f7ffffe, v1
	v_cvt_u32_f32_e32 v1, v1
	v_readfirstlane_b32 s3, v1
	s_mul_i32 s0, s0, s3
	s_mul_hi_u32 s0, s3, s0
	s_add_i32 s3, s3, s0
	s_mul_hi_u32 s0, s2, s3
	s_mul_i32 s10, s0, s9
	s_sub_i32 s2, s2, s10
	s_add_i32 s3, s0, 1
	s_sub_i32 s10, s2, s9
	s_cmp_ge_u32 s2, s9
	s_cselect_b32 s0, s3, s0
	s_cselect_b32 s2, s10, s2
	s_add_i32 s3, s0, 1
	s_cmp_ge_u32 s2, s9
	s_cselect_b32 s0, s3, s0
	v_pk_mov_b32 v[2:3], s[0:1], s[0:1] op_sel:[0,1]
.LBB48_6:
	s_waitcnt lgkmcnt(0)
	s_mul_hi_u32 s0, s20, s16
	s_add_i32 s0, s0, s20
	v_mul_hi_u32 v1, v2, s16
	s_lshr_b32 s19, s0, s17
	v_add_u32_e32 v1, v1, v2
	s_mul_i32 s0, s19, s18
	v_lshrrev_b32_e32 v1, s17, v1
	s_cmp_eq_u32 s0, s20
	v_cmp_eq_u32_e64 s[0:1], s19, v1
	v_mul_lo_u32 v1, v1, s18
	v_cmp_eq_u32_e32 vcc, s20, v2
	s_cselect_b64 s[10:11], -1, 0
	v_cmp_ne_u32_e64 s[2:3], v1, v2
	s_and_b64 s[0:1], s[0:1], s[2:3]
	s_or_b64 s[2:3], vcc, s[10:11]
	s_or_b64 s[0:1], s[2:3], s[0:1]
	s_and_b64 vcc, exec, s[0:1]
	s_cbranch_vccnz .LBB48_24
; %bb.7:
	s_load_dwordx8 s[24:31], s[4:5], 0x20
	s_load_dword s0, s[4:5], 0x40
	s_mov_b32 s10, 0
	s_waitcnt lgkmcnt(0)
	s_mul_hi_u32 s1, s20, s24
	s_add_i32 s1, s1, s20
	s_lshr_b32 s11, s1, s25
	s_mul_i32 s1, s11, s26
	s_sub_i32 s1, s20, s1
	s_mul_hi_u32 s2, s1, s27
	s_add_i32 s2, s1, s2
	s_lshr_b32 s24, s2, s28
	s_mul_i32 s2, s24, s29
	s_sub_i32 s1, s1, s2
	;; [unrolled: 5-line block ×3, first 2 shown]
	s_mul_hi_u32 s1, s0, s16
	s_add_i32 s0, s0, s1
	s_lshr_b32 s26, s0, s17
	s_lshl_b32 s0, s26, 1
	s_lshl_b32 s25, s2, 1
	s_add_i32 s0, s0, s7
	s_cmp_lt_i32 s0, s12
	s_cselect_b64 s[0:1], -1, 0
	s_add_i32 s2, s25, s8
	s_cmp_lt_i32 s2, s14
	s_cselect_b64 s[2:3], -1, 0
	s_and_b64 s[0:1], s[0:1], s[2:3]
	s_andn2_b64 vcc, exec, s[0:1]
	s_cbranch_vccnz .LBB48_24
; %bb.8:
	s_load_dwordx4 s[0:3], s[4:5], 0x0
	s_lshl_b32 s21, s7, 1
	s_lshl_b32 s4, s9, 4
	s_mov_b32 s5, s10
	s_add_i32 s21, s21, s8
	s_lshl_b64 s[4:5], s[4:5], 2
	s_waitcnt lgkmcnt(0)
	s_add_u32 s22, s2, s4
	s_mul_i32 s4, s11, s12
	s_addc_u32 s23, s3, s5
	s_add_i32 s4, s4, s7
	s_mul_i32 s4, s4, s13
	s_mul_i32 s24, s24, s14
	s_add_i32 s4, s4, s8
	s_add_i32 s4, s4, s24
	s_mul_i32 s5, s13, s26
	s_add_i32 s4, s4, s25
	s_lshl_b32 s5, s5, 8
	s_lshl_b32 s4, s4, 7
	s_add_i32 s5, s5, s4
	v_or_b32_e32 v2, s5, v0
	v_ashrrev_i32_e32 v3, 31, v2
	v_lshlrev_b64 v[2:3], 2, v[2:3]
	v_mov_b32_e32 v1, s1
	v_add_co_u32_e32 v2, vcc, s0, v2
	v_addc_co_u32_e32 v3, vcc, v1, v3, vcc
	global_load_dword v5, v[2:3], off
	v_lshl_or_b32 v4, s21, 7, v0
	v_cvt_f32_u32_e32 v0, s9
	v_cvt_f32_ubyte0_e32 v1, 0
	s_lshl_b32 s0, s6, 2
	s_add_i32 s0, s21, s0
	v_mac_f32_e32 v0, 0x4f800000, v1
	v_rcp_f32_e32 v0, v0
	v_cvt_f32_u32_e32 v1, s9
	s_ashr_i32 s1, s0, 31
	s_lshl_b64 s[0:1], s[0:1], 3
	v_mul_f32_e32 v0, 0x5f7ffffc, v0
	v_rcp_iflag_f32_e32 v1, v1
	s_add_u32 s0, s2, s0
	v_mul_f32_e32 v9, 0x2f800000, v0
	s_addc_u32 s1, s3, s1
	v_trunc_f32_e32 v10, v9
	s_load_dwordx2 s[0:1], s[0:1], 0x0
	v_mac_f32_e32 v0, 0xcf800000, v10
	v_cvt_u32_f32_e32 v9, v0
	v_mul_f32_e32 v0, 0x4f7ffffe, v1
	v_cvt_u32_f32_e32 v10, v10
	v_cvt_u32_f32_e32 v11, v0
	s_add_i32 s8, s6, -1
	s_waitcnt lgkmcnt(0)
	v_mov_b32_e32 v6, s1
	v_mov_b32_e32 v7, s0
	;; [unrolled: 1-line block ×3, first 2 shown]
	s_mov_b32 s6, 0x3fb8aa3b
	s_mov_b32 s7, 0xc2ce8ed0
	;; [unrolled: 1-line block ×4, first 2 shown]
	v_mov_b32_e32 v12, 0x7f800000
	s_mul_hi_i32 s11, s8, s15
	s_cmp_lg_u64 s[10:11], 0
	s_mul_i32 s4, s8, s15
	s_cbranch_scc0 .LBB48_15
.LBB48_9:
	s_sub_u32 s0, 0, s9
	v_readfirstlane_b32 s5, v9
	v_readfirstlane_b32 s24, v10
	s_subb_u32 s1, 0, 0
	s_mul_hi_u32 s20, s0, s5
	s_mul_i32 s25, s0, s24
	s_mul_i32 s14, s1, s5
	s_add_i32 s20, s20, s25
	s_add_i32 s20, s20, s14
	s_mul_i32 s26, s0, s5
	s_mul_hi_u32 s14, s5, s20
	s_mul_i32 s25, s5, s20
	s_mul_hi_u32 s5, s5, s26
	s_add_u32 s5, s5, s25
	s_addc_u32 s14, 0, s14
	s_mul_hi_u32 s27, s24, s26
	s_mul_i32 s26, s24, s26
	s_add_u32 s5, s5, s26
	s_mul_hi_u32 s25, s24, s20
	s_addc_u32 s5, s14, s27
	s_addc_u32 s14, s25, 0
	s_mul_i32 s20, s24, s20
	s_add_u32 s5, s5, s20
	s_addc_u32 s14, 0, s14
	v_add_co_u32_e32 v0, vcc, s5, v9
	s_cmp_lg_u64 vcc, 0
	s_addc_u32 s5, s24, s14
	v_readfirstlane_b32 s20, v0
	s_mul_i32 s14, s0, s5
	s_mul_hi_u32 s24, s0, s20
	s_add_i32 s14, s24, s14
	s_mul_i32 s1, s1, s20
	s_add_i32 s14, s14, s1
	s_mul_i32 s0, s0, s20
	s_mul_hi_u32 s24, s5, s0
	s_mul_i32 s25, s5, s0
	s_mul_i32 s27, s20, s14
	s_mul_hi_u32 s0, s20, s0
	s_mul_hi_u32 s26, s20, s14
	s_add_u32 s0, s0, s27
	s_addc_u32 s20, 0, s26
	s_add_u32 s0, s0, s25
	s_mul_hi_u32 s1, s5, s14
	s_addc_u32 s0, s20, s24
	s_addc_u32 s1, s1, 0
	s_mul_i32 s14, s5, s14
	s_add_u32 s0, s0, s14
	s_addc_u32 s1, 0, s1
	v_add_co_u32_e32 v0, vcc, s0, v0
	s_cmp_lg_u64 vcc, 0
	s_addc_u32 s5, s5, s1
	s_ashr_i32 s0, s11, 31
	s_add_u32 s24, s4, s0
	s_mov_b32 s1, s0
	s_addc_u32 s25, s11, s0
	s_xor_b64 s[24:25], s[24:25], s[0:1]
	v_readfirstlane_b32 s14, v0
	s_mul_i32 s11, s24, s5
	s_mul_hi_u32 s20, s24, s14
	s_mul_hi_u32 s1, s24, s5
	s_add_u32 s11, s20, s11
	s_addc_u32 s1, 0, s1
	s_mul_hi_u32 s26, s25, s14
	s_mul_i32 s14, s25, s14
	s_add_u32 s11, s11, s14
	s_mul_hi_u32 s20, s25, s5
	s_addc_u32 s1, s1, s26
	s_addc_u32 s11, s20, 0
	s_mul_i32 s5, s25, s5
	s_add_u32 s1, s1, s5
	s_addc_u32 s5, 0, s11
	s_mul_i32 s5, s9, s5
	s_mul_hi_u32 s20, s9, s1
	s_add_i32 s20, s20, s5
	s_mul_i32 s5, s9, s1
	v_mov_b32_e32 v0, s5
	s_add_u32 s11, s1, 1
	s_add_u32 s14, s1, 2
	v_sub_co_u32_e32 v0, vcc, s24, v0
	s_cmp_lg_u64 vcc, 0
	s_subb_u32 s5, s25, s20
	v_subrev_co_u32_e32 v1, vcc, s9, v0
	s_cmp_lg_u64 vcc, 0
	s_subb_u32 s20, s5, 0
	v_cmp_le_u32_e32 vcc, s9, v1
	s_cmp_eq_u32 s20, 0
	v_cndmask_b32_e64 v1, 0, -1, vcc
	s_cselect_b64 vcc, -1, 0
	v_cndmask_b32_e32 v1, -1, v1, vcc
	v_mov_b32_e32 v13, s11
	v_mov_b32_e32 v14, s14
	v_cmp_ne_u32_e32 vcc, 0, v1
	v_cndmask_b32_e32 v1, v13, v14, vcc
	v_cmp_le_u32_e32 vcc, s9, v0
	s_cmp_eq_u32 s5, 0
	v_cndmask_b32_e64 v0, 0, -1, vcc
	s_cselect_b64 vcc, -1, 0
	v_cndmask_b32_e32 v0, -1, v0, vcc
	v_mov_b32_e32 v13, s1
	v_cmp_ne_u32_e32 vcc, 0, v0
	v_cndmask_b32_e32 v0, v13, v1, vcc
	v_xor_b32_e32 v0, s0, v0
	v_subrev_co_u32_e32 v0, vcc, s0, v0
	s_cbranch_execnz .LBB48_11
.LBB48_10:
	s_sub_i32 s0, 0, s9
	v_mul_lo_u32 v0, s0, v11
	v_mul_hi_u32 v0, v11, v0
	v_add_u32_e32 v0, v11, v0
	v_mul_hi_u32 v0, s4, v0
	v_mul_lo_u32 v13, v0, s9
	v_sub_u32_e32 v13, s4, v13
	v_add_u32_e32 v1, 1, v0
	v_subrev_u32_e32 v14, s9, v13
	v_cmp_le_u32_e32 vcc, s9, v13
	v_cndmask_b32_e32 v13, v13, v14, vcc
	v_cndmask_b32_e32 v0, v0, v1, vcc
	v_add_u32_e32 v1, 1, v0
	v_cmp_le_u32_e32 vcc, s9, v13
	v_cndmask_b32_e32 v0, v0, v1, vcc
.LBB48_11:
	v_cmp_ne_u32_e32 vcc, v8, v0
	s_cbranch_vccz .LBB48_14
; %bb.12:
	s_add_i32 s0, s8, s9
	s_lshl_b32 s0, s0, 2
	v_mul_hi_u32 v1, v0, s16
	s_add_i32 s0, s0, s21
	s_mov_b32 s1, s10
	v_add_u32_e32 v1, v1, v0
	s_lshl_b64 s[0:1], s[0:1], 3
	v_lshrrev_b32_e32 v1, s17, v1
	s_add_u32 s4, s2, s0
	v_mul_lo_u32 v13, v1, s18
	s_addc_u32 s5, s3, s1
	v_cmp_eq_u32_e32 vcc, v13, v0
	v_cmp_gt_u32_e64 s[0:1], s19, v1
	s_or_b64 s[0:1], s[0:1], vcc
	s_and_b64 vcc, exec, s[0:1]
	s_cbranch_vccnz .LBB48_16
; %bb.13:
	s_add_i32 s11, s8, -1
	s_mov_b64 s[0:1], 0
	s_branch .LBB48_17
.LBB48_14:
                                        ; implicit-def: $sgpr0_sgpr1
                                        ; implicit-def: $vgpr14
                                        ; implicit-def: $vgpr1
                                        ; implicit-def: $vgpr13
                                        ; implicit-def: $sgpr11
                                        ; implicit-def: $vgpr0
	s_branch .LBB48_18
.LBB48_15:
                                        ; implicit-def: $vgpr0_vgpr1
	s_branch .LBB48_10
.LBB48_16:
	s_mov_b64 s[0:1], -1
	s_mov_b32 s11, s8
	v_mov_b32_e32 v0, v8
.LBB48_17:
	v_lshl_add_u32 v14, s8, 9, v4
	v_ashrrev_i32_e32 v15, 31, v14
	v_lshlrev_b64 v[14:15], 2, v[14:15]
	v_mov_b32_e32 v1, s23
	v_add_co_u32_e32 v14, vcc, s22, v14
	v_addc_co_u32_e32 v15, vcc, v1, v15, vcc
	global_load_dword v14, v[14:15], off
	s_load_dwordx2 s[4:5], s[4:5], 0x0
	v_max_f32_e32 v1, v7, v7
	s_waitcnt lgkmcnt(0)
	v_max_f32_e64 v13, s4, s4
	v_max_f32_e32 v1, v1, v13
	v_sub_f32_e32 v13, v7, v1
	v_sub_f32_e32 v15, s4, v1
	v_mul_f32_e32 v16, 0x3fb8aa3b, v13
	v_mul_f32_e32 v17, 0x3fb8aa3b, v15
	v_fma_f32 v18, v13, s6, -v16
	v_rndne_f32_e32 v19, v16
	v_fma_f32 v20, v15, s6, -v17
	v_rndne_f32_e32 v21, v17
	v_fmac_f32_e32 v18, 0x32a5705f, v13
	v_sub_f32_e32 v16, v16, v19
	v_fmac_f32_e32 v20, 0x32a5705f, v15
	v_sub_f32_e32 v17, v17, v21
	v_add_f32_e32 v16, v16, v18
	v_cvt_i32_f32_e32 v19, v19
	v_add_f32_e32 v17, v17, v20
	v_exp_f32_e32 v16, v16
	v_cvt_i32_f32_e32 v21, v21
	v_exp_f32_e32 v17, v17
	v_cmp_ngt_f32_e32 vcc, s7, v13
	v_ldexp_f32 v16, v16, v19
	v_cndmask_b32_e32 v16, 0, v16, vcc
	v_ldexp_f32 v17, v17, v21
	v_cmp_ngt_f32_e32 vcc, s7, v15
	v_cndmask_b32_e32 v17, 0, v17, vcc
	v_cmp_nlt_f32_e32 vcc, s12, v13
	v_cndmask_b32_e32 v16, v12, v16, vcc
	v_cmp_nlt_f32_e32 vcc, s12, v15
	v_cndmask_b32_e32 v17, v12, v17, vcc
	v_cmp_le_f32_e32 vcc, s13, v13
	v_cndmask_b32_e32 v16, 0, v16, vcc
	v_cmp_le_f32_e32 vcc, s13, v15
	v_cndmask_b32_e32 v15, 0, v17, vcc
	v_mul_f32_e32 v13, s5, v15
	v_fmac_f32_e32 v13, v6, v16
	s_waitcnt vmcnt(0)
	v_mul_f32_e32 v14, v14, v15
	v_fmac_f32_e32 v14, v5, v16
	s_cbranch_execnz .LBB48_19
.LBB48_18:
	s_add_i32 s11, s8, -1
	s_mov_b64 s[0:1], 0
	v_mov_b32_e32 v0, v8
	v_mov_b32_e32 v13, v6
	;; [unrolled: 1-line block ×3, first 2 shown]
	s_waitcnt vmcnt(0)
	v_mov_b32_e32 v14, v5
.LBB48_19:
	s_andn2_b64 vcc, exec, s[0:1]
	s_cbranch_vccz .LBB48_23
; %bb.20:
	v_mov_b32_e32 v8, v0
	s_mov_b32 s8, s11
	v_mov_b32_e32 v6, v13
	v_mov_b32_e32 v7, v1
	s_waitcnt vmcnt(0)
	v_mov_b32_e32 v5, v14
	s_mul_hi_i32 s11, s8, s15
	s_cmp_lg_u64 s[10:11], 0
	s_mul_i32 s4, s8, s15
	s_cbranch_scc1 .LBB48_9
	s_branch .LBB48_15
.LBB48_21:
                                        ; implicit-def: $sgpr20_sgpr21
	s_load_dwordx4 s[16:19], s[4:5], 0x44
	s_branch .LBB48_2
.LBB48_22:
                                        ; implicit-def: $vgpr2_vgpr3
	s_branch .LBB48_5
.LBB48_23:
	v_div_scale_f32 v0, s[0:1], v13, v13, v14
	v_rcp_f32_e32 v1, v0
	v_div_scale_f32 v4, vcc, v14, v13, v14
	s_waitcnt vmcnt(0)
	v_fma_f32 v5, -v0, v1, 1.0
	v_fmac_f32_e32 v1, v5, v1
	v_mul_f32_e32 v5, v4, v1
	v_fma_f32 v6, -v0, v5, v4
	v_fmac_f32_e32 v5, v6, v1
	v_fma_f32 v0, -v0, v5, v4
	v_div_fmas_f32 v0, v0, v1, v5
	v_div_fixup_f32 v0, v0, v13, v14
	global_store_dword v[2:3], v0, off
.LBB48_24:
	s_endpgm
	.section	.rodata,"a",@progbits
	.p2align	6, 0x0
	.amdhsa_kernel _ZL33flash_attn_stream_k_fixup_generalILi128ELi2ELi2EEvPfPK15HIP_vector_typeIfLj2EEiiiiS1_IjLj3EES5_S5_S5_
		.amdhsa_group_segment_fixed_size 0
		.amdhsa_private_segment_fixed_size 0
		.amdhsa_kernarg_size 336
		.amdhsa_user_sgpr_count 6
		.amdhsa_user_sgpr_private_segment_buffer 1
		.amdhsa_user_sgpr_dispatch_ptr 0
		.amdhsa_user_sgpr_queue_ptr 0
		.amdhsa_user_sgpr_kernarg_segment_ptr 1
		.amdhsa_user_sgpr_dispatch_id 0
		.amdhsa_user_sgpr_flat_scratch_init 0
		.amdhsa_user_sgpr_kernarg_preload_length 0
		.amdhsa_user_sgpr_kernarg_preload_offset 0
		.amdhsa_user_sgpr_private_segment_size 0
		.amdhsa_uses_dynamic_stack 0
		.amdhsa_system_sgpr_private_segment_wavefront_offset 0
		.amdhsa_system_sgpr_workgroup_id_x 1
		.amdhsa_system_sgpr_workgroup_id_y 1
		.amdhsa_system_sgpr_workgroup_id_z 1
		.amdhsa_system_sgpr_workgroup_info 0
		.amdhsa_system_vgpr_workitem_id 0
		.amdhsa_next_free_vgpr 22
		.amdhsa_next_free_sgpr 32
		.amdhsa_accum_offset 24
		.amdhsa_reserve_vcc 1
		.amdhsa_reserve_flat_scratch 0
		.amdhsa_float_round_mode_32 0
		.amdhsa_float_round_mode_16_64 0
		.amdhsa_float_denorm_mode_32 3
		.amdhsa_float_denorm_mode_16_64 3
		.amdhsa_dx10_clamp 1
		.amdhsa_ieee_mode 1
		.amdhsa_fp16_overflow 0
		.amdhsa_tg_split 0
		.amdhsa_exception_fp_ieee_invalid_op 0
		.amdhsa_exception_fp_denorm_src 0
		.amdhsa_exception_fp_ieee_div_zero 0
		.amdhsa_exception_fp_ieee_overflow 0
		.amdhsa_exception_fp_ieee_underflow 0
		.amdhsa_exception_fp_ieee_inexact 0
		.amdhsa_exception_int_div_zero 0
	.end_amdhsa_kernel
	.section	.text._ZL33flash_attn_stream_k_fixup_generalILi128ELi2ELi2EEvPfPK15HIP_vector_typeIfLj2EEiiiiS1_IjLj3EES5_S5_S5_,"axG",@progbits,_ZL33flash_attn_stream_k_fixup_generalILi128ELi2ELi2EEvPfPK15HIP_vector_typeIfLj2EEiiiiS1_IjLj3EES5_S5_S5_,comdat
.Lfunc_end48:
	.size	_ZL33flash_attn_stream_k_fixup_generalILi128ELi2ELi2EEvPfPK15HIP_vector_typeIfLj2EEiiiiS1_IjLj3EES5_S5_S5_, .Lfunc_end48-_ZL33flash_attn_stream_k_fixup_generalILi128ELi2ELi2EEvPfPK15HIP_vector_typeIfLj2EEiiiiS1_IjLj3EES5_S5_S5_
                                        ; -- End function
	.section	.AMDGPU.csdata,"",@progbits
; Kernel info:
; codeLenInByte = 2824
; NumSgprs: 36
; NumVgprs: 22
; NumAgprs: 0
; TotalNumVgprs: 22
; ScratchSize: 0
; MemoryBound: 0
; FloatMode: 240
; IeeeMode: 1
; LDSByteSize: 0 bytes/workgroup (compile time only)
; SGPRBlocks: 4
; VGPRBlocks: 2
; NumSGPRsForWavesPerEU: 36
; NumVGPRsForWavesPerEU: 22
; AccumOffset: 24
; Occupancy: 8
; WaveLimiterHint : 0
; COMPUTE_PGM_RSRC2:SCRATCH_EN: 0
; COMPUTE_PGM_RSRC2:USER_SGPR: 6
; COMPUTE_PGM_RSRC2:TRAP_HANDLER: 0
; COMPUTE_PGM_RSRC2:TGID_X_EN: 1
; COMPUTE_PGM_RSRC2:TGID_Y_EN: 1
; COMPUTE_PGM_RSRC2:TGID_Z_EN: 1
; COMPUTE_PGM_RSRC2:TIDIG_COMP_CNT: 0
; COMPUTE_PGM_RSRC3_GFX90A:ACCUM_OFFSET: 5
; COMPUTE_PGM_RSRC3_GFX90A:TG_SPLIT: 0
	.section	.text._ZL15flash_attn_tileILi128ELi128ELi1ELi2ELb0EEvPKcS1_S1_S1_S1_PKiPfP15HIP_vector_typeIfLj2EEffffjfiS5_IjLj3EEiiiiiiiiiiiliiliiiiil,"axG",@progbits,_ZL15flash_attn_tileILi128ELi128ELi1ELi2ELb0EEvPKcS1_S1_S1_S1_PKiPfP15HIP_vector_typeIfLj2EEffffjfiS5_IjLj3EEiiiiiiiiiiiliiliiiiil,comdat
	.globl	_ZL15flash_attn_tileILi128ELi128ELi1ELi2ELb0EEvPKcS1_S1_S1_S1_PKiPfP15HIP_vector_typeIfLj2EEffffjfiS5_IjLj3EEiiiiiiiiiiiliiliiiiil ; -- Begin function _ZL15flash_attn_tileILi128ELi128ELi1ELi2ELb0EEvPKcS1_S1_S1_S1_PKiPfP15HIP_vector_typeIfLj2EEffffjfiS5_IjLj3EEiiiiiiiiiiiliiliiiiil
	.p2align	8
	.type	_ZL15flash_attn_tileILi128ELi128ELi1ELi2ELb0EEvPKcS1_S1_S1_S1_PKiPfP15HIP_vector_typeIfLj2EEffffjfiS5_IjLj3EEiiiiiiiiiiiliiliiiiil,@function
_ZL15flash_attn_tileILi128ELi128ELi1ELi2ELb0EEvPKcS1_S1_S1_S1_PKiPfP15HIP_vector_typeIfLj2EEffffjfiS5_IjLj3EEiiiiiiiiiiiliiliiiiil: ; @_ZL15flash_attn_tileILi128ELi128ELi1ELi2ELb0EEvPKcS1_S1_S1_S1_PKiPfP15HIP_vector_typeIfLj2EEffffjfiS5_IjLj3EEiiiiiiiiiiiliiliiiiil
; %bb.0:
	s_load_dwordx4 s[24:27], s[4:5], 0x5c
	s_load_dwordx2 s[2:3], s[4:5], 0x80
	s_load_dwordx2 s[30:31], s[4:5], 0xb8
	s_mov_b64 s[28:29], 0
	s_waitcnt lgkmcnt(0)
	s_lshr_b32 s0, s27, 31
	s_add_i32 s0, s27, s0
	s_ashr_i32 s0, s0, 1
	v_cvt_f32_u32_e32 v1, s0
	s_sub_i32 s1, 0, s0
	v_rcp_iflag_f32_e32 v1, v1
	v_mul_f32_e32 v1, 0x4f7ffffe, v1
	v_cvt_u32_f32_e32 v1, v1
	v_readfirstlane_b32 s9, v1
	s_mul_i32 s1, s1, s9
	s_mul_hi_u32 s1, s9, s1
	s_add_i32 s9, s9, s1
	s_mul_hi_u32 s1, s8, s9
	s_mul_i32 s9, s1, s0
	s_sub_i32 s9, s8, s9
	s_add_i32 s10, s1, 1
	s_sub_i32 s11, s9, s0
	s_cmp_ge_u32 s9, s0
	s_cselect_b32 s1, s10, s1
	s_cselect_b32 s9, s11, s9
	s_add_i32 s10, s1, 1
	s_cmp_ge_u32 s9, s0
	s_cselect_b32 s33, s10, s1
	s_abs_i32 s1, s3
	v_cvt_f32_u32_e32 v1, s1
	s_sub_i32 s9, 0, s1
	s_lshl_b32 s0, s8, 1
	s_abs_i32 s8, s27
	v_rcp_iflag_f32_e32 v1, v1
	s_xor_b32 s3, s27, s3
	s_ashr_i32 s3, s3, 31
	v_mul_f32_e32 v1, 0x4f7ffffe, v1
	v_cvt_u32_f32_e32 v1, v1
	v_readfirstlane_b32 s10, v1
	s_mul_i32 s9, s9, s10
	s_mul_hi_u32 s9, s10, s9
	s_add_i32 s10, s10, s9
	s_mul_hi_u32 s9, s8, s10
	s_mul_i32 s10, s9, s1
	s_sub_i32 s8, s8, s10
	s_add_i32 s11, s9, 1
	s_sub_i32 s10, s8, s1
	s_cmp_ge_u32 s8, s1
	s_cselect_b32 s9, s11, s9
	s_cselect_b32 s8, s10, s8
	s_add_i32 s10, s9, 1
	s_cmp_ge_u32 s8, s1
	s_cselect_b32 s1, s10, s9
	s_xor_b32 s1, s1, s3
	s_sub_i32 s35, s1, s3
	s_abs_i32 s34, s35
	v_cvt_f32_u32_e32 v1, s34
	s_load_dwordx16 s[8:23], s[4:5], 0x0
	s_mul_i32 s1, s33, s27
	v_rcp_iflag_f32_e32 v1, v1
	s_waitcnt lgkmcnt(0)
	s_cmp_eq_u64 s[14:15], 0
	v_mul_f32_e32 v1, 0x4f7ffffe, v1
	v_cvt_u32_f32_e32 v1, v1
	v_readfirstlane_b32 s36, v1
	s_cbranch_scc1 .LBB49_2
; %bb.1:
	s_abs_i32 s3, s30
	v_cvt_f32_u32_e32 v1, s3
	s_sub_i32 s38, 0, s3
	s_abs_i32 s37, s33
	s_ashr_i32 s30, s33, 31
	v_rcp_iflag_f32_e32 v1, v1
	s_load_dwordx2 s[28:29], s[4:5], 0xc8
	v_mul_f32_e32 v1, 0x4f7ffffe, v1
	v_cvt_u32_f32_e32 v1, v1
	v_readfirstlane_b32 s39, v1
	s_mul_i32 s38, s38, s39
	s_mul_hi_u32 s38, s39, s38
	s_add_i32 s39, s39, s38
	s_mul_hi_u32 s38, s37, s39
	s_mul_i32 s38, s38, s3
	s_sub_i32 s37, s37, s38
	s_sub_i32 s38, s37, s3
	s_cmp_ge_u32 s37, s3
	s_cselect_b32 s37, s38, s37
	s_sub_i32 s38, s37, s3
	s_cmp_ge_u32 s37, s3
	s_cselect_b32 s3, s38, s37
	s_xor_b32 s3, s3, s30
	s_sub_i32 s3, s3, s30
	s_ashr_i32 s30, s3, 31
	s_waitcnt lgkmcnt(0)
	s_mul_i32 s29, s3, s29
	s_mul_hi_u32 s37, s3, s28
	s_add_i32 s29, s37, s29
	s_mul_i32 s30, s30, s28
	s_add_i32 s29, s29, s30
	s_mul_i32 s3, s3, s28
	s_add_u32 s28, s14, s3
	s_addc_u32 s29, s15, s29
.LBB49_2:
	v_bfe_u32 v26, v0, 10, 10
	v_lshlrev_b32_e32 v1, 7, v26
	v_and_b32_e32 v22, 0x3ff, v0
	v_lshrrev_b32_e32 v23, 3, v26
	v_and_b32_e32 v1, 0x180, v1
	v_lshlrev_b32_e32 v24, 2, v22
	s_sub_i32 s14, s0, s1
	v_add_u32_e32 v0, v1, v24
	s_movk_i32 s0, 0x80
	v_add_u32_e32 v2, s6, v23
	v_bfe_u32 v25, v26, 2, 1
	v_cmp_gt_u32_e32 vcc, s0, v0
	v_mul_hi_u32 v4, s24, v2
	s_and_saveexec_b64 s[0:1], vcc
	s_cbranch_execz .LBB49_4
; %bb.3:
	s_load_dwordx4 s[40:43], s[4:5], 0x70
	s_waitcnt lgkmcnt(0)
	s_mul_i32 s3, s33, s42
	s_ashr_i32 s24, s3, 31
	s_mul_i32 s15, s14, s41
	s_add_u32 s3, s8, s3
	s_addc_u32 s8, s9, s24
	s_ashr_i32 s9, s15, 31
	s_add_u32 s3, s3, s15
	v_mov_b32_e32 v0, s41
	s_addc_u32 s15, s8, s9
	s_ashr_i32 s8, s41, 31
	v_alignbit_b32 v0, s8, v0, 2
	v_mul_lo_u32 v6, v0, v25
	v_add_u32_e32 v0, v2, v4
	v_lshrrev_b32_e32 v0, s25, v0
	v_mul_lo_u32 v0, v0, s26
	v_sub_u32_e32 v3, v2, v0
	s_ashr_i32 s24, s40, 31
	v_mov_b32_e32 v0, s40
	s_lshr_b32 s8, s8, 2
	v_alignbit_b32 v0, s24, v0, 2
	v_mul_lo_u32 v7, s8, v25
	v_mad_u64_u32 v[8:9], s[8:9], v0, v3, 0
	v_mov_b32_e32 v0, v9
	s_lshr_b32 s8, s24, 2
	v_mad_u64_u32 v[10:11], s[8:9], s8, v3, v[0:1]
	v_lshlrev_b64 v[6:7], 2, v[6:7]
	v_mov_b32_e32 v9, v10
	v_mov_b32_e32 v0, s15
	v_add_co_u32_e32 v3, vcc, s3, v6
	v_addc_co_u32_e32 v0, vcc, v0, v7, vcc
	v_lshlrev_b64 v[6:7], 2, v[8:9]
	v_add_co_u32_e32 v3, vcc, v3, v6
	v_addc_co_u32_e32 v0, vcc, v0, v7, vcc
	v_lshlrev_b32_e32 v1, 2, v1
	v_add_co_u32_e32 v1, vcc, v3, v1
	v_addc_co_u32_e32 v3, vcc, 0, v0, vcc
	v_lshlrev_b32_e32 v0, 2, v24
	v_add_co_u32_e32 v0, vcc, v1, v0
	v_addc_co_u32_e32 v1, vcc, 0, v3, vcc
	global_load_dwordx4 v[6:9], v[0:1], off
	s_load_dword s8, s[4:5], 0x40
	v_lshrrev_b32_e32 v0, 2, v26
	v_mul_i32_i24_e32 v5, -3, v0
	v_lshlrev_b32_e32 v3, 1, v22
	v_add_lshl_u32 v5, v5, v26, 6
	v_add_lshl_u32 v3, v5, v3, 2
	s_waitcnt vmcnt(0) lgkmcnt(0)
	v_pk_mul_f32 v[0:1], v[6:7], s[8:9] op_sel_hi:[1,0]
	v_pk_mul_f32 v[6:7], v[8:9], s[8:9] op_sel_hi:[1,0]
	v_cvt_f16_f32_e32 v8, v1
	v_cvt_f16_f32_e32 v1, v7
	;; [unrolled: 1-line block ×4, first 2 shown]
	v_pack_b32_f16 v1, v6, v1
	v_pack_b32_f16 v0, v0, v8
	ds_write_b64 v3, v[0:1] offset:18944
.LBB49_4:
	s_or_b64 exec, exec, s[0:1]
	s_cmp_eq_u64 s[18:19], 0
	s_waitcnt lgkmcnt(0)
	s_barrier
	s_cbranch_scc1 .LBB49_6
; %bb.5:
	s_load_dword s0, s[4:5], 0xd0
	s_mov_b32 s1, 0
	s_waitcnt lgkmcnt(0)
	s_mul_i32 s0, s0, s33
	s_add_i32 s0, s0, s6
	s_lshl_b64 s[0:1], s[0:1], 2
	s_add_u32 s0, s18, s0
	s_addc_u32 s1, s19, s1
	s_load_dword s2, s[0:1], 0x0
.LBB49_6:
	s_lshl_b32 s3, s7, 7
	s_waitcnt lgkmcnt(0)
	s_cmp_lt_i32 s3, s2
	v_mbcnt_lo_u32_b32 v12, -1, 0
	v_and_b32_e32 v21, 3, v26
	s_cbranch_scc1 .LBB49_8
; %bb.7:
	v_mbcnt_hi_u32_b32 v3, -1, v12
	v_and_b32_e32 v0, 0x60, v3
	s_mov_b32 s8, 0
	v_add_u32_e32 v29, 32, v0
	v_xor_b32_e32 v36, 16, v3
	v_xor_b32_e32 v34, 8, v3
	;; [unrolled: 1-line block ×5, first 2 shown]
	v_and_b32_e32 v5, 3, v26
	s_mov_b64 s[0:1], 0
	s_mov_b32 s9, 0xfeffffff
	s_branch .LBB49_9
.LBB49_8:
	s_mov_b64 s[0:1], -1
                                        ; implicit-def: $sgpr9
                                        ; implicit-def: $sgpr8
                                        ; implicit-def: $vgpr3
                                        ; implicit-def: $vgpr29
                                        ; implicit-def: $vgpr36
                                        ; implicit-def: $vgpr34
                                        ; implicit-def: $vgpr33
                                        ; implicit-def: $vgpr31
                                        ; implicit-def: $vgpr30
                                        ; implicit-def: $vgpr5
.LBB49_9:
	s_andn2_b64 vcc, exec, s[0:1]
	v_mov_b32_e32 v20, s9
	v_mov_b32_e32 v50, s8
	;; [unrolled: 1-line block ×3, first 2 shown]
	v_lshlrev_b32_e32 v27, 2, v26
	v_cmp_eq_u32_e64 s[0:1], 0, v22
	v_lshlrev_b32_e32 v28, 3, v22
	v_mov_b32_e32 v0, s8
	s_cbranch_vccnz .LBB49_16
; %bb.10:
	s_sub_i32 s8, 0, s34
	s_mul_i32 s8, s8, s36
	s_mul_hi_u32 s8, s36, s8
	s_add_i32 s15, s36, s8
	s_load_dwordx2 s[8:9], s[4:5], 0x8c
	s_load_dwordx4 s[36:39], s[4:5], 0x98
	s_abs_i32 s19, s14
	s_mul_hi_u32 s24, s19, s15
	s_ashr_i32 s30, s14, 31
	s_waitcnt lgkmcnt(0)
	s_ashr_i32 s18, s8, 2
	s_ashr_i32 s15, s38, 2
	;; [unrolled: 1-line block ×4, first 2 shown]
	s_mul_i32 s37, s33, s37
	s_mul_hi_u32 s38, s33, s36
	s_add_i32 s37, s38, s37
	s_mul_i32 s38, s31, s36
	s_ashr_i32 s35, s35, 31
	s_add_i32 s37, s37, s38
	s_mul_i32 s36, s33, s36
	s_add_u32 s10, s10, s36
	s_addc_u32 s11, s11, s37
	s_xor_b32 s30, s30, s35
	s_mul_i32 s35, s24, s34
	s_sub_i32 s19, s19, s35
	s_add_i32 s35, s24, 1
	s_sub_i32 s36, s19, s34
	s_cmp_ge_u32 s19, s34
	s_cselect_b32 s24, s35, s24
	s_cselect_b32 s19, s36, s19
	s_add_i32 s35, s24, 1
	s_cmp_ge_u32 s19, s34
	s_load_dwordx2 s[40:41], s[4:5], 0xa8
	s_cselect_b32 s19, s35, s24
	s_xor_b32 s19, s19, s30
	s_sub_i32 s30, s19, s30
	s_mul_i32 s9, s30, s9
	s_ashr_i32 s24, s9, 31
	s_add_u32 s19, s10, s9
	s_waitcnt lgkmcnt(0)
	s_mul_i32 s9, s33, s41
	s_mul_hi_u32 s10, s33, s40
	s_addc_u32 s24, s11, s24
	s_add_i32 s9, s10, s9
	s_mul_i32 s31, s31, s40
	s_add_i32 s9, s9, s31
	s_mul_i32 s10, s33, s40
	s_add_u32 s10, s12, s10
	s_mul_i32 s30, s30, s39
	s_addc_u32 s9, s13, s9
	s_ashr_i32 s11, s30, 31
	s_add_u32 s12, s10, s30
	v_lshrrev_b32_e32 v0, 3, v22
	v_and_b32_e32 v6, 28, v24
	s_addc_u32 s13, s9, s11
	v_add_u32_e32 v1, v0, v27
	v_lshlrev_b32_e32 v3, 2, v6
	s_movk_i32 s9, 0x90
	v_mad_u32_u24 v32, v1, s9, v3
	v_add_u32_e32 v3, v2, v4
	v_mul_lo_u32 v8, s18, v1
	s_lshl_b32 s9, s18, 5
	v_lshlrev_b32_e32 v1, 5, v26
	v_lshrrev_b32_e32 v3, s25, v3
	v_add_u32_e32 v10, s9, v8
	v_and_b32_e32 v1, 0x60, v1
	v_mul_lo_u32 v3, v3, s26
	v_add_u32_e32 v14, s9, v10
	v_add_u32_e32 v18, v1, v22
	v_sub_u32_e32 v2, v2, v3
	v_add_u32_e32 v16, s9, v14
	v_mad_u64_u32 v[2:3], s[8:9], v2, s8, v[18:19]
	v_and_b32_e32 v3, 3, v22
	s_movk_i32 s8, 0x3fc
	v_and_or_b32 v3, v26, s8, v3
	v_mov_b32_e32 v4, 0x4c00
	v_lshlrev_b32_e32 v1, 6, v26
	v_lshl_add_u32 v42, v3, 2, v4
	v_lshrrev_b32_e32 v3, 4, v22
	v_and_b32_e32 v1, 0xff00, v1
	v_lshl_add_u32 v3, v26, 1, v3
	v_add_u32_e32 v40, 0x4a00, v1
	v_add_u32_e32 v1, 0x4800, v1
	v_mul_lo_u32 v54, s15, v3
	s_lshl_b32 s8, s15, 4
	v_mul_u32_u24_e32 v39, 0x90, v18
	v_lshl_add_u32 v43, v18, 1, v1
	v_and_b32_e32 v18, 60, v24
	v_add_u32_e32 v56, s8, v54
	v_lshlrev_b32_e32 v4, 2, v18
	v_add_u32_e32 v58, s8, v56
	v_lshl_or_b32 v44, v3, 8, v4
	v_add_u32_e32 v60, s8, v58
	v_lshlrev_b32_e32 v48, 8, v21
	v_mbcnt_hi_u32_b32 v3, -1, v12
	v_mov_b32_e32 v0, 0
	v_ashrrev_i32_e32 v9, 31, v8
	v_ashrrev_i32_e32 v11, 31, v10
	;; [unrolled: 1-line block ×8, first 2 shown]
	v_lshl_or_b32 v49, v21, 1, v1
	v_or_b32_e32 v1, 0x400, v48
	v_or_b32_e32 v20, 0x800, v48
	v_or_b32_e32 v50, 0xc00, v48
	v_or_b32_e32 v62, 0x1000, v48
	v_or_b32_e32 v63, 0x1400, v48
	v_or_b32_e32 v64, 0x1800, v48
	v_or_b32_e32 v65, 0x1c00, v48
	v_or_b32_e32 v66, 0x2000, v48
	v_or_b32_e32 v67, 0x2400, v48
	v_or_b32_e32 v68, 0x2800, v48
	v_or_b32_e32 v69, 0x2c00, v48
	v_or_b32_e32 v71, 0x3000, v48
	v_or_b32_e32 v72, 0x3400, v48
	v_or_b32_e32 v73, 0x3800, v48
	v_or_b32_e32 v74, 0x3c00, v48
	s_add_u32 s8, s4, 0xd0
	v_and_b32_e32 v12, 0x60, v3
	v_add_u32_e32 v35, 0x1200, v32
	v_add_u32_e32 v37, 0x2400, v32
	;; [unrolled: 1-line block ×7, first 2 shown]
	s_addc_u32 s9, s5, 0
	v_mov_b32_e32 v70, 0xfeffffff
	v_lshlrev_b64 v[4:5], 2, v[8:9]
	v_lshlrev_b32_e32 v51, 2, v6
	v_lshlrev_b64 v[6:7], 2, v[10:11]
	v_lshlrev_b64 v[8:9], 2, v[14:15]
	;; [unrolled: 1-line block ×3, first 2 shown]
	v_mov_b32_e32 v52, s29
	v_add_u32_e32 v29, 32, v12
	v_xor_b32_e32 v36, 16, v3
	v_xor_b32_e32 v34, 8, v3
	;; [unrolled: 1-line block ×5, first 2 shown]
	s_mov_b32 s25, 0x3fb8aa3b
	s_mov_b32 s29, 0xc2ce8ed0
	;; [unrolled: 1-line block ×3, first 2 shown]
	v_lshlrev_b64 v[12:13], 2, v[54:55]
	v_lshlrev_b32_e32 v53, 2, v18
	v_lshlrev_b64 v[14:15], 2, v[56:57]
	v_lshlrev_b64 v[16:17], 2, v[58:59]
	;; [unrolled: 1-line block ×3, first 2 shown]
	v_add_u32_e32 v54, v28, v1
	v_add_u32_e32 v55, v28, v20
	;; [unrolled: 1-line block ×15, first 2 shown]
	v_mov_b32_e32 v69, 0x7f800000
	v_mov_b32_e32 v1, v0
	;; [unrolled: 1-line block ×3, first 2 shown]
.LBB49_11:                              ; =>This Inner Loop Header: Depth=1
	s_mul_hi_i32 s11, s3, s18
	s_mul_i32 s10, s3, s18
	s_lshl_b64 s[10:11], s[10:11], 2
	s_add_u32 s10, s19, s10
	s_addc_u32 s11, s24, s11
	v_mov_b32_e32 v20, s11
	v_add_co_u32_e32 v71, vcc, s10, v4
	v_addc_co_u32_e32 v20, vcc, v20, v5, vcc
	v_add_co_u32_e32 v88, vcc, v71, v51
	v_addc_co_u32_e32 v89, vcc, 0, v20, vcc
	v_mov_b32_e32 v20, s11
	v_add_co_u32_e32 v71, vcc, s10, v6
	v_addc_co_u32_e32 v20, vcc, v20, v7, vcc
	v_add_co_u32_e32 v90, vcc, v71, v51
	v_addc_co_u32_e32 v91, vcc, 0, v20, vcc
	;; [unrolled: 5-line block ×3, first 2 shown]
	v_mov_b32_e32 v20, s11
	v_add_co_u32_e32 v71, vcc, s10, v10
	v_addc_co_u32_e32 v20, vcc, v20, v11, vcc
	v_add_co_u32_e32 v94, vcc, v71, v51
	global_load_dwordx4 v[72:75], v[88:89], off
	global_load_dwordx4 v[76:79], v[90:91], off
	v_addc_co_u32_e32 v95, vcc, 0, v20, vcc
	global_load_dwordx4 v[80:83], v[92:93], off
	global_load_dwordx4 v[84:87], v[94:95], off
	v_mov_b32_e32 v20, 0
	s_waitcnt vmcnt(3)
	ds_write_b128 v32, v[72:75]
	s_waitcnt vmcnt(2)
	ds_write_b128 v35, v[76:79]
	;; [unrolled: 2-line block ×4, first 2 shown]
	s_waitcnt lgkmcnt(0)
	s_barrier
	ds_read_b128 v[72:75], v39
	ds_read_b128 v[76:79], v40
	s_waitcnt lgkmcnt(0)
	;;#ASMSTART
	v_dot2_f32_f16 v20, v72, v76, v20
	;;#ASMEND
	;;#ASMSTART
	v_dot2_f32_f16 v20, v73, v77, v20
	;;#ASMEND
	;;#ASMSTART
	v_dot2_f32_f16 v20, v74, v78, v20
	;;#ASMEND
	;;#ASMSTART
	v_dot2_f32_f16 v20, v75, v79, v20
	;;#ASMEND
	ds_read_b128 v[72:75], v39 offset:16
	ds_read_b128 v[76:79], v40 offset:16
	s_waitcnt lgkmcnt(0)
	;;#ASMSTART
	v_dot2_f32_f16 v20, v72, v76, v20
	;;#ASMEND
	;;#ASMSTART
	v_dot2_f32_f16 v20, v73, v77, v20
	;;#ASMEND
	;;#ASMSTART
	v_dot2_f32_f16 v20, v74, v78, v20
	;;#ASMEND
	;;#ASMSTART
	v_dot2_f32_f16 v20, v75, v79, v20
	;;#ASMEND
	ds_read_b128 v[72:75], v39 offset:32
	ds_read_b128 v[76:79], v40 offset:32
	;; [unrolled: 15-line block ×7, first 2 shown]
	s_waitcnt lgkmcnt(0)
	;;#ASMSTART
	v_dot2_f32_f16 v20, v72, v76, v20
	;;#ASMEND
	;;#ASMSTART
	v_dot2_f32_f16 v20, v73, v77, v20
	;;#ASMEND
	;; [unrolled: 3-line block ×4, first 2 shown]
	s_barrier
	global_load_dwordx4 v[72:75], v[88:89], off offset:128
	global_load_dwordx4 v[76:79], v[90:91], off offset:128
	;; [unrolled: 1-line block ×4, first 2 shown]
	s_waitcnt vmcnt(3)
	ds_write_b128 v32, v[72:75]
	s_waitcnt vmcnt(2)
	ds_write_b128 v35, v[76:79]
	;; [unrolled: 2-line block ×4, first 2 shown]
	s_waitcnt lgkmcnt(0)
	s_barrier
	ds_read_b128 v[72:75], v39
	ds_read_b128 v[76:79], v40 offset:128
	s_waitcnt lgkmcnt(0)
	;;#ASMSTART
	v_dot2_f32_f16 v20, v72, v76, v20
	;;#ASMEND
	;;#ASMSTART
	v_dot2_f32_f16 v20, v73, v77, v20
	;;#ASMEND
	;;#ASMSTART
	v_dot2_f32_f16 v20, v74, v78, v20
	;;#ASMEND
	;;#ASMSTART
	v_dot2_f32_f16 v20, v75, v79, v20
	;;#ASMEND
	ds_read_b128 v[72:75], v39 offset:16
	ds_read_b128 v[76:79], v40 offset:144
	s_waitcnt lgkmcnt(0)
	;;#ASMSTART
	v_dot2_f32_f16 v20, v72, v76, v20
	;;#ASMEND
	;;#ASMSTART
	v_dot2_f32_f16 v20, v73, v77, v20
	;;#ASMEND
	;;#ASMSTART
	v_dot2_f32_f16 v20, v74, v78, v20
	;;#ASMEND
	;;#ASMSTART
	v_dot2_f32_f16 v20, v75, v79, v20
	;;#ASMEND
	ds_read_b128 v[72:75], v39 offset:32
	;; [unrolled: 15-line block ×7, first 2 shown]
	ds_read_b128 v[76:79], v40 offset:240
	v_add_u32_e32 v80, s3, v2
	v_ashrrev_i32_e32 v81, 31, v80
	v_lshlrev_b64 v[80:81], 1, v[80:81]
	s_waitcnt lgkmcnt(0)
	;;#ASMSTART
	v_dot2_f32_f16 v20, v72, v76, v20
	;;#ASMEND
	v_add_co_u32_e32 v80, vcc, s28, v80
	;;#ASMSTART
	v_dot2_f32_f16 v20, v73, v77, v20
	;;#ASMEND
	v_addc_co_u32_e32 v81, vcc, v52, v81, vcc
	;;#ASMSTART
	v_dot2_f32_f16 v20, v74, v78, v20
	;;#ASMEND
	;;#ASMSTART
	v_dot2_f32_f16 v20, v75, v79, v20
	;;#ASMEND
	flat_load_ushort v71, v[80:81]
	v_cmp_lt_i32_e32 vcc, v36, v29
	v_max_f32_e32 v72, v70, v70
	v_cndmask_b32_e32 v73, v3, v36, vcc
	v_lshlrev_b32_e32 v73, 2, v73
	v_cmp_lt_i32_e32 vcc, v34, v29
	s_waitcnt vmcnt(0) lgkmcnt(0)
	v_cvt_f32_f16_e32 v71, v71
	v_add_f32_e32 v71, v20, v71
	v_add_f32_e32 v20, 0x40051340, v71
	v_max_f32_e32 v20, v72, v20
	ds_bpermute_b32 v72, v73, v20
	v_cndmask_b32_e32 v73, v3, v34, vcc
	v_lshlrev_b32_e32 v73, 2, v73
	v_cmp_lt_i32_e32 vcc, v33, v29
	s_waitcnt lgkmcnt(0)
	v_max_f32_e32 v72, v72, v72
	v_max_f32_e32 v20, v20, v72
	ds_bpermute_b32 v72, v73, v20
	v_cndmask_b32_e32 v73, v3, v33, vcc
	v_lshlrev_b32_e32 v73, 2, v73
	v_cmp_lt_i32_e32 vcc, v31, v29
	s_waitcnt lgkmcnt(0)
	v_max_f32_e32 v72, v72, v72
	;; [unrolled: 7-line block ×3, first 2 shown]
	v_max_f32_e32 v20, v20, v72
	ds_bpermute_b32 v72, v73, v20
	v_cndmask_b32_e32 v73, v3, v30, vcc
	s_waitcnt lgkmcnt(0)
	v_max_f32_e32 v72, v72, v72
	v_max_f32_e32 v20, v20, v72
	v_lshlrev_b32_e32 v72, 2, v73
	ds_bpermute_b32 v72, v72, v20
	s_and_saveexec_b64 s[10:11], s[0:1]
	s_cbranch_execz .LBB49_13
; %bb.12:                               ;   in Loop: Header=BB49_11 Depth=1
	s_waitcnt lgkmcnt(0)
	v_max_f32_e32 v72, v72, v72
	v_max_f32_e32 v20, v20, v20
	;; [unrolled: 1-line block ×3, first 2 shown]
	ds_write_b32 v41, v20
.LBB49_13:                              ;   in Loop: Header=BB49_11 Depth=1
	s_or_b64 exec, exec, s[10:11]
	s_mul_hi_i32 s11, s3, s15
	s_mul_i32 s10, s3, s15
	s_lshl_b64 s[10:11], s[10:11], 2
	s_add_u32 s10, s12, s10
	s_addc_u32 s11, s13, s11
	v_mov_b32_e32 v20, s11
	s_waitcnt lgkmcnt(0)
	v_add_co_u32_e32 v72, vcc, s10, v12
	v_addc_co_u32_e32 v20, vcc, v20, v13, vcc
	v_add_co_u32_e32 v80, vcc, v72, v53
	v_addc_co_u32_e32 v81, vcc, 0, v20, vcc
	v_mov_b32_e32 v20, s11
	v_add_co_u32_e32 v72, vcc, s10, v14
	v_addc_co_u32_e32 v20, vcc, v20, v15, vcc
	v_add_co_u32_e32 v82, vcc, v72, v53
	v_addc_co_u32_e32 v83, vcc, 0, v20, vcc
	s_barrier
	global_load_dwordx4 v[72:75], v[80:81], off
	global_load_dwordx4 v[76:79], v[82:83], off
	v_mov_b32_e32 v20, s11
	v_add_co_u32_e32 v80, vcc, s10, v16
	v_addc_co_u32_e32 v20, vcc, v20, v17, vcc
	v_add_co_u32_e32 v88, vcc, v80, v53
	v_addc_co_u32_e32 v89, vcc, 0, v20, vcc
	v_mov_b32_e32 v20, s11
	v_add_co_u32_e32 v80, vcc, s10, v18
	v_addc_co_u32_e32 v20, vcc, v20, v19, vcc
	v_add_co_u32_e32 v90, vcc, v80, v53
	v_addc_co_u32_e32 v91, vcc, 0, v20, vcc
	global_load_dwordx4 v[80:83], v[88:89], off
	global_load_dwordx4 v[84:87], v[90:91], off
	ds_read_b32 v20, v42
	v_and_b32_e32 v88, 0x7c, v3
	v_add_u32_e32 v88, 4, v88
	v_cmp_lt_i32_e32 vcc, v31, v88
	v_cndmask_b32_e32 v89, v3, v31, vcc
	v_lshlrev_b32_e32 v89, 2, v89
	s_waitcnt lgkmcnt(0)
	ds_bpermute_b32 v89, v89, v20
	v_cmp_lt_i32_e32 vcc, v30, v88
	v_max_f32_e32 v20, v20, v20
	v_cndmask_b32_e32 v88, v3, v30, vcc
	v_lshlrev_b32_e32 v88, 2, v88
	s_waitcnt lgkmcnt(0)
	v_max_f32_e32 v89, v89, v89
	v_max_f32_e32 v20, v20, v89
	ds_bpermute_b32 v88, v88, v20
	s_or_b32 s10, s3, 64
	s_mul_hi_i32 s11, s10, s15
	s_mul_i32 s10, s10, s15
	s_lshl_b64 s[10:11], s[10:11], 2
	s_waitcnt lgkmcnt(0)
	v_max_f32_e32 v88, v88, v88
	v_max_f32_e32 v20, v20, v88
	v_sub_f32_e32 v71, v71, v20
	v_mul_f32_e32 v88, 0x3fb8aa3b, v71
	v_fma_f32 v89, v71, s25, -v88
	v_rndne_f32_e32 v90, v88
	v_fmac_f32_e32 v89, 0x32a5705f, v71
	v_sub_f32_e32 v88, v88, v90
	v_add_f32_e32 v88, v88, v89
	v_cvt_i32_f32_e32 v90, v90
	v_exp_f32_e32 v88, v88
	v_cmp_ngt_f32_e32 vcc, s29, v71
	s_add_u32 s10, s12, s10
	s_addc_u32 s11, s13, s11
	v_ldexp_f32 v88, v88, v90
	v_cndmask_b32_e32 v88, 0, v88, vcc
	v_cmp_nlt_f32_e32 vcc, s30, v71
	v_cndmask_b32_e32 v71, v69, v88, vcc
	v_cvt_f16_f32_e32 v88, v71
	v_add_u32_e32 v120, v28, v48
	v_sub_f32_e32 v70, v70, v20
	v_mul_f32_e32 v137, 0x3fb8aa3b, v70
	v_fma_f32 v138, v70, s25, -v137
	v_rndne_f32_e32 v139, v137
	v_fmac_f32_e32 v138, 0x32a5705f, v70
	v_sub_f32_e32 v137, v137, v139
	v_add_f32_e32 v137, v137, v138
	v_exp_f32_e32 v137, v137
	v_cvt_i32_f32_e32 v138, v139
	ds_write_b16 v43, v88
	s_waitcnt vmcnt(3)
	ds_write_b128 v44, v[72:75]
	s_waitcnt vmcnt(2)
	ds_write_b128 v45, v[76:79]
	;; [unrolled: 2-line block ×4, first 2 shown]
	v_mov_b32_e32 v72, s11
	v_add_co_u32_e32 v73, vcc, s10, v12
	v_addc_co_u32_e32 v74, vcc, v72, v13, vcc
	v_add_co_u32_e32 v72, vcc, v73, v53
	v_addc_co_u32_e32 v73, vcc, 0, v74, vcc
	v_mov_b32_e32 v74, s11
	v_add_co_u32_e32 v75, vcc, s10, v14
	v_addc_co_u32_e32 v74, vcc, v74, v15, vcc
	v_add_co_u32_e32 v76, vcc, v75, v53
	v_addc_co_u32_e32 v77, vcc, 0, v74, vcc
	;; [unrolled: 5-line block ×4, first 2 shown]
	s_waitcnt lgkmcnt(0)
	s_barrier
	ds_read_u16 v121, v49
	ds_read_u16 v122, v49 offset:8
	ds_read_u16 v123, v49 offset:16
	;; [unrolled: 1-line block ×7, first 2 shown]
	ds_read_b64 v[88:89], v120
	ds_read_b64 v[90:91], v54
	;; [unrolled: 1-line block ×16, first 2 shown]
	ds_read_u16 v129, v49 offset:64
	ds_read_u16 v130, v49 offset:72
	;; [unrolled: 1-line block ×8, first 2 shown]
	s_waitcnt lgkmcnt(0)
	s_barrier
	global_load_dwordx4 v[72:75], v[72:73], off
	s_nop 0
	global_load_dwordx4 v[76:79], v[76:77], off
	s_nop 0
	;; [unrolled: 2-line block ×3, first 2 shown]
	global_load_dwordx4 v[84:87], v[84:85], off
	v_ldexp_f32 v137, v137, v138
	v_cmp_ngt_f32_e32 vcc, s29, v70
	v_cndmask_b32_e32 v137, 0, v137, vcc
	v_cmp_nlt_f32_e32 vcc, s30, v70
	v_cndmask_b32_e32 v70, v69, v137, vcc
	v_cvt_f16_f32_e32 v137, v70
	v_fma_f32 v50, v50, v70, v71
	v_pk_mul_f16 v70, v88, v121 op_sel_hi:[1,0]
	s_waitcnt vmcnt(3)
	ds_write_b128 v44, v[72:75]
	s_waitcnt vmcnt(2)
	ds_write_b128 v45, v[76:79]
	;; [unrolled: 2-line block ×4, first 2 shown]
	v_pk_fma_f16 v0, v0, v137, v70 op_sel_hi:[1,0,1]
	v_pk_mul_f16 v70, v89, v121 op_sel_hi:[1,0]
	v_pk_fma_f16 v1, v1, v137, v70 op_sel_hi:[1,0,1]
	v_pk_fma_f16 v0, v90, v122, v0 op_sel_hi:[1,0,1]
	;; [unrolled: 1-line block ×31, first 2 shown]
	s_waitcnt lgkmcnt(0)
	s_barrier
	ds_read_b64 v[0:1], v120
	ds_read_u16 v76, v49 offset:128
	ds_read_u16 v77, v49 offset:136
	ds_read_u16 v78, v49 offset:144
	ds_read_u16 v79, v49 offset:152
	ds_read_u16 v80, v49 offset:160
	ds_read_u16 v81, v49 offset:168
	ds_read_u16 v82, v49 offset:176
	ds_read_u16 v83, v49 offset:184
	ds_read_b64 v[70:71], v54
	ds_read_b64 v[72:73], v55
	;; [unrolled: 1-line block ×3, first 2 shown]
	s_waitcnt lgkmcnt(10)
	v_pk_fma_f16 v0, v0, v76, v88 op_sel_hi:[1,0,1]
	v_pk_fma_f16 v1, v1, v76, v89 op_sel_hi:[1,0,1]
	s_waitcnt lgkmcnt(2)
	v_pk_fma_f16 v0, v70, v77, v0 op_sel_hi:[1,0,1]
	v_pk_fma_f16 v1, v71, v77, v1 op_sel_hi:[1,0,1]
	;; [unrolled: 3-line block ×3, first 2 shown]
	s_waitcnt lgkmcnt(0)
	v_pk_fma_f16 v76, v74, v79, v0 op_sel_hi:[1,0,1]
	ds_read_b64 v[0:1], v57
	v_pk_fma_f16 v77, v75, v79, v70 op_sel_hi:[1,0,1]
	ds_read_b64 v[70:71], v58
	ds_read_b64 v[72:73], v59
	;; [unrolled: 1-line block ×3, first 2 shown]
	s_waitcnt lgkmcnt(3)
	v_pk_fma_f16 v0, v0, v80, v76 op_sel_hi:[1,0,1]
	v_pk_fma_f16 v1, v1, v80, v77 op_sel_hi:[1,0,1]
	s_waitcnt lgkmcnt(2)
	v_pk_fma_f16 v0, v70, v81, v0 op_sel_hi:[1,0,1]
	v_pk_fma_f16 v1, v71, v81, v1 op_sel_hi:[1,0,1]
	;; [unrolled: 3-line block ×4, first 2 shown]
	ds_read_b64 v[0:1], v61
	ds_read_b64 v[70:71], v62
	;; [unrolled: 1-line block ×4, first 2 shown]
	ds_read_u16 v78, v49 offset:192
	ds_read_u16 v79, v49 offset:200
	;; [unrolled: 1-line block ×8, first 2 shown]
	s_waitcnt lgkmcnt(7)
	v_pk_fma_f16 v0, v0, v78, v76 op_sel_hi:[1,0,1]
	v_pk_fma_f16 v1, v1, v78, v77 op_sel_hi:[1,0,1]
	s_waitcnt lgkmcnt(6)
	v_pk_fma_f16 v0, v70, v79, v0 op_sel_hi:[1,0,1]
	v_pk_fma_f16 v1, v71, v79, v1 op_sel_hi:[1,0,1]
	;; [unrolled: 3-line block ×3, first 2 shown]
	s_waitcnt lgkmcnt(4)
	v_pk_fma_f16 v76, v74, v81, v0 op_sel_hi:[1,0,1]
	ds_read_b64 v[0:1], v65
	v_pk_fma_f16 v77, v75, v81, v70 op_sel_hi:[1,0,1]
	ds_read_b64 v[70:71], v66
	ds_read_b64 v[72:73], v67
	;; [unrolled: 1-line block ×3, first 2 shown]
	s_waitcnt lgkmcnt(0)
	s_barrier
	s_load_dword s10, s[8:9], 0x4
	v_pk_fma_f16 v0, v0, v82, v76 op_sel_hi:[1,0,1]
	v_pk_fma_f16 v1, v1, v82, v77 op_sel_hi:[1,0,1]
	;; [unrolled: 1-line block ×4, first 2 shown]
	s_waitcnt lgkmcnt(0)
	s_lshl_b32 s10, s10, 7
	v_pk_fma_f16 v0, v72, v84, v0 op_sel_hi:[1,0,1]
	v_pk_fma_f16 v1, v73, v84, v1 op_sel_hi:[1,0,1]
	s_add_i32 s3, s10, s3
	v_pk_fma_f16 v0, v74, v85, v0 op_sel_hi:[1,0,1]
	s_cmp_lt_i32 s3, s2
	v_pk_fma_f16 v1, v75, v85, v1 op_sel_hi:[1,0,1]
	s_cbranch_scc0 .LBB49_15
; %bb.14:                               ;   in Loop: Header=BB49_11 Depth=1
	v_mov_b32_e32 v70, v20
	s_branch .LBB49_11
.LBB49_15:
	v_mov_b32_e32 v5, v21
.LBB49_16:
	v_cmp_lt_i32_e32 vcc, v36, v29
	v_cndmask_b32_e32 v2, v3, v36, vcc
	v_lshlrev_b32_e32 v2, 2, v2
	ds_bpermute_b32 v2, v2, v50
	v_cmp_lt_i32_e32 vcc, v34, v29
	v_cndmask_b32_e32 v4, v3, v34, vcc
	v_lshlrev_b32_e32 v4, 2, v4
	v_cmp_lt_i32_e32 vcc, v33, v29
	s_waitcnt lgkmcnt(0)
	v_add_f32_e32 v2, v50, v2
	ds_bpermute_b32 v4, v4, v2
	v_cndmask_b32_e32 v6, v3, v33, vcc
	v_lshlrev_b32_e32 v6, 2, v6
	v_cmp_lt_i32_e32 vcc, v31, v29
	v_cmp_ne_u32_e64 s[0:1], 0, v5
	s_waitcnt lgkmcnt(0)
	v_add_f32_e32 v2, v2, v4
	ds_bpermute_b32 v4, v6, v2
	v_cndmask_b32_e32 v6, v3, v31, vcc
	v_lshlrev_b32_e32 v6, 2, v6
	v_cmp_lt_i32_e32 vcc, v30, v29
	v_cndmask_b32_e32 v3, v3, v30, vcc
	s_waitcnt lgkmcnt(0)
	v_add_f32_e32 v2, v2, v4
	ds_bpermute_b32 v4, v6, v2
	v_lshlrev_b32_e32 v3, 2, v3
	v_cmp_eq_u32_e32 vcc, 0, v5
	s_waitcnt lgkmcnt(0)
	v_add_f32_e32 v2, v2, v4
	ds_bpermute_b32 v3, v3, v2
	s_waitcnt lgkmcnt(0)
	v_add_f32_e32 v21, v2, v3
	s_and_saveexec_b64 s[2:3], s[0:1]
	s_xor_b64 s[2:3], exec, s[2:3]
	s_cbranch_execnz .LBB49_20
; %bb.17:
	s_andn2_saveexec_b64 s[0:1], s[2:3]
	s_cbranch_execnz .LBB49_23
.LBB49_18:
	s_or_b64 exec, exec, s[0:1]
	s_and_saveexec_b64 s[0:1], vcc
	s_cbranch_execnz .LBB49_24
.LBB49_19:
	s_endpgm
.LBB49_20:
	v_lshl_add_u32 v2, v26, 8, v28
	v_cmp_eq_u32_e64 s[0:1], 0, v22
	ds_write_b64 v2, v[0:1]
	s_and_saveexec_b64 s[8:9], s[0:1]
	s_cbranch_execz .LBB49_22
; %bb.21:
	ds_write_b32 v27, v21 offset:18944
.LBB49_22:
	s_or_b64 exec, exec, s[8:9]
                                        ; implicit-def: $vgpr26
                                        ; implicit-def: $vgpr27
	s_andn2_saveexec_b64 s[0:1], s[2:3]
	s_cbranch_execz .LBB49_18
.LBB49_23:
	v_lshlrev_b32_e32 v2, 8, v26
	v_lshl_add_u32 v8, v22, 3, v2
	s_waitcnt lgkmcnt(0)
	s_barrier
	ds_read2_b64 v[2:5], v8 offset0:32 offset1:64
	v_add_u32_e32 v6, 0x4a04, v27
	ds_read2_b32 v[6:7], v6 offset1:1
	s_waitcnt lgkmcnt(1)
	v_pk_add_f16 v2, v2, v0
	v_pk_add_f16 v3, v3, v1
	ds_read_b32 v9, v27 offset:18956
	ds_read_b64 v[0:1], v8 offset:768
	s_waitcnt lgkmcnt(2)
	v_add_f32_e32 v6, v21, v6
	v_pk_add_f16 v2, v4, v2
	v_pk_add_f16 v3, v5, v3
	v_add_f32_e32 v4, v6, v7
	s_waitcnt lgkmcnt(0)
	v_pk_add_f16 v0, v0, v2
	v_pk_add_f16 v1, v1, v3
	v_add_f32_e32 v21, v4, v9
	s_or_b64 exec, exec, s[0:1]
	s_and_saveexec_b64 s[0:1], vcc
	s_cbranch_execz .LBB49_19
.LBB49_24:
	s_cmp_eq_u64 s[16:17], 0
	s_cselect_b64 s[0:1], -1, 0
	s_cmp_lg_u32 s7, 0
	s_cselect_b64 s[2:3], -1, 0
	s_or_b64 s[0:1], s[2:3], s[0:1]
	v_add_u32_e32 v2, s14, v25
	s_and_b64 vcc, exec, s[0:1]
	s_cbranch_vccnz .LBB49_26
; %bb.25:
	v_ashrrev_i32_e32 v3, 31, v2
	v_lshlrev_b64 v[4:5], 2, v[2:3]
	v_mov_b32_e32 v3, s17
	v_add_co_u32_e32 v4, vcc, s16, v4
	v_addc_co_u32_e32 v5, vcc, v3, v5, vcc
	global_load_dword v3, v[4:5], off
	v_max_f32_e32 v4, v20, v20
	s_mov_b32 s0, 0x3fb8aa3b
	s_mov_b32 s1, 0xc2ce8ed0
	s_waitcnt vmcnt(0)
	v_max_f32_e32 v5, v3, v3
	v_max_f32_e32 v4, v4, v5
	v_sub_f32_e32 v5, v20, v4
	v_sub_f32_e32 v3, v3, v4
	v_mul_f32_e32 v6, 0x3fb8aa3b, v5
	v_mul_f32_e32 v7, 0x3fb8aa3b, v3
	v_fma_f32 v8, v5, s0, -v6
	v_rndne_f32_e32 v9, v6
	v_fma_f32 v10, v3, s0, -v7
	v_rndne_f32_e32 v11, v7
	v_fmac_f32_e32 v8, 0x32a5705f, v5
	v_sub_f32_e32 v6, v6, v9
	v_fmac_f32_e32 v10, 0x32a5705f, v3
	v_sub_f32_e32 v7, v7, v11
	v_add_f32_e32 v6, v6, v8
	v_cvt_i32_f32_e32 v9, v9
	v_add_f32_e32 v7, v7, v10
	v_exp_f32_e32 v6, v6
	v_cvt_i32_f32_e32 v11, v11
	v_exp_f32_e32 v7, v7
	v_cmp_ngt_f32_e32 vcc, s1, v5
	v_ldexp_f32 v6, v6, v9
	s_mov_b32 s0, 0x42b17218
	v_ldexp_f32 v7, v7, v11
	v_cndmask_b32_e32 v6, 0, v6, vcc
	v_cmp_ngt_f32_e32 vcc, s1, v3
	v_mov_b32_e32 v8, 0x7f800000
	v_cndmask_b32_e32 v7, 0, v7, vcc
	v_cmp_nlt_f32_e32 vcc, s0, v5
	v_cndmask_b32_e32 v6, v8, v6, vcc
	v_cvt_f16_f32_e32 v9, v6
	v_cmp_nlt_f32_e32 vcc, s0, v3
	v_cndmask_b32_e32 v5, v8, v7, vcc
	v_fmac_f32_e32 v5, v21, v6
	v_pk_mul_f16 v0, v9, v0 op_sel_hi:[0,1]
	v_pk_mul_f16 v1, v9, v1 op_sel_hi:[0,1]
	v_pk_mov_b32 v[20:21], v[4:5], v[4:5] op_sel:[0,1]
	s_branch .LBB49_27
.LBB49_26:
	v_mov_b32_e32 v5, v21
.LBB49_27:
	v_div_scale_f32 v3, s[0:1], v5, v5, 1.0
	v_rcp_f32_e32 v4, v3
	s_load_dword s4, s[4:5], 0xd4
	s_mul_i32 s2, s33, s26
	v_cvt_f32_f16_sdwa v9, v0 dst_sel:DWORD dst_unused:UNUSED_PAD src0_sel:WORD_1
	v_fma_f32 v6, -v3, v4, 1.0
	v_fmac_f32_e32 v4, v6, v4
	v_div_scale_f32 v6, vcc, 1.0, v5, 1.0
	v_mul_f32_e32 v7, v6, v4
	v_fma_f32 v8, -v3, v7, v6
	v_fmac_f32_e32 v7, v8, v4
	v_fma_f32 v3, -v3, v7, v6
	s_waitcnt lgkmcnt(0)
	s_cmp_lg_u32 s4, 1
	v_div_fmas_f32 v3, v3, v4, v7
	v_div_fixup_f32 v3, v3, v5, 1.0
	s_cselect_b64 s[0:1], -1, 0
	s_add_i32 s2, s2, s6
	v_cndmask_b32_e64 v6, v3, 1.0, s[0:1]
	v_add_u32_e32 v3, s2, v23
	v_mad_u64_u32 v[2:3], s[2:3], v3, s27, v[2:3]
	v_mul_lo_u32 v2, s4, v2
	v_add_u32_e32 v2, s7, v2
	v_lshl_add_u32 v4, v2, 7, v24
	v_mov_b32_e32 v5, 0
	v_lshlrev_b64 v[4:5], 2, v[4:5]
	v_cvt_f32_f16_e32 v8, v0
	v_cvt_f32_f16_sdwa v11, v1 dst_sel:DWORD dst_unused:UNUSED_PAD src0_sel:WORD_1
	v_cvt_f32_f16_e32 v10, v1
	v_mov_b32_e32 v3, s21
	v_add_co_u32_e32 v0, vcc, s20, v4
	v_addc_co_u32_e32 v1, vcc, v3, v5, vcc
	v_cmp_eq_u32_e32 vcc, 0, v22
	v_pk_mul_f32 v[4:5], v[6:7], v[8:9] op_sel_hi:[0,1]
	v_pk_mul_f32 v[6:7], v[6:7], v[10:11] op_sel_hi:[0,1]
	s_and_b64 s[0:1], vcc, s[0:1]
	global_store_dwordx4 v[0:1], v[4:7], off
	s_and_b64 exec, exec, s[0:1]
	s_cbranch_execz .LBB49_19
; %bb.28:
	v_ashrrev_i32_e32 v3, 31, v2
	v_lshlrev_b64 v[0:1], 3, v[2:3]
	v_mov_b32_e32 v2, s23
	v_add_co_u32_e32 v0, vcc, s22, v0
	v_addc_co_u32_e32 v1, vcc, v2, v1, vcc
	global_store_dwordx2 v[0:1], v[20:21], off
	s_endpgm
	.section	.rodata,"a",@progbits
	.p2align	6, 0x0
	.amdhsa_kernel _ZL15flash_attn_tileILi128ELi128ELi1ELi2ELb0EEvPKcS1_S1_S1_S1_PKiPfP15HIP_vector_typeIfLj2EEffffjfiS5_IjLj3EEiiiiiiiiiiiliiliiiiil
		.amdhsa_group_segment_fixed_size 19488
		.amdhsa_private_segment_fixed_size 0
		.amdhsa_kernarg_size 464
		.amdhsa_user_sgpr_count 6
		.amdhsa_user_sgpr_private_segment_buffer 1
		.amdhsa_user_sgpr_dispatch_ptr 0
		.amdhsa_user_sgpr_queue_ptr 0
		.amdhsa_user_sgpr_kernarg_segment_ptr 1
		.amdhsa_user_sgpr_dispatch_id 0
		.amdhsa_user_sgpr_flat_scratch_init 0
		.amdhsa_user_sgpr_kernarg_preload_length 0
		.amdhsa_user_sgpr_kernarg_preload_offset 0
		.amdhsa_user_sgpr_private_segment_size 0
		.amdhsa_uses_dynamic_stack 0
		.amdhsa_system_sgpr_private_segment_wavefront_offset 0
		.amdhsa_system_sgpr_workgroup_id_x 1
		.amdhsa_system_sgpr_workgroup_id_y 1
		.amdhsa_system_sgpr_workgroup_id_z 1
		.amdhsa_system_sgpr_workgroup_info 0
		.amdhsa_system_vgpr_workitem_id 1
		.amdhsa_next_free_vgpr 140
		.amdhsa_next_free_sgpr 44
		.amdhsa_accum_offset 140
		.amdhsa_reserve_vcc 1
		.amdhsa_reserve_flat_scratch 0
		.amdhsa_float_round_mode_32 0
		.amdhsa_float_round_mode_16_64 0
		.amdhsa_float_denorm_mode_32 3
		.amdhsa_float_denorm_mode_16_64 3
		.amdhsa_dx10_clamp 1
		.amdhsa_ieee_mode 1
		.amdhsa_fp16_overflow 0
		.amdhsa_tg_split 0
		.amdhsa_exception_fp_ieee_invalid_op 0
		.amdhsa_exception_fp_denorm_src 0
		.amdhsa_exception_fp_ieee_div_zero 0
		.amdhsa_exception_fp_ieee_overflow 0
		.amdhsa_exception_fp_ieee_underflow 0
		.amdhsa_exception_fp_ieee_inexact 0
		.amdhsa_exception_int_div_zero 0
	.end_amdhsa_kernel
	.section	.text._ZL15flash_attn_tileILi128ELi128ELi1ELi2ELb0EEvPKcS1_S1_S1_S1_PKiPfP15HIP_vector_typeIfLj2EEffffjfiS5_IjLj3EEiiiiiiiiiiiliiliiiiil,"axG",@progbits,_ZL15flash_attn_tileILi128ELi128ELi1ELi2ELb0EEvPKcS1_S1_S1_S1_PKiPfP15HIP_vector_typeIfLj2EEffffjfiS5_IjLj3EEiiiiiiiiiiiliiliiiiil,comdat
.Lfunc_end49:
	.size	_ZL15flash_attn_tileILi128ELi128ELi1ELi2ELb0EEvPKcS1_S1_S1_S1_PKiPfP15HIP_vector_typeIfLj2EEffffjfiS5_IjLj3EEiiiiiiiiiiiliiliiiiil, .Lfunc_end49-_ZL15flash_attn_tileILi128ELi128ELi1ELi2ELb0EEvPKcS1_S1_S1_S1_PKiPfP15HIP_vector_typeIfLj2EEffffjfiS5_IjLj3EEiiiiiiiiiiiliiliiiiil
                                        ; -- End function
	.section	.AMDGPU.csdata,"",@progbits
; Kernel info:
; codeLenInByte = 6048
; NumSgprs: 48
; NumVgprs: 140
; NumAgprs: 0
; TotalNumVgprs: 140
; ScratchSize: 0
; MemoryBound: 0
; FloatMode: 240
; IeeeMode: 1
; LDSByteSize: 19488 bytes/workgroup (compile time only)
; SGPRBlocks: 5
; VGPRBlocks: 17
; NumSGPRsForWavesPerEU: 48
; NumVGPRsForWavesPerEU: 140
; AccumOffset: 140
; Occupancy: 3
; WaveLimiterHint : 1
; COMPUTE_PGM_RSRC2:SCRATCH_EN: 0
; COMPUTE_PGM_RSRC2:USER_SGPR: 6
; COMPUTE_PGM_RSRC2:TRAP_HANDLER: 0
; COMPUTE_PGM_RSRC2:TGID_X_EN: 1
; COMPUTE_PGM_RSRC2:TGID_Y_EN: 1
; COMPUTE_PGM_RSRC2:TGID_Z_EN: 1
; COMPUTE_PGM_RSRC2:TIDIG_COMP_CNT: 1
; COMPUTE_PGM_RSRC3_GFX90A:ACCUM_OFFSET: 34
; COMPUTE_PGM_RSRC3_GFX90A:TG_SPLIT: 0
	.section	.text._ZL33flash_attn_stream_k_fixup_uniformILi128ELi1ELi2EEvPfPK15HIP_vector_typeIfLj2EEiiiiiiS1_IjLj3EES5_S5_,"axG",@progbits,_ZL33flash_attn_stream_k_fixup_uniformILi128ELi1ELi2EEvPfPK15HIP_vector_typeIfLj2EEiiiiiiS1_IjLj3EES5_S5_,comdat
	.globl	_ZL33flash_attn_stream_k_fixup_uniformILi128ELi1ELi2EEvPfPK15HIP_vector_typeIfLj2EEiiiiiiS1_IjLj3EES5_S5_ ; -- Begin function _ZL33flash_attn_stream_k_fixup_uniformILi128ELi1ELi2EEvPfPK15HIP_vector_typeIfLj2EEiiiiiiS1_IjLj3EES5_S5_
	.p2align	8
	.type	_ZL33flash_attn_stream_k_fixup_uniformILi128ELi1ELi2EEvPfPK15HIP_vector_typeIfLj2EEiiiiiiS1_IjLj3EES5_S5_,@function
_ZL33flash_attn_stream_k_fixup_uniformILi128ELi1ELi2EEvPfPK15HIP_vector_typeIfLj2EEiiiiiiS1_IjLj3EES5_S5_: ; @_ZL33flash_attn_stream_k_fixup_uniformILi128ELi1ELi2EEvPfPK15HIP_vector_typeIfLj2EEiiiiiiS1_IjLj3EES5_S5_
; %bb.0:
	s_load_dwordx8 s[12:19], s[4:5], 0x1c
	s_load_dwordx2 s[10:11], s[4:5], 0x10
	s_load_dwordx4 s[0:3], s[4:5], 0x3c
	s_waitcnt lgkmcnt(0)
	s_mul_hi_u32 s9, s15, s6
	s_add_i32 s9, s6, s9
	s_lshr_b32 s9, s9, s16
	s_mul_i32 s15, s9, s17
	s_sub_i32 s16, s6, s15
	s_mul_hi_u32 s15, s16, s18
	s_add_i32 s15, s16, s15
	s_lshr_b32 s15, s15, s19
	s_mul_i32 s0, s15, s0
	s_sub_i32 s0, s16, s0
	;; [unrolled: 5-line block ×3, first 2 shown]
	s_lshl_b32 s17, s1, 1
	s_add_i32 s16, s16, s7
	s_cmp_lt_i32 s16, s10
	s_cselect_b64 s[0:1], -1, 0
	s_add_i32 s17, s17, s8
	s_cmp_lt_i32 s17, s13
	s_cselect_b64 s[2:3], -1, 0
	s_and_b64 s[0:1], s[0:1], s[2:3]
	s_andn2_b64 vcc, exec, s[0:1]
	s_cbranch_vccnz .LBB50_6
; %bb.1:
	s_mul_i32 s9, s9, s10
	s_load_dwordx4 s[0:3], s[4:5], 0x0
	s_mul_i32 s15, s15, s13
	s_add_i32 s4, s16, s9
	s_mul_i32 s4, s4, s11
	s_add_i32 s5, s17, s15
	s_add_i32 s5, s5, s4
	v_lshl_or_b32 v2, s5, 7, v0
	v_ashrrev_i32_e32 v3, 31, v2
	v_lshlrev_b64 v[2:3], 2, v[2:3]
	s_waitcnt lgkmcnt(0)
	v_mov_b32_e32 v1, s1
	v_add_co_u32_e32 v2, vcc, s0, v2
	v_addc_co_u32_e32 v3, vcc, v1, v3, vcc
	global_load_dword v8, v[2:3], off
	s_mul_i32 s9, s6, s14
	s_add_i32 s4, s9, s14
	s_add_i32 s0, s7, s4
	s_lshl_b32 s0, s0, 1
	s_add_i32 s0, s0, s8
	s_add_i32 s0, s0, -2
	s_ashr_i32 s1, s0, 31
	s_lshl_b64 s[0:1], s[0:1], 3
	s_add_u32 s0, s2, s0
	s_addc_u32 s1, s3, s1
	s_load_dword s5, s[0:1], 0x4
	s_add_i32 s10, s4, -2
	s_cmp_lt_i32 s10, s9
	s_cbranch_scc1 .LBB50_4
; %bb.2:
	s_lshl_b32 s10, s12, 3
	s_ashr_i32 s11, s10, 31
	s_lshl_b64 s[10:11], s[10:11], 2
	s_add_u32 s10, s2, s10
	s_addc_u32 s13, s3, s11
	s_load_dword s0, s[0:1], 0x0
	s_add_i32 s6, s6, 1
	s_lshl_b32 s1, s8, 7
	s_add_i32 s12, s7, s12
	s_mul_i32 s6, s14, s6
	s_lshl_b32 s7, s7, 8
	s_add_i32 s12, s12, s4
	s_lshl_b32 s6, s6, 8
	s_add_i32 s1, s1, s7
	s_add_i32 s11, s4, -1
	s_lshl_b32 s4, s12, 1
	s_add_i32 s1, s1, s6
	s_add_i32 s4, s8, s4
	v_or_b32_e32 v0, s1, v0
	s_add_i32 s4, s4, -4
	v_add_u32_e32 v0, 0xfffffe00, v0
	s_waitcnt lgkmcnt(0)
	v_mov_b32_e32 v7, s5
	v_mov_b32_e32 v6, s0
	;; [unrolled: 1-line block ×3, first 2 shown]
	s_mov_b32 s6, 0x3fb8aa3b
	s_mov_b32 s7, 0xc2ce8ed0
	;; [unrolled: 1-line block ×3, first 2 shown]
	v_mov_b32_e32 v5, 0x7f800000
	s_mov_b32 s12, 0xc1a00000
.LBB50_3:                               ; =>This Inner Loop Header: Depth=1
	v_ashrrev_i32_e32 v1, 31, v0
	v_lshlrev_b64 v[10:11], 2, v[0:1]
	v_add_co_u32_e32 v10, vcc, s10, v10
	v_addc_co_u32_e32 v11, vcc, v4, v11, vcc
	global_load_dword v1, v[10:11], off
	s_ashr_i32 s5, s4, 31
	s_lshl_b64 s[0:1], s[4:5], 3
	s_add_u32 s0, s2, s0
	s_addc_u32 s1, s3, s1
	s_load_dwordx2 s[14:15], s[0:1], 0x0
	s_waitcnt vmcnt(1)
	v_mov_b32_e32 v9, v8
	v_max_f32_e32 v8, v6, v6
	v_mov_b32_e32 v10, v7
	s_add_i32 s11, s11, -1
	s_waitcnt lgkmcnt(0)
	v_max_f32_e64 v7, s14, s14
	v_max_f32_e32 v7, v8, v7
	v_sub_f32_e32 v11, s14, v7
	v_sub_f32_e32 v8, v6, v7
	v_mul_f32_e32 v12, 0x3fb8aa3b, v11
	v_mov_b32_e32 v6, v7
	v_mul_f32_e32 v7, 0x3fb8aa3b, v8
	v_fma_f32 v15, v11, s6, -v12
	v_rndne_f32_e32 v16, v12
	v_fma_f32 v13, v8, s6, -v7
	v_rndne_f32_e32 v14, v7
	v_fmac_f32_e32 v15, 0x32a5705f, v11
	v_sub_f32_e32 v12, v12, v16
	v_fmac_f32_e32 v13, 0x32a5705f, v8
	v_sub_f32_e32 v7, v7, v14
	v_add_f32_e32 v12, v12, v15
	v_cvt_i32_f32_e32 v16, v16
	v_add_f32_e32 v7, v7, v13
	v_exp_f32_e32 v12, v12
	v_cvt_i32_f32_e32 v14, v14
	v_exp_f32_e32 v7, v7
	v_cmp_ngt_f32_e32 vcc, s7, v11
	v_ldexp_f32 v12, v12, v16
	v_cmp_ngt_f32_e64 s[0:1], s7, v8
	v_ldexp_f32 v7, v7, v14
	v_cndmask_b32_e32 v12, 0, v12, vcc
	v_cmp_nlt_f32_e32 vcc, s8, v11
	v_cndmask_b32_e64 v7, 0, v7, s[0:1]
	v_cmp_nlt_f32_e64 s[0:1], s8, v8
	v_cndmask_b32_e32 v12, v5, v12, vcc
	v_cmp_le_f32_e32 vcc, s12, v11
	v_cndmask_b32_e64 v7, v5, v7, s[0:1]
	v_cmp_le_f32_e64 s[0:1], s12, v8
	v_cndmask_b32_e32 v8, 0, v12, vcc
	s_add_i32 s4, s4, -2
	v_cndmask_b32_e64 v11, 0, v7, s[0:1]
	v_mul_f32_e32 v7, s15, v8
	v_add_u32_e32 v0, 0xffffff00, v0
	s_cmp_le_i32 s11, s9
	v_fmac_f32_e32 v7, v10, v11
	s_waitcnt vmcnt(0)
	v_mul_f32_e32 v8, v1, v8
	v_fmac_f32_e32 v8, v9, v11
	s_cbranch_scc0 .LBB50_3
	s_branch .LBB50_5
.LBB50_4:
	s_waitcnt lgkmcnt(0)
	v_mov_b32_e32 v7, s5
.LBB50_5:
	s_waitcnt vmcnt(0)
	v_div_scale_f32 v0, s[0:1], v7, v7, v8
	v_rcp_f32_e32 v1, v0
	v_div_scale_f32 v4, vcc, v8, v7, v8
	v_fma_f32 v5, -v0, v1, 1.0
	v_fmac_f32_e32 v1, v5, v1
	v_mul_f32_e32 v5, v4, v1
	v_fma_f32 v6, -v0, v5, v4
	v_fmac_f32_e32 v5, v6, v1
	v_fma_f32 v0, -v0, v5, v4
	v_div_fmas_f32 v0, v0, v1, v5
	v_div_fixup_f32 v0, v0, v7, v8
	global_store_dword v[2:3], v0, off
.LBB50_6:
	s_endpgm
	.section	.rodata,"a",@progbits
	.p2align	6, 0x0
	.amdhsa_kernel _ZL33flash_attn_stream_k_fixup_uniformILi128ELi1ELi2EEvPfPK15HIP_vector_typeIfLj2EEiiiiiiS1_IjLj3EES5_S5_
		.amdhsa_group_segment_fixed_size 0
		.amdhsa_private_segment_fixed_size 0
		.amdhsa_kernarg_size 76
		.amdhsa_user_sgpr_count 6
		.amdhsa_user_sgpr_private_segment_buffer 1
		.amdhsa_user_sgpr_dispatch_ptr 0
		.amdhsa_user_sgpr_queue_ptr 0
		.amdhsa_user_sgpr_kernarg_segment_ptr 1
		.amdhsa_user_sgpr_dispatch_id 0
		.amdhsa_user_sgpr_flat_scratch_init 0
		.amdhsa_user_sgpr_kernarg_preload_length 0
		.amdhsa_user_sgpr_kernarg_preload_offset 0
		.amdhsa_user_sgpr_private_segment_size 0
		.amdhsa_uses_dynamic_stack 0
		.amdhsa_system_sgpr_private_segment_wavefront_offset 0
		.amdhsa_system_sgpr_workgroup_id_x 1
		.amdhsa_system_sgpr_workgroup_id_y 1
		.amdhsa_system_sgpr_workgroup_id_z 1
		.amdhsa_system_sgpr_workgroup_info 0
		.amdhsa_system_vgpr_workitem_id 0
		.amdhsa_next_free_vgpr 17
		.amdhsa_next_free_sgpr 20
		.amdhsa_accum_offset 20
		.amdhsa_reserve_vcc 1
		.amdhsa_reserve_flat_scratch 0
		.amdhsa_float_round_mode_32 0
		.amdhsa_float_round_mode_16_64 0
		.amdhsa_float_denorm_mode_32 3
		.amdhsa_float_denorm_mode_16_64 3
		.amdhsa_dx10_clamp 1
		.amdhsa_ieee_mode 1
		.amdhsa_fp16_overflow 0
		.amdhsa_tg_split 0
		.amdhsa_exception_fp_ieee_invalid_op 0
		.amdhsa_exception_fp_denorm_src 0
		.amdhsa_exception_fp_ieee_div_zero 0
		.amdhsa_exception_fp_ieee_overflow 0
		.amdhsa_exception_fp_ieee_underflow 0
		.amdhsa_exception_fp_ieee_inexact 0
		.amdhsa_exception_int_div_zero 0
	.end_amdhsa_kernel
	.section	.text._ZL33flash_attn_stream_k_fixup_uniformILi128ELi1ELi2EEvPfPK15HIP_vector_typeIfLj2EEiiiiiiS1_IjLj3EES5_S5_,"axG",@progbits,_ZL33flash_attn_stream_k_fixup_uniformILi128ELi1ELi2EEvPfPK15HIP_vector_typeIfLj2EEiiiiiiS1_IjLj3EES5_S5_,comdat
.Lfunc_end50:
	.size	_ZL33flash_attn_stream_k_fixup_uniformILi128ELi1ELi2EEvPfPK15HIP_vector_typeIfLj2EEiiiiiiS1_IjLj3EES5_S5_, .Lfunc_end50-_ZL33flash_attn_stream_k_fixup_uniformILi128ELi1ELi2EEvPfPK15HIP_vector_typeIfLj2EEiiiiiiS1_IjLj3EES5_S5_
                                        ; -- End function
	.section	.AMDGPU.csdata,"",@progbits
; Kernel info:
; codeLenInByte = 828
; NumSgprs: 24
; NumVgprs: 17
; NumAgprs: 0
; TotalNumVgprs: 17
; ScratchSize: 0
; MemoryBound: 0
; FloatMode: 240
; IeeeMode: 1
; LDSByteSize: 0 bytes/workgroup (compile time only)
; SGPRBlocks: 2
; VGPRBlocks: 2
; NumSGPRsForWavesPerEU: 24
; NumVGPRsForWavesPerEU: 17
; AccumOffset: 20
; Occupancy: 8
; WaveLimiterHint : 0
; COMPUTE_PGM_RSRC2:SCRATCH_EN: 0
; COMPUTE_PGM_RSRC2:USER_SGPR: 6
; COMPUTE_PGM_RSRC2:TRAP_HANDLER: 0
; COMPUTE_PGM_RSRC2:TGID_X_EN: 1
; COMPUTE_PGM_RSRC2:TGID_Y_EN: 1
; COMPUTE_PGM_RSRC2:TGID_Z_EN: 1
; COMPUTE_PGM_RSRC2:TIDIG_COMP_CNT: 0
; COMPUTE_PGM_RSRC3_GFX90A:ACCUM_OFFSET: 4
; COMPUTE_PGM_RSRC3_GFX90A:TG_SPLIT: 0
	.section	.text._ZL33flash_attn_stream_k_fixup_generalILi128ELi1ELi2EEvPfPK15HIP_vector_typeIfLj2EEiiiiS1_IjLj3EES5_S5_S5_,"axG",@progbits,_ZL33flash_attn_stream_k_fixup_generalILi128ELi1ELi2EEvPfPK15HIP_vector_typeIfLj2EEiiiiS1_IjLj3EES5_S5_S5_,comdat
	.globl	_ZL33flash_attn_stream_k_fixup_generalILi128ELi1ELi2EEvPfPK15HIP_vector_typeIfLj2EEiiiiS1_IjLj3EES5_S5_S5_ ; -- Begin function _ZL33flash_attn_stream_k_fixup_generalILi128ELi1ELi2EEvPfPK15HIP_vector_typeIfLj2EEiiiiS1_IjLj3EES5_S5_S5_
	.p2align	8
	.type	_ZL33flash_attn_stream_k_fixup_generalILi128ELi1ELi2EEvPfPK15HIP_vector_typeIfLj2EEiiiiS1_IjLj3EES5_S5_S5_,@function
_ZL33flash_attn_stream_k_fixup_generalILi128ELi1ELi2EEvPfPK15HIP_vector_typeIfLj2EEiiiiS1_IjLj3EES5_S5_S5_: ; @_ZL33flash_attn_stream_k_fixup_generalILi128ELi1ELi2EEvPfPK15HIP_vector_typeIfLj2EEiiiiS1_IjLj3EES5_S5_S5_
; %bb.0:
	s_load_dwordx4 s[12:15], s[4:5], 0x10
	s_load_dword s9, s[4:5], 0x50
	s_mov_b32 s2, 0
	s_waitcnt lgkmcnt(0)
	s_mul_hi_i32 s3, s15, s6
	s_cmp_lg_u64 s[2:3], 0
	s_mul_i32 s2, s15, s6
	s_cbranch_scc0 .LBB51_21
; %bb.1:
	v_cvt_f32_u32_e32 v1, s9
	v_cvt_f32_ubyte0_e32 v2, 0
	s_sub_u32 s10, 0, s9
	s_subb_u32 s11, 0, 0
	v_madmk_f32 v1, v2, 0x4f800000, v1
	v_rcp_f32_e32 v1, v1
	v_mul_f32_e32 v1, 0x5f7ffffc, v1
	v_mul_f32_e32 v2, 0x2f800000, v1
	v_trunc_f32_e32 v2, v2
	v_madmk_f32 v1, v2, 0xcf800000, v1
	v_cvt_u32_f32_e32 v2, v2
	v_cvt_u32_f32_e32 v1, v1
	v_readfirstlane_b32 s16, v2
	v_readfirstlane_b32 s17, v1
	s_mul_i32 s18, s10, s16
	s_mul_hi_u32 s20, s10, s17
	s_mul_i32 s19, s11, s17
	s_add_i32 s18, s20, s18
	s_add_i32 s18, s18, s19
	s_mul_i32 s21, s10, s17
	s_mul_hi_u32 s19, s17, s18
	s_mul_i32 s20, s17, s18
	s_mul_hi_u32 s17, s17, s21
	s_add_u32 s17, s17, s20
	s_addc_u32 s19, 0, s19
	s_mul_hi_u32 s22, s16, s21
	s_mul_i32 s21, s16, s21
	s_add_u32 s17, s17, s21
	s_mul_hi_u32 s20, s16, s18
	s_addc_u32 s17, s19, s22
	s_addc_u32 s19, s20, 0
	s_mul_i32 s18, s16, s18
	s_add_u32 s17, s17, s18
	s_addc_u32 s18, 0, s19
	v_add_co_u32_e32 v1, vcc, s17, v1
	s_cmp_lg_u64 vcc, 0
	s_addc_u32 s16, s16, s18
	v_readfirstlane_b32 s18, v1
	s_mul_i32 s17, s10, s16
	s_mul_hi_u32 s19, s10, s18
	s_add_i32 s17, s19, s17
	s_mul_i32 s11, s11, s18
	s_add_i32 s17, s17, s11
	s_mul_i32 s10, s10, s18
	s_mul_hi_u32 s19, s16, s10
	s_mul_i32 s20, s16, s10
	s_mul_i32 s22, s18, s17
	s_mul_hi_u32 s10, s18, s10
	s_mul_hi_u32 s21, s18, s17
	s_add_u32 s10, s10, s22
	s_addc_u32 s18, 0, s21
	s_add_u32 s10, s10, s20
	s_mul_hi_u32 s11, s16, s17
	s_addc_u32 s10, s18, s19
	s_addc_u32 s11, s11, 0
	s_mul_i32 s17, s16, s17
	s_add_u32 s10, s10, s17
	s_addc_u32 s11, 0, s11
	v_add_co_u32_e32 v1, vcc, s10, v1
	s_cmp_lg_u64 vcc, 0
	s_addc_u32 s18, s16, s11
	s_ashr_i32 s10, s3, 31
	s_add_u32 s16, s2, s10
	s_mov_b32 s11, s10
	s_addc_u32 s17, s3, s10
	s_xor_b64 s[16:17], s[16:17], s[10:11]
	v_readfirstlane_b32 s20, v1
	s_mul_i32 s19, s16, s18
	s_mul_hi_u32 s21, s16, s20
	s_mul_hi_u32 s3, s16, s18
	s_add_u32 s19, s21, s19
	s_addc_u32 s3, 0, s3
	s_mul_hi_u32 s22, s17, s20
	s_mul_i32 s20, s17, s20
	s_add_u32 s19, s19, s20
	s_mul_hi_u32 s21, s17, s18
	s_addc_u32 s3, s3, s22
	s_addc_u32 s19, s21, 0
	s_mul_i32 s18, s17, s18
	s_add_u32 s3, s3, s18
	s_addc_u32 s18, 0, s19
	s_add_u32 s19, s3, 1
	s_addc_u32 s20, s18, 0
	s_add_u32 s21, s3, 2
	s_mul_i32 s23, s9, s18
	s_mul_hi_u32 s24, s9, s3
	s_addc_u32 s22, s18, 0
	s_add_i32 s24, s24, s23
	s_mul_i32 s23, s9, s3
	v_mov_b32_e32 v1, s23
	v_sub_co_u32_e32 v1, vcc, s16, v1
	s_cmp_lg_u64 vcc, 0
	s_subb_u32 s16, s17, s24
	v_subrev_co_u32_e32 v2, vcc, s9, v1
	s_cmp_lg_u64 vcc, 0
	s_subb_u32 s17, s16, 0
	v_readfirstlane_b32 s23, v2
	s_cmp_ge_u32 s23, s9
	s_cselect_b32 s23, -1, 0
	s_cmp_eq_u32 s17, 0
	s_cselect_b32 s17, s23, -1
	s_cmp_lg_u32 s17, 0
	s_cselect_b32 s17, s22, s20
	v_readfirstlane_b32 s20, v1
	s_cselect_b32 s19, s21, s19
	s_cmp_ge_u32 s20, s9
	s_cselect_b32 s20, -1, 0
	s_cmp_eq_u32 s16, 0
	s_cselect_b32 s16, s20, -1
	s_cmp_lg_u32 s16, 0
	s_cselect_b32 s17, s17, s18
	s_cselect_b32 s16, s19, s3
	s_xor_b64 s[16:17], s[16:17], s[10:11]
	s_sub_u32 s20, s16, s10
	s_load_dwordx4 s[16:19], s[4:5], 0x44
	s_cbranch_execnz .LBB51_3
.LBB51_2:
	v_cvt_f32_u32_e32 v1, s9
	s_sub_i32 s0, 0, s9
	v_rcp_iflag_f32_e32 v1, v1
	v_mul_f32_e32 v1, 0x4f7ffffe, v1
	v_cvt_u32_f32_e32 v1, v1
	v_readfirstlane_b32 s1, v1
	s_mul_i32 s0, s0, s1
	s_mul_hi_u32 s0, s1, s0
	s_add_i32 s1, s1, s0
	s_mul_hi_u32 s0, s2, s1
	s_mul_i32 s3, s0, s9
	s_sub_i32 s2, s2, s3
	s_add_i32 s1, s0, 1
	s_sub_i32 s3, s2, s9
	s_cmp_ge_u32 s2, s9
	s_cselect_b32 s0, s1, s0
	s_cselect_b32 s2, s3, s2
	s_add_i32 s1, s0, 1
	s_cmp_ge_u32 s2, s9
	s_cselect_b32 s20, s1, s0
.LBB51_3:
	s_add_i32 s0, s6, 1
	s_mul_hi_i32 s3, s15, s0
	s_mov_b32 s2, 0
	s_cmp_lg_u64 s[2:3], 0
	s_mul_i32 s2, s15, s0
	s_cbranch_scc0 .LBB51_22
; %bb.4:
	v_cvt_f32_u32_e32 v1, s9
	v_cvt_f32_ubyte0_e32 v2, 0
	s_sub_u32 s10, 0, s9
	s_subb_u32 s11, 0, 0
	v_madmk_f32 v1, v2, 0x4f800000, v1
	v_rcp_f32_e32 v1, v1
	v_mul_f32_e32 v1, 0x5f7ffffc, v1
	v_mul_f32_e32 v2, 0x2f800000, v1
	v_trunc_f32_e32 v2, v2
	v_madmk_f32 v1, v2, 0xcf800000, v1
	v_cvt_u32_f32_e32 v2, v2
	v_cvt_u32_f32_e32 v1, v1
	s_waitcnt lgkmcnt(0)
	v_readfirstlane_b32 s19, v2
	v_readfirstlane_b32 s21, v1
	s_mul_i32 s22, s10, s19
	s_mul_hi_u32 s24, s10, s21
	s_mul_i32 s23, s11, s21
	s_add_i32 s22, s24, s22
	s_add_i32 s22, s22, s23
	s_mul_i32 s25, s10, s21
	s_mul_hi_u32 s23, s21, s22
	s_mul_i32 s24, s21, s22
	s_mul_hi_u32 s21, s21, s25
	s_add_u32 s21, s21, s24
	s_addc_u32 s23, 0, s23
	s_mul_hi_u32 s26, s19, s25
	s_mul_i32 s25, s19, s25
	s_add_u32 s21, s21, s25
	s_mul_hi_u32 s24, s19, s22
	s_addc_u32 s21, s23, s26
	s_addc_u32 s23, s24, 0
	s_mul_i32 s22, s19, s22
	s_add_u32 s21, s21, s22
	s_addc_u32 s22, 0, s23
	v_add_co_u32_e32 v1, vcc, s21, v1
	s_cmp_lg_u64 vcc, 0
	s_addc_u32 s19, s19, s22
	v_readfirstlane_b32 s22, v1
	s_mul_i32 s21, s10, s19
	s_mul_hi_u32 s23, s10, s22
	s_add_i32 s21, s23, s21
	s_mul_i32 s11, s11, s22
	s_add_i32 s21, s21, s11
	s_mul_i32 s10, s10, s22
	s_mul_hi_u32 s23, s19, s10
	s_mul_i32 s24, s19, s10
	s_mul_i32 s26, s22, s21
	s_mul_hi_u32 s10, s22, s10
	s_mul_hi_u32 s25, s22, s21
	s_add_u32 s10, s10, s26
	s_addc_u32 s22, 0, s25
	s_add_u32 s10, s10, s24
	s_mul_hi_u32 s11, s19, s21
	s_addc_u32 s10, s22, s23
	s_addc_u32 s11, s11, 0
	s_mul_i32 s21, s19, s21
	s_add_u32 s10, s10, s21
	s_addc_u32 s11, 0, s11
	v_add_co_u32_e32 v1, vcc, s10, v1
	s_cmp_lg_u64 vcc, 0
	s_addc_u32 s19, s19, s11
	s_ashr_i32 s10, s3, 31
	s_add_u32 s22, s2, s10
	s_mov_b32 s11, s10
	s_addc_u32 s23, s3, s10
	s_xor_b64 s[22:23], s[22:23], s[10:11]
	v_readfirstlane_b32 s21, v1
	s_mul_i32 s11, s22, s19
	s_mul_hi_u32 s24, s22, s21
	s_mul_hi_u32 s3, s22, s19
	s_add_u32 s11, s24, s11
	s_addc_u32 s3, 0, s3
	s_mul_hi_u32 s25, s23, s21
	s_mul_i32 s21, s23, s21
	s_add_u32 s11, s11, s21
	s_mul_hi_u32 s24, s23, s19
	s_addc_u32 s3, s3, s25
	s_addc_u32 s11, s24, 0
	s_mul_i32 s19, s23, s19
	s_add_u32 s3, s3, s19
	s_addc_u32 s11, 0, s11
	s_mul_i32 s11, s9, s11
	s_mul_hi_u32 s24, s9, s3
	s_add_i32 s24, s24, s11
	s_mul_i32 s11, s9, s3
	v_mov_b32_e32 v1, s11
	s_add_u32 s19, s3, 1
	s_add_u32 s21, s3, 2
	v_sub_co_u32_e32 v1, vcc, s22, v1
	s_cmp_lg_u64 vcc, 0
	s_subb_u32 s11, s23, s24
	v_subrev_co_u32_e32 v2, vcc, s9, v1
	s_cmp_lg_u64 vcc, 0
	s_subb_u32 s22, s11, 0
	v_cmp_le_u32_e32 vcc, s9, v2
	s_cmp_eq_u32 s22, 0
	v_cndmask_b32_e64 v2, 0, -1, vcc
	s_cselect_b64 vcc, -1, 0
	v_cndmask_b32_e32 v2, -1, v2, vcc
	v_mov_b32_e32 v3, s19
	v_mov_b32_e32 v4, s21
	v_cmp_ne_u32_e32 vcc, 0, v2
	v_cndmask_b32_e32 v2, v3, v4, vcc
	v_cmp_le_u32_e32 vcc, s9, v1
	s_cmp_eq_u32 s11, 0
	v_cndmask_b32_e64 v1, 0, -1, vcc
	s_cselect_b64 vcc, -1, 0
	v_cndmask_b32_e32 v1, -1, v1, vcc
	v_mov_b32_e32 v3, s3
	v_cmp_ne_u32_e32 vcc, 0, v1
	v_cndmask_b32_e32 v1, v3, v2, vcc
	v_xor_b32_e32 v1, s10, v1
	v_subrev_co_u32_e32 v2, vcc, s10, v1
	s_cbranch_execnz .LBB51_6
.LBB51_5:
	v_cvt_f32_u32_e32 v1, s9
	s_sub_i32 s0, 0, s9
	s_mov_b32 s1, 0
	v_rcp_iflag_f32_e32 v1, v1
	v_mul_f32_e32 v1, 0x4f7ffffe, v1
	v_cvt_u32_f32_e32 v1, v1
	v_readfirstlane_b32 s3, v1
	s_mul_i32 s0, s0, s3
	s_mul_hi_u32 s0, s3, s0
	s_add_i32 s3, s3, s0
	s_mul_hi_u32 s0, s2, s3
	s_mul_i32 s10, s0, s9
	s_sub_i32 s2, s2, s10
	s_add_i32 s3, s0, 1
	s_sub_i32 s10, s2, s9
	s_cmp_ge_u32 s2, s9
	s_cselect_b32 s0, s3, s0
	s_cselect_b32 s2, s10, s2
	s_add_i32 s3, s0, 1
	s_cmp_ge_u32 s2, s9
	s_cselect_b32 s0, s3, s0
	v_pk_mov_b32 v[2:3], s[0:1], s[0:1] op_sel:[0,1]
.LBB51_6:
	s_waitcnt lgkmcnt(0)
	s_mul_hi_u32 s0, s20, s16
	s_add_i32 s0, s0, s20
	v_mul_hi_u32 v1, v2, s16
	s_lshr_b32 s19, s0, s17
	v_add_u32_e32 v1, v1, v2
	s_mul_i32 s0, s19, s18
	v_lshrrev_b32_e32 v1, s17, v1
	s_cmp_eq_u32 s0, s20
	v_cmp_eq_u32_e64 s[0:1], s19, v1
	v_mul_lo_u32 v1, v1, s18
	v_cmp_eq_u32_e32 vcc, s20, v2
	s_cselect_b64 s[10:11], -1, 0
	v_cmp_ne_u32_e64 s[2:3], v1, v2
	s_and_b64 s[0:1], s[0:1], s[2:3]
	s_or_b64 s[2:3], vcc, s[10:11]
	s_or_b64 s[0:1], s[2:3], s[0:1]
	s_and_b64 vcc, exec, s[0:1]
	s_cbranch_vccnz .LBB51_24
; %bb.7:
	s_load_dwordx8 s[24:31], s[4:5], 0x20
	s_load_dword s0, s[4:5], 0x40
	s_mov_b32 s10, 0
	s_waitcnt lgkmcnt(0)
	s_mul_hi_u32 s1, s20, s24
	s_add_i32 s1, s1, s20
	s_lshr_b32 s11, s1, s25
	s_mul_i32 s1, s11, s26
	s_sub_i32 s1, s20, s1
	s_mul_hi_u32 s2, s1, s27
	s_add_i32 s2, s1, s2
	s_lshr_b32 s21, s2, s28
	s_mul_i32 s2, s21, s29
	s_sub_i32 s1, s1, s2
	;; [unrolled: 5-line block ×3, first 2 shown]
	s_mul_hi_u32 s1, s0, s16
	s_add_i32 s0, s0, s1
	s_lshr_b32 s22, s0, s17
	s_lshl_b32 s23, s2, 1
	s_add_i32 s22, s22, s7
	s_cmp_lt_i32 s22, s12
	s_cselect_b64 s[0:1], -1, 0
	s_add_i32 s23, s23, s8
	s_cmp_lt_i32 s23, s14
	s_cselect_b64 s[2:3], -1, 0
	s_and_b64 s[0:1], s[0:1], s[2:3]
	s_andn2_b64 vcc, exec, s[0:1]
	s_cbranch_vccnz .LBB51_24
; %bb.8:
	s_load_dwordx4 s[0:3], s[4:5], 0x0
	s_lshl_b32 s4, s9, 3
	s_mov_b32 s5, s10
	s_lshl_b64 s[4:5], s[4:5], 2
	s_mul_i32 s24, s21, s14
	s_waitcnt lgkmcnt(0)
	s_add_u32 s14, s2, s4
	s_mul_i32 s11, s11, s12
	s_addc_u32 s21, s3, s5
	s_add_i32 s4, s22, s11
	s_mul_i32 s4, s4, s13
	s_add_i32 s5, s23, s24
	s_add_i32 s5, s5, s4
	v_lshl_or_b32 v2, s5, 7, v0
	v_ashrrev_i32_e32 v3, 31, v2
	v_lshlrev_b64 v[2:3], 2, v[2:3]
	v_mov_b32_e32 v1, s1
	v_add_co_u32_e32 v2, vcc, s0, v2
	v_addc_co_u32_e32 v3, vcc, v1, v3, vcc
	global_load_dword v5, v[2:3], off
	v_lshl_or_b32 v4, s8, 7, v0
	v_cvt_f32_u32_e32 v0, s9
	v_cvt_f32_ubyte0_e32 v1, 0
	s_add_i32 s0, s7, s6
	s_lshl_b32 s0, s0, 1
	v_mac_f32_e32 v0, 0x4f800000, v1
	v_rcp_f32_e32 v0, v0
	v_cvt_f32_u32_e32 v1, s9
	s_add_i32 s0, s0, s8
	s_ashr_i32 s1, s0, 31
	s_lshl_b64 s[0:1], s[0:1], 3
	v_mul_f32_e32 v0, 0x5f7ffffc, v0
	v_rcp_iflag_f32_e32 v1, v1
	s_add_u32 s0, s2, s0
	v_mul_f32_e32 v9, 0x2f800000, v0
	s_addc_u32 s1, s3, s1
	v_trunc_f32_e32 v10, v9
	s_load_dwordx2 s[0:1], s[0:1], 0x0
	v_mac_f32_e32 v0, 0xcf800000, v10
	v_cvt_u32_f32_e32 v9, v0
	v_mul_f32_e32 v0, 0x4f7ffffe, v1
	v_cvt_u32_f32_e32 v10, v10
	v_cvt_u32_f32_e32 v11, v0
	s_add_i32 s13, s6, -1
	s_waitcnt lgkmcnt(0)
	v_mov_b32_e32 v6, s1
	v_mov_b32_e32 v7, s0
	;; [unrolled: 1-line block ×3, first 2 shown]
	s_mov_b32 s6, 0x3fb8aa3b
	s_mov_b32 s12, 0xc2ce8ed0
	;; [unrolled: 1-line block ×4, first 2 shown]
	v_mov_b32_e32 v12, 0x7f800000
	s_mul_hi_i32 s11, s13, s15
	s_cmp_lg_u64 s[10:11], 0
	s_mul_i32 s4, s13, s15
	s_cbranch_scc0 .LBB51_15
.LBB51_9:
	s_sub_u32 s0, 0, s9
	v_readfirstlane_b32 s5, v9
	v_readfirstlane_b32 s25, v10
	s_subb_u32 s1, 0, 0
	s_mul_hi_u32 s24, s0, s5
	s_mul_i32 s26, s0, s25
	s_mul_i32 s23, s1, s5
	s_add_i32 s24, s24, s26
	s_add_i32 s24, s24, s23
	s_mul_i32 s27, s0, s5
	s_mul_hi_u32 s23, s5, s24
	s_mul_i32 s26, s5, s24
	s_mul_hi_u32 s5, s5, s27
	s_add_u32 s5, s5, s26
	s_addc_u32 s23, 0, s23
	s_mul_hi_u32 s28, s25, s27
	s_mul_i32 s27, s25, s27
	s_add_u32 s5, s5, s27
	s_mul_hi_u32 s26, s25, s24
	s_addc_u32 s5, s23, s28
	s_addc_u32 s23, s26, 0
	s_mul_i32 s24, s25, s24
	s_add_u32 s5, s5, s24
	s_addc_u32 s23, 0, s23
	v_add_co_u32_e32 v0, vcc, s5, v9
	s_cmp_lg_u64 vcc, 0
	s_addc_u32 s5, s25, s23
	v_readfirstlane_b32 s24, v0
	s_mul_i32 s23, s0, s5
	s_mul_hi_u32 s25, s0, s24
	s_add_i32 s23, s25, s23
	s_mul_i32 s1, s1, s24
	s_add_i32 s23, s23, s1
	s_mul_i32 s0, s0, s24
	s_mul_hi_u32 s25, s5, s0
	s_mul_i32 s26, s5, s0
	s_mul_i32 s28, s24, s23
	s_mul_hi_u32 s0, s24, s0
	s_mul_hi_u32 s27, s24, s23
	s_add_u32 s0, s0, s28
	s_addc_u32 s24, 0, s27
	s_add_u32 s0, s0, s26
	s_mul_hi_u32 s1, s5, s23
	s_addc_u32 s0, s24, s25
	s_addc_u32 s1, s1, 0
	s_mul_i32 s23, s5, s23
	s_add_u32 s0, s0, s23
	s_addc_u32 s1, 0, s1
	v_add_co_u32_e32 v0, vcc, s0, v0
	s_cmp_lg_u64 vcc, 0
	s_addc_u32 s5, s5, s1
	s_ashr_i32 s0, s11, 31
	s_add_u32 s24, s4, s0
	s_mov_b32 s1, s0
	s_addc_u32 s25, s11, s0
	s_xor_b64 s[24:25], s[24:25], s[0:1]
	v_readfirstlane_b32 s23, v0
	s_mul_i32 s11, s24, s5
	s_mul_hi_u32 s26, s24, s23
	s_mul_hi_u32 s1, s24, s5
	s_add_u32 s11, s26, s11
	s_addc_u32 s1, 0, s1
	s_mul_hi_u32 s27, s25, s23
	s_mul_i32 s23, s25, s23
	s_add_u32 s11, s11, s23
	s_mul_hi_u32 s26, s25, s5
	s_addc_u32 s1, s1, s27
	s_addc_u32 s11, s26, 0
	s_mul_i32 s5, s25, s5
	s_add_u32 s1, s1, s5
	s_addc_u32 s5, 0, s11
	s_mul_i32 s5, s9, s5
	s_mul_hi_u32 s26, s9, s1
	s_add_i32 s26, s26, s5
	s_mul_i32 s5, s9, s1
	v_mov_b32_e32 v0, s5
	s_add_u32 s11, s1, 1
	s_add_u32 s23, s1, 2
	v_sub_co_u32_e32 v0, vcc, s24, v0
	s_cmp_lg_u64 vcc, 0
	s_subb_u32 s5, s25, s26
	v_subrev_co_u32_e32 v1, vcc, s9, v0
	s_cmp_lg_u64 vcc, 0
	s_subb_u32 s24, s5, 0
	v_cmp_le_u32_e32 vcc, s9, v1
	s_cmp_eq_u32 s24, 0
	v_cndmask_b32_e64 v1, 0, -1, vcc
	s_cselect_b64 vcc, -1, 0
	v_cndmask_b32_e32 v1, -1, v1, vcc
	v_mov_b32_e32 v13, s11
	v_mov_b32_e32 v14, s23
	v_cmp_ne_u32_e32 vcc, 0, v1
	v_cndmask_b32_e32 v1, v13, v14, vcc
	v_cmp_le_u32_e32 vcc, s9, v0
	s_cmp_eq_u32 s5, 0
	v_cndmask_b32_e64 v0, 0, -1, vcc
	s_cselect_b64 vcc, -1, 0
	v_cndmask_b32_e32 v0, -1, v0, vcc
	v_mov_b32_e32 v13, s1
	v_cmp_ne_u32_e32 vcc, 0, v0
	v_cndmask_b32_e32 v0, v13, v1, vcc
	v_xor_b32_e32 v0, s0, v0
	v_subrev_co_u32_e32 v0, vcc, s0, v0
	s_cbranch_execnz .LBB51_11
.LBB51_10:
	s_sub_i32 s0, 0, s9
	v_mul_lo_u32 v0, s0, v11
	v_mul_hi_u32 v0, v11, v0
	v_add_u32_e32 v0, v11, v0
	v_mul_hi_u32 v0, s4, v0
	v_mul_lo_u32 v13, v0, s9
	v_sub_u32_e32 v13, s4, v13
	v_add_u32_e32 v1, 1, v0
	v_subrev_u32_e32 v14, s9, v13
	v_cmp_le_u32_e32 vcc, s9, v13
	v_cndmask_b32_e32 v13, v13, v14, vcc
	v_cndmask_b32_e32 v0, v0, v1, vcc
	v_add_u32_e32 v1, 1, v0
	v_cmp_le_u32_e32 vcc, s9, v13
	v_cndmask_b32_e32 v0, v0, v1, vcc
.LBB51_11:
	v_cmp_ne_u32_e32 vcc, v8, v0
	s_cbranch_vccz .LBB51_14
; %bb.12:
	s_add_i32 s23, s13, s7
	s_add_i32 s0, s23, s9
	s_lshl_b32 s0, s0, 1
	v_mul_hi_u32 v1, v0, s16
	s_add_i32 s0, s0, s8
	s_mov_b32 s1, s10
	v_add_u32_e32 v1, v1, v0
	s_lshl_b64 s[0:1], s[0:1], 3
	v_lshrrev_b32_e32 v1, s17, v1
	s_add_u32 s4, s2, s0
	v_mul_lo_u32 v13, v1, s18
	s_addc_u32 s5, s3, s1
	v_cmp_eq_u32_e32 vcc, v13, v0
	v_cmp_gt_u32_e64 s[0:1], s19, v1
	s_or_b64 s[0:1], s[0:1], vcc
	s_and_b64 vcc, exec, s[0:1]
	s_cbranch_vccnz .LBB51_16
; %bb.13:
	s_add_i32 s11, s13, -1
	s_mov_b64 s[0:1], 0
	s_branch .LBB51_17
.LBB51_14:
                                        ; implicit-def: $sgpr0_sgpr1
                                        ; implicit-def: $vgpr14
                                        ; implicit-def: $vgpr1
                                        ; implicit-def: $vgpr13
                                        ; implicit-def: $sgpr11
                                        ; implicit-def: $vgpr0
	s_branch .LBB51_18
.LBB51_15:
                                        ; implicit-def: $vgpr0_vgpr1
	s_branch .LBB51_10
.LBB51_16:
	s_mov_b64 s[0:1], -1
	s_mov_b32 s11, s13
	v_mov_b32_e32 v0, v8
.LBB51_17:
	v_lshl_add_u32 v14, s23, 8, v4
	v_ashrrev_i32_e32 v15, 31, v14
	v_lshlrev_b64 v[14:15], 2, v[14:15]
	v_mov_b32_e32 v1, s21
	v_add_co_u32_e32 v14, vcc, s14, v14
	v_addc_co_u32_e32 v15, vcc, v1, v15, vcc
	global_load_dword v14, v[14:15], off
	s_load_dwordx2 s[4:5], s[4:5], 0x0
	v_max_f32_e32 v1, v7, v7
	s_waitcnt lgkmcnt(0)
	v_max_f32_e64 v13, s4, s4
	v_max_f32_e32 v1, v1, v13
	v_sub_f32_e32 v13, v7, v1
	v_sub_f32_e32 v15, s4, v1
	v_mul_f32_e32 v16, 0x3fb8aa3b, v13
	v_mul_f32_e32 v17, 0x3fb8aa3b, v15
	v_fma_f32 v18, v13, s6, -v16
	v_rndne_f32_e32 v19, v16
	v_fma_f32 v20, v15, s6, -v17
	v_rndne_f32_e32 v21, v17
	v_fmac_f32_e32 v18, 0x32a5705f, v13
	v_sub_f32_e32 v16, v16, v19
	v_fmac_f32_e32 v20, 0x32a5705f, v15
	v_sub_f32_e32 v17, v17, v21
	v_add_f32_e32 v16, v16, v18
	v_cvt_i32_f32_e32 v19, v19
	v_add_f32_e32 v17, v17, v20
	v_exp_f32_e32 v16, v16
	v_cvt_i32_f32_e32 v21, v21
	v_exp_f32_e32 v17, v17
	v_cmp_ngt_f32_e32 vcc, s12, v13
	v_ldexp_f32 v16, v16, v19
	v_cndmask_b32_e32 v16, 0, v16, vcc
	v_ldexp_f32 v17, v17, v21
	v_cmp_ngt_f32_e32 vcc, s12, v15
	v_cndmask_b32_e32 v17, 0, v17, vcc
	v_cmp_nlt_f32_e32 vcc, s20, v13
	v_cndmask_b32_e32 v16, v12, v16, vcc
	v_cmp_nlt_f32_e32 vcc, s20, v15
	v_cndmask_b32_e32 v17, v12, v17, vcc
	v_cmp_le_f32_e32 vcc, s22, v13
	v_cndmask_b32_e32 v16, 0, v16, vcc
	v_cmp_le_f32_e32 vcc, s22, v15
	v_cndmask_b32_e32 v15, 0, v17, vcc
	v_mul_f32_e32 v13, s5, v15
	v_fmac_f32_e32 v13, v6, v16
	s_waitcnt vmcnt(0)
	v_mul_f32_e32 v14, v14, v15
	v_fmac_f32_e32 v14, v5, v16
	s_cbranch_execnz .LBB51_19
.LBB51_18:
	s_add_i32 s11, s13, -1
	s_mov_b64 s[0:1], 0
	v_mov_b32_e32 v0, v8
	v_mov_b32_e32 v13, v6
	;; [unrolled: 1-line block ×3, first 2 shown]
	s_waitcnt vmcnt(0)
	v_mov_b32_e32 v14, v5
.LBB51_19:
	s_andn2_b64 vcc, exec, s[0:1]
	s_cbranch_vccz .LBB51_23
; %bb.20:
	v_mov_b32_e32 v8, v0
	s_mov_b32 s13, s11
	v_mov_b32_e32 v6, v13
	v_mov_b32_e32 v7, v1
	s_waitcnt vmcnt(0)
	v_mov_b32_e32 v5, v14
	s_mul_hi_i32 s11, s13, s15
	s_cmp_lg_u64 s[10:11], 0
	s_mul_i32 s4, s13, s15
	s_cbranch_scc1 .LBB51_9
	s_branch .LBB51_15
.LBB51_21:
                                        ; implicit-def: $sgpr20_sgpr21
	s_load_dwordx4 s[16:19], s[4:5], 0x44
	s_branch .LBB51_2
.LBB51_22:
                                        ; implicit-def: $vgpr2_vgpr3
	s_branch .LBB51_5
.LBB51_23:
	v_div_scale_f32 v0, s[0:1], v13, v13, v14
	v_rcp_f32_e32 v1, v0
	v_div_scale_f32 v4, vcc, v14, v13, v14
	s_waitcnt vmcnt(0)
	v_fma_f32 v5, -v0, v1, 1.0
	v_fmac_f32_e32 v1, v5, v1
	v_mul_f32_e32 v5, v4, v1
	v_fma_f32 v6, -v0, v5, v4
	v_fmac_f32_e32 v5, v6, v1
	v_fma_f32 v0, -v0, v5, v4
	v_div_fmas_f32 v0, v0, v1, v5
	v_div_fixup_f32 v0, v0, v13, v14
	global_store_dword v[2:3], v0, off
.LBB51_24:
	s_endpgm
	.section	.rodata,"a",@progbits
	.p2align	6, 0x0
	.amdhsa_kernel _ZL33flash_attn_stream_k_fixup_generalILi128ELi1ELi2EEvPfPK15HIP_vector_typeIfLj2EEiiiiS1_IjLj3EES5_S5_S5_
		.amdhsa_group_segment_fixed_size 0
		.amdhsa_private_segment_fixed_size 0
		.amdhsa_kernarg_size 336
		.amdhsa_user_sgpr_count 6
		.amdhsa_user_sgpr_private_segment_buffer 1
		.amdhsa_user_sgpr_dispatch_ptr 0
		.amdhsa_user_sgpr_queue_ptr 0
		.amdhsa_user_sgpr_kernarg_segment_ptr 1
		.amdhsa_user_sgpr_dispatch_id 0
		.amdhsa_user_sgpr_flat_scratch_init 0
		.amdhsa_user_sgpr_kernarg_preload_length 0
		.amdhsa_user_sgpr_kernarg_preload_offset 0
		.amdhsa_user_sgpr_private_segment_size 0
		.amdhsa_uses_dynamic_stack 0
		.amdhsa_system_sgpr_private_segment_wavefront_offset 0
		.amdhsa_system_sgpr_workgroup_id_x 1
		.amdhsa_system_sgpr_workgroup_id_y 1
		.amdhsa_system_sgpr_workgroup_id_z 1
		.amdhsa_system_sgpr_workgroup_info 0
		.amdhsa_system_vgpr_workitem_id 0
		.amdhsa_next_free_vgpr 22
		.amdhsa_next_free_sgpr 32
		.amdhsa_accum_offset 24
		.amdhsa_reserve_vcc 1
		.amdhsa_reserve_flat_scratch 0
		.amdhsa_float_round_mode_32 0
		.amdhsa_float_round_mode_16_64 0
		.amdhsa_float_denorm_mode_32 3
		.amdhsa_float_denorm_mode_16_64 3
		.amdhsa_dx10_clamp 1
		.amdhsa_ieee_mode 1
		.amdhsa_fp16_overflow 0
		.amdhsa_tg_split 0
		.amdhsa_exception_fp_ieee_invalid_op 0
		.amdhsa_exception_fp_denorm_src 0
		.amdhsa_exception_fp_ieee_div_zero 0
		.amdhsa_exception_fp_ieee_overflow 0
		.amdhsa_exception_fp_ieee_underflow 0
		.amdhsa_exception_fp_ieee_inexact 0
		.amdhsa_exception_int_div_zero 0
	.end_amdhsa_kernel
	.section	.text._ZL33flash_attn_stream_k_fixup_generalILi128ELi1ELi2EEvPfPK15HIP_vector_typeIfLj2EEiiiiS1_IjLj3EES5_S5_S5_,"axG",@progbits,_ZL33flash_attn_stream_k_fixup_generalILi128ELi1ELi2EEvPfPK15HIP_vector_typeIfLj2EEiiiiS1_IjLj3EES5_S5_S5_,comdat
.Lfunc_end51:
	.size	_ZL33flash_attn_stream_k_fixup_generalILi128ELi1ELi2EEvPfPK15HIP_vector_typeIfLj2EEiiiiS1_IjLj3EES5_S5_S5_, .Lfunc_end51-_ZL33flash_attn_stream_k_fixup_generalILi128ELi1ELi2EEvPfPK15HIP_vector_typeIfLj2EEiiiiS1_IjLj3EES5_S5_S5_
                                        ; -- End function
	.section	.AMDGPU.csdata,"",@progbits
; Kernel info:
; codeLenInByte = 2804
; NumSgprs: 36
; NumVgprs: 22
; NumAgprs: 0
; TotalNumVgprs: 22
; ScratchSize: 0
; MemoryBound: 0
; FloatMode: 240
; IeeeMode: 1
; LDSByteSize: 0 bytes/workgroup (compile time only)
; SGPRBlocks: 4
; VGPRBlocks: 2
; NumSGPRsForWavesPerEU: 36
; NumVGPRsForWavesPerEU: 22
; AccumOffset: 24
; Occupancy: 8
; WaveLimiterHint : 0
; COMPUTE_PGM_RSRC2:SCRATCH_EN: 0
; COMPUTE_PGM_RSRC2:USER_SGPR: 6
; COMPUTE_PGM_RSRC2:TRAP_HANDLER: 0
; COMPUTE_PGM_RSRC2:TGID_X_EN: 1
; COMPUTE_PGM_RSRC2:TGID_Y_EN: 1
; COMPUTE_PGM_RSRC2:TGID_Z_EN: 1
; COMPUTE_PGM_RSRC2:TIDIG_COMP_CNT: 0
; COMPUTE_PGM_RSRC3_GFX90A:ACCUM_OFFSET: 5
; COMPUTE_PGM_RSRC3_GFX90A:TG_SPLIT: 0
	.section	.text._ZL15flash_attn_tileILi128ELi128ELi64ELi1ELb0EEvPKcS1_S1_S1_S1_PKiPfP15HIP_vector_typeIfLj2EEffffjfiS5_IjLj3EEiiiiiiiiiiiliiliiiiil,"axG",@progbits,_ZL15flash_attn_tileILi128ELi128ELi64ELi1ELb0EEvPKcS1_S1_S1_S1_PKiPfP15HIP_vector_typeIfLj2EEffffjfiS5_IjLj3EEiiiiiiiiiiiliiliiiiil,comdat
	.globl	_ZL15flash_attn_tileILi128ELi128ELi64ELi1ELb0EEvPKcS1_S1_S1_S1_PKiPfP15HIP_vector_typeIfLj2EEffffjfiS5_IjLj3EEiiiiiiiiiiiliiliiiiil ; -- Begin function _ZL15flash_attn_tileILi128ELi128ELi64ELi1ELb0EEvPKcS1_S1_S1_S1_PKiPfP15HIP_vector_typeIfLj2EEffffjfiS5_IjLj3EEiiiiiiiiiiiliiliiiiil
	.p2align	8
	.type	_ZL15flash_attn_tileILi128ELi128ELi64ELi1ELb0EEvPKcS1_S1_S1_S1_PKiPfP15HIP_vector_typeIfLj2EEffffjfiS5_IjLj3EEiiiiiiiiiiiliiliiiiil,@function
_ZL15flash_attn_tileILi128ELi128ELi64ELi1ELb0EEvPKcS1_S1_S1_S1_PKiPfP15HIP_vector_typeIfLj2EEffffjfiS5_IjLj3EEiiiiiiiiiiiliiliiiiil: ; @_ZL15flash_attn_tileILi128ELi128ELi64ELi1ELb0EEvPKcS1_S1_S1_S1_PKiPfP15HIP_vector_typeIfLj2EEffffjfiS5_IjLj3EEiiiiiiiiiiiliiliiiiil
; %bb.0:
	s_load_dwordx4 s[36:39], s[4:5], 0x5c
	s_load_dwordx2 s[44:45], s[4:5], 0x80
	s_add_u32 flat_scratch_lo, s6, s11
	s_addc_u32 flat_scratch_hi, s7, 0
	s_add_u32 s0, s0, s11
	s_waitcnt lgkmcnt(0)
	v_cvt_f32_u32_e32 v1, s39
	s_addc_u32 s1, s1, 0
	s_sub_i32 s6, 0, s39
	s_load_dwordx16 s[16:31], s[4:5], 0x0
	v_rcp_iflag_f32_e32 v1, v1
	s_load_dwordx2 s[46:47], s[4:5], 0xb8
	s_mov_b64 s[14:15], 0
	v_mul_f32_e32 v1, 0x4f7ffffe, v1
	v_cvt_u32_f32_e32 v1, v1
	v_readfirstlane_b32 s7, v1
	s_mul_i32 s6, s6, s7
	s_mul_hi_u32 s6, s7, s6
	s_add_i32 s7, s7, s6
	s_mul_hi_u32 s6, s10, s7
	s_mul_i32 s7, s6, s39
	s_sub_i32 s7, s10, s7
	s_add_i32 s11, s6, 1
	s_sub_i32 s12, s7, s39
	s_cmp_ge_u32 s7, s39
	s_cselect_b32 s6, s11, s6
	s_cselect_b32 s7, s12, s7
	s_add_i32 s11, s6, 1
	s_cmp_ge_u32 s7, s39
	s_cselect_b32 s33, s11, s6
	s_abs_i32 s6, s45
	v_cvt_f32_u32_e32 v1, s6
	s_mul_i32 s12, s33, s39
	s_sub_i32 s13, 0, s6
	s_sub_i32 s34, s10, s12
	v_rcp_iflag_f32_e32 v1, v1
	s_abs_i32 s11, s39
	s_xor_b32 s7, s39, s45
	s_ashr_i32 s7, s7, 31
	v_mul_f32_e32 v1, 0x4f7ffffe, v1
	v_cvt_u32_f32_e32 v1, v1
	v_readfirstlane_b32 s10, v1
	s_mul_i32 s13, s13, s10
	s_mul_hi_u32 s12, s10, s13
	s_add_i32 s10, s10, s12
	s_mul_hi_u32 s10, s11, s10
	s_mul_i32 s12, s10, s6
	s_sub_i32 s11, s11, s12
	s_add_i32 s13, s10, 1
	s_sub_i32 s12, s11, s6
	s_cmp_ge_u32 s11, s6
	s_cselect_b32 s10, s13, s10
	s_cselect_b32 s11, s12, s11
	s_add_i32 s12, s10, 1
	s_cmp_ge_u32 s11, s6
	s_cselect_b32 s6, s12, s10
	s_xor_b32 s6, s6, s7
	s_sub_i32 s49, s6, s7
	s_abs_i32 s45, s49
	v_cvt_f32_u32_e32 v1, s45
	s_sub_i32 s6, 0, s45
	s_abs_i32 s48, s34
	v_rcp_iflag_f32_e32 v1, v1
	v_mul_f32_e32 v1, 0x4f7ffffe, v1
	v_cvt_u32_f32_e32 v1, v1
	v_readfirstlane_b32 s7, v1
	s_mul_i32 s6, s6, s7
	s_mul_hi_u32 s6, s7, s6
	s_add_i32 s6, s7, s6
	s_waitcnt lgkmcnt(0)
	s_cmp_eq_u64 s[22:23], 0
	s_cbranch_scc1 .LBB52_2
; %bb.1:
	s_abs_i32 s7, s46
	v_cvt_f32_u32_e32 v1, s7
	s_sub_i32 s14, 0, s7
	s_abs_i32 s13, s33
	s_ashr_i32 s12, s33, 31
	v_rcp_iflag_f32_e32 v1, v1
	s_load_dwordx2 s[10:11], s[4:5], 0xc8
	v_mul_f32_e32 v1, 0x4f7ffffe, v1
	v_cvt_u32_f32_e32 v1, v1
	v_readfirstlane_b32 s15, v1
	s_mul_i32 s14, s14, s15
	s_mul_hi_u32 s14, s15, s14
	s_add_i32 s15, s15, s14
	s_mul_hi_u32 s14, s13, s15
	s_mul_i32 s14, s14, s7
	s_sub_i32 s13, s13, s14
	s_sub_i32 s14, s13, s7
	s_cmp_ge_u32 s13, s7
	s_cselect_b32 s13, s14, s13
	s_sub_i32 s14, s13, s7
	s_cmp_ge_u32 s13, s7
	s_cselect_b32 s7, s14, s13
	s_xor_b32 s7, s7, s12
	s_sub_i32 s7, s7, s12
	s_ashr_i32 s12, s7, 31
	s_waitcnt lgkmcnt(0)
	s_mul_i32 s11, s7, s11
	s_mul_hi_u32 s13, s7, s10
	s_add_i32 s11, s13, s11
	s_mul_i32 s12, s12, s10
	s_add_i32 s11, s11, s12
	s_mul_i32 s7, s7, s10
	s_add_u32 s14, s22, s7
	s_addc_u32 s15, s23, s11
.LBB52_2:
	s_load_dwordx4 s[40:43], s[4:5], 0x40
	s_mul_hi_u32 s46, s48, s6
	s_load_dword s6, s[4:5], 0x50
	v_mov_b32_e32 v62, 1.0
	s_waitcnt lgkmcnt(0)
	v_cmp_le_f32_e64 s[10:11], s41, 0
	s_and_b64 vcc, exec, s[10:11]
	s_cbranch_vccnz .LBB52_4
; %bb.3:
	s_sub_i32 s7, s34, s6
	s_lshl_b32 s7, s7, 1
	s_add_i32 s10, s34, 1
	s_or_b32 s11, s7, 1
	s_cmp_lt_u32 s34, s6
	s_cselect_b64 vcc, -1, 0
	s_and_b64 s[6:7], vcc, exec
	v_mov_b32_e32 v1, s43
	v_mov_b32_e32 v2, s42
	s_cselect_b32 s6, s10, s11
	v_cndmask_b32_e32 v18, v1, v2, vcc
	v_cvt_f32_i32_e32 v1, s6
	v_cmp_neq_f32_e32 vcc, 1.0, v18
	s_mov_b32 s6, 0x3f2aaaab
	s_movk_i32 s10, 0x204
	v_cndmask_b32_e32 v19, 1.0, v1, vcc
	v_cmp_eq_f32_e32 vcc, 0, v19
	v_cndmask_b32_e64 v20, |v18|, 1.0, vcc
	v_frexp_mant_f32_e32 v1, v20
	v_cmp_gt_f32_e64 s[6:7], s6, v1
	v_cndmask_b32_e64 v2, 1.0, 2.0, s[6:7]
	v_mul_f32_e32 v1, v1, v2
	v_add_f32_e32 v2, 1.0, v1
	v_rcp_f32_e32 v10, v2
	v_add_f32_e32 v3, -1.0, v2
	v_sub_f32_e32 v5, v1, v3
	v_add_f32_e32 v3, -1.0, v1
	v_mul_f32_e32 v1, v3, v10
	v_mul_f32_e32 v4, v2, v1
	v_fma_f32 v6, v1, v2, -v4
	v_fmac_f32_e32 v6, v1, v5
	v_add_f32_e32 v2, v4, v6
	v_sub_f32_e32 v5, v3, v2
	v_pk_add_f32 v[8:9], v[2:3], v[4:5] neg_lo:[0,1] neg_hi:[0,1]
	v_mov_b32_e32 v7, v2
	v_pk_add_f32 v[2:3], v[8:9], v[6:7] neg_lo:[0,1] neg_hi:[0,1]
	v_add_f32_e32 v2, v2, v3
	v_add_f32_e32 v2, v5, v2
	v_mul_f32_e32 v3, v10, v2
	v_add_f32_e32 v2, v1, v3
	v_sub_f32_e32 v1, v2, v1
	v_sub_f32_e32 v1, v3, v1
	v_mul_f32_e32 v3, v2, v2
	v_fma_f32 v5, v2, v2, -v3
	v_add_f32_e32 v4, v1, v1
	v_fmac_f32_e32 v5, v2, v4
	v_add_f32_e32 v4, v3, v5
	v_mov_b32_e32 v6, 0x3e91f4c4
	v_fmac_f32_e32 v6, 0x3e76c4e1, v4
	v_mov_b32_e32 v7, 0x3ecccdef
	v_fmac_f32_e32 v7, v4, v6
	v_sub_f32_e32 v3, v4, v3
	v_sub_f32_e32 v12, v5, v3
	v_mul_f32_e32 v3, v4, v7
	v_fma_f32 v5, v4, v7, -v3
	v_fmac_f32_e32 v5, v12, v7
	v_add_f32_e32 v6, v3, v5
	v_add_f32_e32 v7, 0x3f2aaaaa, v6
	v_sub_f32_e32 v3, v6, v3
	v_sub_f32_e32 v3, v5, v3
	v_add_f32_e32 v5, 0xbf2aaaaa, v7
	v_add_f32_e32 v3, 0x31739010, v3
	v_sub_f32_e32 v5, v6, v5
	v_pk_mul_f32 v[8:9], v[2:3], v[4:5]
	v_fma_f32 v6, v4, v2, -v8
	v_pk_add_f32 v[10:11], v[2:3], v[4:5]
	v_fmac_f32_e32 v6, v4, v1
	v_mov_b32_e32 v9, v11
	v_fmac_f32_e32 v6, v12, v2
	v_pk_add_f32 v[4:5], v[8:9], v[6:7]
	v_sub_f32_e32 v3, v4, v8
	v_sub_f32_e32 v3, v6, v3
	;; [unrolled: 1-line block ×3, first 2 shown]
	v_add_f32_e32 v9, v11, v6
	v_mov_b32_e32 v6, v5
	v_pk_mul_f32 v[6:7], v[4:5], v[6:7]
	v_cvt_f64_f32_e32 v[10:11], v20
	v_frexp_exp_i32_f64_e32 v7, v[10:11]
	v_subbrev_co_u32_e64 v7, s[6:7], 0, v7, s[6:7]
	v_cvt_f32_i32_e32 v7, v7
	v_fma_f32 v8, v4, v5, -v6
	v_fmac_f32_e32 v8, v4, v9
	s_mov_b32 s6, 0x3f317218
	v_mul_f32_e32 v4, 0x3f317218, v7
	v_fmac_f32_e32 v8, v3, v5
	v_fma_f32 v10, v7, s6, -v4
	v_fmac_f32_e32 v10, 0xb102e308, v7
	v_ldexp_f32 v11, v2, 1
	v_add_f32_e32 v5, v6, v8
	v_pk_add_f32 v[2:3], v[4:5], v[10:11]
	v_mov_b32_e32 v12, v5
	v_mov_b32_e32 v13, v3
	;; [unrolled: 1-line block ×3, first 2 shown]
	v_pk_add_f32 v[6:7], v[12:13], v[6:7] neg_lo:[0,1] neg_hi:[0,1]
	v_mov_b32_e32 v9, v5
	v_ldexp_f32 v1, v1, 1
	v_pk_add_f32 v[6:7], v[8:9], v[6:7] neg_lo:[0,1] neg_hi:[0,1]
	v_add_f32_e32 v1, v1, v6
	v_add_f32_e32 v5, v1, v7
	v_pk_add_f32 v[6:7], v[2:3], v[4:5] neg_lo:[0,1] neg_hi:[0,1]
	v_pk_add_f32 v[8:9], v[2:3], v[4:5]
	v_mov_b32_e32 v12, v6
	v_mov_b32_e32 v13, v9
	;; [unrolled: 1-line block ×3, first 2 shown]
	v_pk_add_f32 v[12:13], v[10:11], v[12:13]
	v_mov_b32_e32 v4, v13
	v_pk_add_f32 v[14:15], v[4:5], v[2:3] neg_lo:[0,1] neg_hi:[0,1]
	v_mov_b32_e32 v1, v14
	v_mov_b32_e32 v12, v9
	;; [unrolled: 1-line block ×4, first 2 shown]
	v_pk_add_f32 v[6:7], v[10:11], v[6:7] neg_lo:[0,1] neg_hi:[0,1]
	v_pk_add_f32 v[16:17], v[8:9], v[0:1] neg_lo:[0,1] neg_hi:[0,1]
	;; [unrolled: 1-line block ×3, first 2 shown]
	v_mov_b32_e32 v10, v5
	v_pk_add_f32 v[2:3], v[10:11], v[2:3] neg_lo:[0,1] neg_hi:[0,1]
	v_mov_b32_e32 v16, v6
	v_pk_add_f32 v[8:9], v[16:17], v[2:3]
	v_mov_b32_e32 v10, v9
	v_pk_add_f32 v[10:11], v[8:9], v[10:11]
	v_pk_add_f32 v[4:5], v[4:5], v[10:11]
	v_mov_b32_e32 v7, v13
	v_mov_b32_e32 v9, v4
	v_pk_add_f32 v[12:13], v[8:9], v[6:7] neg_lo:[0,1] neg_hi:[0,1]
	v_mov_b32_e32 v3, v10
	v_sub_f32_e32 v1, v8, v12
	v_pk_add_f32 v[2:3], v[2:3], v[12:13] neg_lo:[0,1] neg_hi:[0,1]
	v_sub_f32_e32 v1, v6, v1
	v_add_f32_e32 v1, v2, v1
	v_add_f32_e32 v1, v1, v3
	;; [unrolled: 1-line block ×3, first 2 shown]
	v_sub_f32_e32 v3, v2, v4
	v_sub_f32_e32 v1, v1, v3
	v_mul_f32_e32 v3, v19, v2
	v_fma_f32 v2, v19, v2, -v3
	v_fmac_f32_e32 v2, v19, v1
	v_add_f32_e32 v1, v3, v2
	v_cmp_class_f32_e64 s[6:7], v3, s10
	v_sub_f32_e32 v4, v1, v3
	v_cndmask_b32_e64 v1, v1, v3, s[6:7]
	s_mov_b32 s12, 0x42b17218
	v_mov_b32_e32 v3, 0x37000000
	v_cmp_eq_f32_e64 s[6:7], s12, v1
	v_cndmask_b32_e64 v3, 0, v3, s[6:7]
	v_sub_f32_e32 v2, v2, v4
	v_sub_f32_e32 v4, v1, v3
	s_mov_b32 s6, 0x3fb8aa3b
	v_mul_f32_e32 v5, 0x3fb8aa3b, v4
	v_fma_f32 v6, v4, s6, -v5
	v_rndne_f32_e32 v7, v5
	v_fmac_f32_e32 v6, 0x32a5705f, v4
	v_sub_f32_e32 v5, v5, v7
	v_add_f32_e32 v5, v5, v6
	v_exp_f32_e32 v5, v5
	v_cvt_i32_f32_e32 v6, v7
	s_mov_b32 s11, 0x7f800000
	v_cmp_neq_f32_e64 s[6:7], |v1|, s11
	v_cndmask_b32_e64 v1, 0, v2, s[6:7]
	s_mov_b32 s6, 0xc2ce8ed0
	v_ldexp_f32 v2, v5, v6
	v_cmp_ngt_f32_e64 s[6:7], s6, v4
	v_add_f32_e32 v1, v3, v1
	v_cndmask_b32_e64 v2, 0, v2, s[6:7]
	v_mov_b32_e32 v3, 0x7f800000
	v_cmp_nlt_f32_e64 s[6:7], s12, v4
	v_cndmask_b32_e64 v2, v3, v2, s[6:7]
	v_fma_f32 v1, v2, v1, v2
	v_cmp_class_f32_e64 s[6:7], v2, s10
	v_trunc_f32_e32 v4, v19
	v_cndmask_b32_e64 v1, v1, v2, s[6:7]
	v_cndmask_b32_e64 v2, v18, 1.0, vcc
	v_cmp_eq_f32_e32 vcc, v4, v19
	v_mul_f32_e32 v4, 0.5, v19
	v_trunc_f32_e32 v6, v4
	v_cmp_neq_f32_e64 s[6:7], v6, v4
	s_and_b64 s[6:7], vcc, s[6:7]
	v_cndmask_b32_e64 v4, 1.0, v2, s[6:7]
	s_brev_b32 s22, -2
	v_mov_b32_e32 v5, 0x7fc00000
	v_bfi_b32 v1, s22, v1, v4
	v_cndmask_b32_e32 v4, v5, v1, vcc
	v_cmp_gt_f32_e32 vcc, 0, v2
	v_cndmask_b32_e32 v1, v1, v4, vcc
	v_cmp_eq_f32_e32 vcc, s11, v20
	v_cmp_eq_f32_e64 s[10:11], 0, v2
	v_cmp_gt_f32_e64 s[12:13], 0, v19
	s_xor_b64 s[12:13], s[12:13], s[10:11]
	v_cndmask_b32_e64 v3, v3, 0, s[12:13]
	v_cndmask_b32_e64 v4, 0, v2, s[6:7]
	v_bfi_b32 v3, s22, v3, v4
	s_or_b64 vcc, vcc, s[10:11]
	v_cndmask_b32_e32 v1, v1, v3, vcc
	v_cmp_o_f32_e32 vcc, v2, v2
	v_cndmask_b32_e32 v62, v5, v1, vcc
.LBB52_4:
	s_load_dwordx4 s[52:55], s[4:5], 0x70
	s_ashr_i32 s35, s34, 31
	s_ashr_i32 s6, s49, 31
	s_lshl_b32 s22, s8, 6
	v_bfe_u32 v59, v0, 10, 10
	s_waitcnt lgkmcnt(0)
	s_mul_i32 s7, s33, s54
	s_ashr_i32 s11, s7, 31
	s_mul_i32 s10, s34, s53
	s_add_u32 s7, s16, s7
	s_addc_u32 s11, s17, s11
	s_ashr_i32 s12, s10, 31
	s_add_u32 s7, s7, s10
	v_and_b32_e32 v56, 0x3ff, v0
	s_addc_u32 s10, s11, s12
	v_lshlrev_b32_e32 v55, 3, v59
	v_lshlrev_b32_e32 v0, 4, v56
	v_mov_b32_e32 v1, s10
	v_add_co_u32_e32 v34, vcc, s7, v0
	v_add_u32_e32 v57, s22, v55
	v_addc_co_u32_e32 v35, vcc, 0, v1, vcc
	v_mul_hi_u32 v1, v57, s36
	v_add_u32_e32 v1, v57, v1
	v_lshrrev_b32_e32 v1, s37, v1
	s_ashr_i32 s12, s52, 31
	v_mul_lo_u32 v1, v1, s38
	v_mov_b32_e32 v2, s52
	v_sub_u32_e32 v1, v57, v1
	v_alignbit_b32 v30, s12, v2, 2
	v_mad_u64_u32 v[2:3], s[10:11], v30, v1, 0
	v_mov_b32_e32 v4, v3
	s_lshr_b32 s7, s12, 2
	v_mad_u64_u32 v[4:5], s[10:11], s7, v1, v[4:5]
	v_mov_b32_e32 v3, v4
	v_or_b32_e32 v53, 1, v55
	v_lshlrev_b64 v[2:3], 2, v[2:3]
	v_add_u32_e32 v54, s22, v53
	v_add_co_u32_e32 v10, vcc, v34, v2
	v_mul_hi_u32 v2, v54, s36
	v_add_u32_e32 v2, v54, v2
	v_lshrrev_b32_e32 v2, s37, v2
	v_mul_lo_u32 v2, v2, s38
	v_sub_u32_e32 v5, v54, v2
	v_addc_co_u32_e32 v11, vcc, v35, v3, vcc
	v_mad_u64_u32 v[2:3], s[10:11], v30, v5, 0
	v_mov_b32_e32 v4, v3
	v_mad_u64_u32 v[4:5], s[10:11], s7, v5, v[4:5]
	v_mov_b32_e32 v3, v4
	v_lshlrev_b64 v[2:3], 2, v[2:3]
	v_or_b32_e32 v51, 2, v55
	v_add_co_u32_e32 v12, vcc, v34, v2
	v_add_u32_e32 v52, s22, v51
	v_addc_co_u32_e32 v13, vcc, v35, v3, vcc
	global_load_dwordx4 v[2:5], v[10:11], off
	global_load_dwordx4 v[6:9], v[12:13], off
	v_mul_hi_u32 v10, v52, s36
	v_add_u32_e32 v10, v52, v10
	v_lshrrev_b32_e32 v10, s37, v10
	v_mul_lo_u32 v10, v10, s38
	v_sub_u32_e32 v13, v52, v10
	v_mad_u64_u32 v[10:11], s[10:11], v30, v13, 0
	v_mov_b32_e32 v12, v11
	v_mad_u64_u32 v[12:13], s[10:11], s7, v13, v[12:13]
	v_mov_b32_e32 v11, v12
	v_or_b32_e32 v49, 3, v55
	v_lshlrev_b64 v[10:11], 2, v[10:11]
	v_add_u32_e32 v50, s22, v49
	v_add_co_u32_e32 v18, vcc, v34, v10
	v_mul_hi_u32 v10, v50, s36
	v_add_u32_e32 v10, v50, v10
	v_lshrrev_b32_e32 v10, s37, v10
	v_mul_lo_u32 v10, v10, s38
	v_sub_u32_e32 v13, v50, v10
	v_addc_co_u32_e32 v19, vcc, v35, v11, vcc
	v_mad_u64_u32 v[10:11], s[10:11], v30, v13, 0
	v_mov_b32_e32 v12, v11
	v_mad_u64_u32 v[12:13], s[10:11], s7, v13, v[12:13]
	v_mov_b32_e32 v11, v12
	v_lshlrev_b64 v[10:11], 2, v[10:11]
	v_or_b32_e32 v47, 4, v55
	v_add_co_u32_e32 v20, vcc, v34, v10
	v_add_u32_e32 v48, s22, v47
	v_addc_co_u32_e32 v21, vcc, v35, v11, vcc
	global_load_dwordx4 v[10:13], v[18:19], off
	global_load_dwordx4 v[14:17], v[20:21], off
	v_mul_hi_u32 v18, v48, s36
	v_add_u32_e32 v18, v48, v18
	v_lshrrev_b32_e32 v18, s37, v18
	v_mul_lo_u32 v18, v18, s38
	v_sub_u32_e32 v21, v48, v18
	v_mad_u64_u32 v[18:19], s[10:11], v30, v21, 0
	v_mov_b32_e32 v20, v19
	v_mad_u64_u32 v[20:21], s[10:11], s7, v21, v[20:21]
	v_mov_b32_e32 v19, v20
	v_or_b32_e32 v44, 5, v55
	v_lshlrev_b64 v[18:19], 2, v[18:19]
	v_add_u32_e32 v46, s22, v44
	v_add_co_u32_e32 v26, vcc, v34, v18
	v_mul_hi_u32 v18, v46, s36
	v_add_u32_e32 v18, v46, v18
	v_lshrrev_b32_e32 v18, s37, v18
	v_mul_lo_u32 v18, v18, s38
	v_sub_u32_e32 v21, v46, v18
	v_addc_co_u32_e32 v27, vcc, v35, v19, vcc
	v_mad_u64_u32 v[18:19], s[10:11], v30, v21, 0
	v_mov_b32_e32 v20, v19
	v_mad_u64_u32 v[20:21], s[10:11], s7, v21, v[20:21]
	v_mov_b32_e32 v19, v20
	v_lshlrev_b64 v[18:19], 2, v[18:19]
	v_or_b32_e32 v42, 6, v55
	v_add_co_u32_e32 v28, vcc, v34, v18
	v_add_u32_e32 v43, s22, v42
	v_addc_co_u32_e32 v29, vcc, v35, v19, vcc
	global_load_dwordx4 v[18:21], v[26:27], off
	global_load_dwordx4 v[22:25], v[28:29], off
	v_mul_hi_u32 v26, v43, s36
	v_add_u32_e32 v26, v43, v26
	v_lshrrev_b32_e32 v26, s37, v26
	v_mul_lo_u32 v26, v26, s38
	v_sub_u32_e32 v29, v43, v26
	v_or_b32_e32 v40, 7, v55
	v_mad_u64_u32 v[26:27], s[10:11], v30, v29, 0
	v_add_u32_e32 v41, s22, v40
	v_mov_b32_e32 v28, v27
	v_mul_hi_u32 v31, v41, s36
	v_mad_u64_u32 v[28:29], s[10:11], s7, v29, v[28:29]
	v_add_u32_e32 v31, v41, v31
	v_mov_b32_e32 v27, v28
	v_lshrrev_b32_e32 v31, s37, v31
	v_lshlrev_b64 v[26:27], 2, v[26:27]
	v_mul_lo_u32 v31, v31, s38
	v_add_co_u32_e32 v26, vcc, v34, v26
	v_sub_u32_e32 v33, v41, v31
	v_addc_co_u32_e32 v27, vcc, v35, v27, vcc
	v_mad_u64_u32 v[30:31], s[10:11], v30, v33, 0
	global_load_dwordx4 v[26:29], v[26:27], off
	v_mov_b32_e32 v32, v31
	v_mad_u64_u32 v[32:33], s[10:11], s7, v33, v[32:33]
	v_mov_b32_e32 v31, v32
	v_lshlrev_b64 v[30:31], 2, v[30:31]
	v_add_co_u32_e32 v30, vcc, v34, v30
	v_addc_co_u32_e32 v31, vcc, v35, v31, vcc
	global_load_dwordx4 v[30:33], v[30:31], off
	s_waitcnt vmcnt(7)
	v_pk_mul_f32 v[2:3], v[2:3], s[40:41] op_sel_hi:[1,0]
	v_pk_mul_f32 v[4:5], v[4:5], s[40:41] op_sel_hi:[1,0]
	v_cvt_f16_f32_e32 v35, v3
	v_cvt_f16_f32_e32 v3, v5
	;; [unrolled: 1-line block ×4, first 2 shown]
	v_lshlrev_b32_e32 v58, 3, v56
	v_lshl_or_b32 v5, v59, 11, v58
	v_pack_b32_f16 v3, v4, v3
	v_pack_b32_f16 v2, v2, v35
	ds_write_b64 v5, v[2:3]
	s_waitcnt vmcnt(6)
	v_pk_mul_f32 v[2:3], v[6:7], s[40:41] op_sel_hi:[1,0]
	v_pk_mul_f32 v[4:5], v[8:9], s[40:41] op_sel_hi:[1,0]
	v_cvt_f16_f32_e32 v6, v3
	v_cvt_f16_f32_e32 v3, v5
	v_cvt_f16_f32_e32 v4, v4
	v_cvt_f16_f32_e32 v2, v2
	v_lshlrev_b32_e32 v34, 1, v56
	v_lshlrev_b32_e32 v5, 6, v53
	v_add_lshl_u32 v5, v5, v34, 2
	v_pack_b32_f16 v3, v4, v3
	v_pack_b32_f16 v2, v2, v6
	ds_write_b64 v5, v[2:3]
	s_waitcnt vmcnt(5)
	v_pk_mul_f32 v[2:3], v[10:11], s[40:41] op_sel_hi:[1,0]
	v_pk_mul_f32 v[4:5], v[12:13], s[40:41] op_sel_hi:[1,0]
	v_cvt_f16_f32_e32 v6, v3
	v_cvt_f16_f32_e32 v3, v5
	v_cvt_f16_f32_e32 v4, v4
	v_cvt_f16_f32_e32 v2, v2
	v_lshlrev_b32_e32 v5, 6, v51
	v_add_lshl_u32 v5, v5, v34, 2
	v_pack_b32_f16 v3, v4, v3
	v_pack_b32_f16 v2, v2, v6
	ds_write_b64 v5, v[2:3]
	s_waitcnt vmcnt(4)
	v_pk_mul_f32 v[2:3], v[14:15], s[40:41] op_sel_hi:[1,0]
	v_pk_mul_f32 v[4:5], v[16:17], s[40:41] op_sel_hi:[1,0]
	v_cvt_f16_f32_e32 v6, v3
	v_cvt_f16_f32_e32 v3, v5
	v_cvt_f16_f32_e32 v4, v4
	v_cvt_f16_f32_e32 v2, v2
	;; [unrolled: 12-line block ×4, first 2 shown]
	v_lshlrev_b32_e32 v5, 6, v44
	v_add_lshl_u32 v5, v5, v34, 2
	v_pack_b32_f16 v3, v4, v3
	v_pack_b32_f16 v2, v2, v6
	ds_write_b64 v5, v[2:3]
	s_cmp_eq_u64 s[26:27], 0
	s_waitcnt vmcnt(1)
	v_pk_mul_f32 v[2:3], v[26:27], s[40:41] op_sel_hi:[1,0]
	v_pk_mul_f32 v[4:5], v[28:29], s[40:41] op_sel_hi:[1,0]
	v_cvt_f16_f32_e32 v6, v3
	v_cvt_f16_f32_e32 v3, v5
	;; [unrolled: 1-line block ×4, first 2 shown]
	v_lshlrev_b32_e32 v5, 6, v42
	v_add_lshl_u32 v5, v5, v34, 2
	v_pack_b32_f16 v3, v4, v3
	v_pack_b32_f16 v2, v2, v6
	ds_write_b64 v5, v[2:3]
	s_waitcnt vmcnt(0)
	v_pk_mul_f32 v[2:3], v[30:31], s[40:41] op_sel_hi:[1,0]
	v_pk_mul_f32 v[4:5], v[32:33], s[40:41] op_sel_hi:[1,0]
	v_cvt_f16_f32_e32 v6, v3
	v_cvt_f16_f32_e32 v3, v5
	;; [unrolled: 1-line block ×4, first 2 shown]
	v_lshlrev_b32_e32 v5, 6, v40
	v_add_lshl_u32 v5, v5, v34, 2
	v_pack_b32_f16 v3, v4, v3
	v_pack_b32_f16 v2, v2, v6
	ds_write_b64 v5, v[2:3]
	s_waitcnt lgkmcnt(0)
	s_barrier
	s_cbranch_scc1 .LBB52_6
; %bb.5:
	s_load_dword s7, s[4:5], 0xd0
	s_mov_b32 s11, 0
	s_waitcnt lgkmcnt(0)
	s_mul_i32 s7, s7, s33
	s_add_i32 s10, s7, s8
	s_lshl_b64 s[10:11], s[10:11], 2
	s_add_u32 s10, s26, s10
	s_addc_u32 s11, s27, s11
	s_load_dword s44, s[10:11], 0x0
.LBB52_6:
	s_nop 0
	s_load_dwordx2 s[10:11], s[4:5], 0x8c
	s_load_dwordx4 s[40:43], s[4:5], 0x98
	s_ashr_i32 s7, s33, 31
	s_ashr_i32 s23, s47, 1
	s_mul_i32 s16, s46, s45
	s_waitcnt lgkmcnt(0)
	s_ashr_i32 s12, s10, 2
	s_mul_i32 s10, s33, s41
	s_mul_hi_u32 s13, s33, s40
	s_add_i32 s10, s13, s10
	s_mul_i32 s13, s7, s40
	s_ashr_i32 s8, s42, 2
	s_add_i32 s10, s10, s13
	s_mul_i32 s13, s33, s40
	s_add_u32 s13, s18, s13
	s_addc_u32 s10, s19, s10
	s_sub_i32 s16, s48, s16
	s_xor_b32 s6, s35, s6
	s_add_i32 s17, s46, 1
	s_sub_i32 s18, s16, s45
	s_cmp_ge_u32 s16, s45
	s_cselect_b32 s17, s17, s46
	s_cselect_b32 s16, s18, s16
	s_add_i32 s18, s17, 1
	s_cmp_ge_u32 s16, s45
	s_cselect_b32 s16, s18, s17
	s_load_dwordx2 s[26:27], s[4:5], 0xa8
	s_xor_b32 s16, s16, s6
	s_sub_i32 s6, s16, s6
	s_mul_i32 s11, s6, s11
	s_ashr_i32 s16, s11, 31
	s_add_u32 s13, s13, s11
	s_addc_u32 s16, s10, s16
	s_waitcnt lgkmcnt(0)
	s_mul_i32 s10, s33, s27
	s_mul_hi_u32 s11, s33, s26
	s_add_i32 s10, s11, s10
	s_mul_i32 s7, s7, s26
	s_add_i32 s10, s10, s7
	s_mul_i32 s7, s33, s26
	s_add_u32 s7, s20, s7
	s_mul_i32 s6, s6, s43
	s_addc_u32 s10, s21, s10
	s_ashr_i32 s11, s6, 31
	s_add_u32 s19, s7, s6
	v_lshlrev_b32_e32 v45, 2, v56
	s_addc_u32 s20, s10, s11
	s_lshl_b32 s18, s9, 6
	s_sub_i32 s17, s44, 64
	s_mov_b32 s48, 0xfeffffff
	s_cmp_ge_i32 s18, s17
	v_mov_b32_e32 v23, 0
	v_mov_b32_e32 v85, 0
	v_mul_lo_u32 v34, v1, s23
	v_lshrrev_b32_e32 v37, 2, v56
	v_and_b32_e32 v36, 12, v45
	v_lshlrev_b32_e32 v35, 11, v59
	v_or_b32_e32 v81, 1, v57
	v_or_b32_e32 v78, 2, v57
	;; [unrolled: 1-line block ×7, first 2 shown]
	v_lshrrev_b32_e32 v61, 4, v56
	v_and_b32_e32 v60, 60, v45
	v_mbcnt_lo_u32_b32 v82, -1, 0
	s_cbranch_scc1 .LBB52_43
; %bb.7:
	v_add_u32_e32 v1, v55, v37
	v_mul_u32_u24_e32 v2, 0x50, v1
	v_lshlrev_b32_e32 v4, 2, v36
	s_movk_i32 s6, 0x6000
	v_add3_u32 v38, v2, v4, s6
	v_mul_lo_u32 v2, s12, v1
	v_ashrrev_i32_e32 v3, 31, v2
	v_lshlrev_b64 v[2:3], 2, v[2:3]
	v_mov_b32_e32 v1, s16
	v_add_co_u32_e32 v2, vcc, s13, v2
	v_addc_co_u32_e32 v1, vcc, v1, v3, vcc
	v_add_co_u32_e32 v39, vcc, v2, v4
	v_addc_co_u32_e32 v87, vcc, 0, v1, vcc
	v_mul_hi_u32 v1, s36, v81
	v_add_u32_e32 v1, v81, v1
	v_lshrrev_b32_e32 v1, s37, v1
	v_mul_lo_u32 v1, v1, s38
	v_sub_u32_e32 v1, v81, v1
	v_mul_lo_u32 v89, v1, s23
	v_mul_hi_u32 v1, s36, v78
	v_add_u32_e32 v1, v78, v1
	v_lshrrev_b32_e32 v1, s37, v1
	v_mul_lo_u32 v1, v1, s38
	v_sub_u32_e32 v1, v78, v1
	v_mul_lo_u32 v90, v1, s23
	;; [unrolled: 6-line block ×7, first 2 shown]
	v_mov_b32_e32 v1, 0x4000
	v_lshl_add_u32 v96, v59, 10, v1
	v_lshl_add_u32 v1, v59, 1, v61
	v_lshlrev_b32_e32 v4, 2, v60
	v_lshl_or_b32 v2, v1, 8, v4
	v_add_u32_e32 v97, 0x6000, v2
	v_mul_lo_u32 v2, s8, v1
	v_ashrrev_i32_e32 v3, 31, v2
	v_lshlrev_b64 v[2:3], 2, v[2:3]
	v_mov_b32_e32 v1, s20
	v_add_co_u32_e32 v2, vcc, s19, v2
	s_cmp_lg_u64 s[14:15], 0
	v_addc_co_u32_e32 v1, vcc, v1, v3, vcc
	v_add_co_u32_e32 v98, vcc, v2, v4
	s_cselect_b64 s[6:7], -1, 0
	s_add_u32 s10, s4, 0xd0
	v_addc_co_u32_e32 v99, vcc, 0, v1, vcc
	v_mov_b32_e32 v1, 0x6000
	s_addc_u32 s11, s5, 0
	v_lshl_or_b32 v100, v56, 3, v1
	s_add_u32 s21, s14, 64
	v_mov_b32_e32 v4, 0xfeffffff
	v_mov_b32_e32 v16, 0
	v_cndmask_b32_e64 v1, 0, 1, s[6:7]
	v_mul_u32_u24_e32 v88, 0x50, v56
	s_addc_u32 s26, s15, 0
	v_mov_b32_e32 v68, 0
	v_mbcnt_hi_u32_b32 v101, -1, v82
	s_mov_b32 s27, 0x3fb8aa3b
	s_mov_b32 s40, 0xc2ce8ed0
	;; [unrolled: 1-line block ×3, first 2 shown]
	v_add_u32_e32 v102, v96, v0
	v_cmp_ne_u32_e64 s[6:7], 1, v1
	v_mov_b32_e32 v103, 0x7f800000
	v_mov_b32_e32 v69, 0
	;; [unrolled: 1-line block ×30, first 2 shown]
.LBB52_8:                               ; =>This Inner Loop Header: Depth=1
	s_mul_hi_i32 s43, s18, s12
	s_mul_i32 s42, s18, s12
	s_lshl_b64 s[42:43], s[42:43], 2
	v_mov_b32_e32 v8, s43
	v_add_co_u32_e32 v10, vcc, s42, v39
	v_addc_co_u32_e32 v11, vcc, v87, v8, vcc
	global_load_dwordx4 v[104:107], v[10:11], off
	v_mov_b32_e32 v12, 0
	v_mov_b32_e32 v13, 0
	v_mov_b32_e32 v14, 0
	v_mov_b32_e32 v15, 0
	v_mov_b32_e32 v24, 0
	v_mov_b32_e32 v26, 0
	v_mov_b32_e32 v28, 0
	v_mov_b32_e32 v8, 0
	v_mov_b32_e32 v33, 0
	v_mov_b32_e32 v32, 0
	v_mov_b32_e32 v31, 0
	v_mov_b32_e32 v30, 0
	v_mov_b32_e32 v25, 0
	v_mov_b32_e32 v27, 0
	v_mov_b32_e32 v29, 0
	v_mov_b32_e32 v9, 0
	s_and_b64 vcc, exec, s[6:7]
	s_waitcnt vmcnt(0)
	ds_write_b128 v38, v[104:107]
	s_waitcnt lgkmcnt(0)
	s_barrier
	ds_read_b128 v[104:107], v88 offset:24576
	ds_read_b128 v[108:111], v88 offset:27136
	ds_read_b128 v[112:115], v35
	ds_read_b128 v[116:119], v35 offset:256
	ds_read_b128 v[120:123], v35 offset:512
	;; [unrolled: 1-line block ×7, first 2 shown]
	s_waitcnt lgkmcnt(7)
	;;#ASMSTART
	v_dot2_f32_f16 v12, v104, v112, v12
	;;#ASMEND
	;;#ASMSTART
	v_dot2_f32_f16 v12, v105, v113, v12
	;;#ASMEND
	;;#ASMSTART
	v_dot2_f32_f16 v12, v106, v114, v12
	;;#ASMEND
	;;#ASMSTART
	v_dot2_f32_f16 v12, v107, v115, v12
	;;#ASMEND
	s_waitcnt lgkmcnt(6)
	;;#ASMSTART
	v_dot2_f32_f16 v13, v104, v116, v13
	;;#ASMEND
	;;#ASMSTART
	v_dot2_f32_f16 v13, v105, v117, v13
	;;#ASMEND
	;;#ASMSTART
	v_dot2_f32_f16 v13, v106, v118, v13
	;;#ASMEND
	;;#ASMSTART
	v_dot2_f32_f16 v13, v107, v119, v13
	;;#ASMEND
	;; [unrolled: 13-line block ×8, first 2 shown]
	;;#ASMSTART
	v_dot2_f32_f16 v33, v108, v112, v33
	;;#ASMEND
	;;#ASMSTART
	v_dot2_f32_f16 v33, v109, v113, v33
	;;#ASMEND
	;; [unrolled: 3-line block ×32, first 2 shown]
	ds_read_b128 v[104:107], v88 offset:24592
	ds_read_b128 v[108:111], v88 offset:27152
	;; [unrolled: 1-line block ×10, first 2 shown]
	s_waitcnt lgkmcnt(7)
	;;#ASMSTART
	v_dot2_f32_f16 v12, v104, v112, v12
	;;#ASMEND
	;;#ASMSTART
	v_dot2_f32_f16 v12, v105, v113, v12
	;;#ASMEND
	;;#ASMSTART
	v_dot2_f32_f16 v12, v106, v114, v12
	;;#ASMEND
	;;#ASMSTART
	v_dot2_f32_f16 v12, v107, v115, v12
	;;#ASMEND
	s_waitcnt lgkmcnt(6)
	;;#ASMSTART
	v_dot2_f32_f16 v13, v104, v116, v13
	;;#ASMEND
	;;#ASMSTART
	v_dot2_f32_f16 v13, v105, v117, v13
	;;#ASMEND
	;;#ASMSTART
	v_dot2_f32_f16 v13, v106, v118, v13
	;;#ASMEND
	;;#ASMSTART
	v_dot2_f32_f16 v13, v107, v119, v13
	;;#ASMEND
	;; [unrolled: 13-line block ×8, first 2 shown]
	;;#ASMSTART
	v_dot2_f32_f16 v33, v108, v112, v33
	;;#ASMEND
	;;#ASMSTART
	v_dot2_f32_f16 v33, v109, v113, v33
	;;#ASMEND
	;; [unrolled: 3-line block ×32, first 2 shown]
	ds_read_b128 v[104:107], v88 offset:24608
	ds_read_b128 v[108:111], v88 offset:27168
	;; [unrolled: 1-line block ×10, first 2 shown]
	s_waitcnt lgkmcnt(7)
	;;#ASMSTART
	v_dot2_f32_f16 v12, v104, v112, v12
	;;#ASMEND
	;;#ASMSTART
	v_dot2_f32_f16 v12, v105, v113, v12
	;;#ASMEND
	;;#ASMSTART
	v_dot2_f32_f16 v12, v106, v114, v12
	;;#ASMEND
	;;#ASMSTART
	v_dot2_f32_f16 v12, v107, v115, v12
	;;#ASMEND
	s_waitcnt lgkmcnt(6)
	;;#ASMSTART
	v_dot2_f32_f16 v13, v104, v116, v13
	;;#ASMEND
	;;#ASMSTART
	v_dot2_f32_f16 v13, v105, v117, v13
	;;#ASMEND
	;;#ASMSTART
	v_dot2_f32_f16 v13, v106, v118, v13
	;;#ASMEND
	;;#ASMSTART
	v_dot2_f32_f16 v13, v107, v119, v13
	;;#ASMEND
	;; [unrolled: 13-line block ×8, first 2 shown]
	;;#ASMSTART
	v_dot2_f32_f16 v33, v108, v112, v33
	;;#ASMEND
	;;#ASMSTART
	v_dot2_f32_f16 v33, v109, v113, v33
	;;#ASMEND
	;; [unrolled: 3-line block ×32, first 2 shown]
	ds_read_b128 v[104:107], v88 offset:24624
	ds_read_b128 v[108:111], v88 offset:27184
	ds_read_b128 v[112:115], v35 offset:48
	ds_read_b128 v[116:119], v35 offset:304
	ds_read_b128 v[120:123], v35 offset:560
	ds_read_b128 v[124:127], v35 offset:816
	ds_read_b128 v[128:131], v35 offset:1072
	ds_read_b128 v[132:135], v35 offset:1328
	ds_read_b128 v[136:139], v35 offset:1584
	ds_read_b128 v[140:143], v35 offset:1840
	s_waitcnt lgkmcnt(7)
	;;#ASMSTART
	v_dot2_f32_f16 v12, v104, v112, v12
	;;#ASMEND
	;;#ASMSTART
	v_dot2_f32_f16 v12, v105, v113, v12
	;;#ASMEND
	;;#ASMSTART
	v_dot2_f32_f16 v12, v106, v114, v12
	;;#ASMEND
	;;#ASMSTART
	v_dot2_f32_f16 v12, v107, v115, v12
	;;#ASMEND
	s_waitcnt lgkmcnt(6)
	;;#ASMSTART
	v_dot2_f32_f16 v13, v104, v116, v13
	;;#ASMEND
	;;#ASMSTART
	v_dot2_f32_f16 v13, v105, v117, v13
	;;#ASMEND
	;;#ASMSTART
	v_dot2_f32_f16 v13, v106, v118, v13
	;;#ASMEND
	;;#ASMSTART
	v_dot2_f32_f16 v13, v107, v119, v13
	;;#ASMEND
	;; [unrolled: 13-line block ×8, first 2 shown]
	;;#ASMSTART
	v_dot2_f32_f16 v33, v108, v112, v33
	;;#ASMEND
	;;#ASMSTART
	v_dot2_f32_f16 v33, v109, v113, v33
	;;#ASMEND
	;;#ASMSTART
	v_dot2_f32_f16 v33, v110, v114, v33
	;;#ASMEND
	;;#ASMSTART
	v_dot2_f32_f16 v33, v111, v115, v33
	;;#ASMEND
	;;#ASMSTART
	v_dot2_f32_f16 v32, v108, v116, v32
	;;#ASMEND
	;;#ASMSTART
	v_dot2_f32_f16 v32, v109, v117, v32
	;;#ASMEND
	;;#ASMSTART
	v_dot2_f32_f16 v32, v110, v118, v32
	;;#ASMEND
	;;#ASMSTART
	v_dot2_f32_f16 v32, v111, v119, v32
	;;#ASMEND
	;;#ASMSTART
	v_dot2_f32_f16 v31, v108, v120, v31
	;;#ASMEND
	;;#ASMSTART
	v_dot2_f32_f16 v31, v109, v121, v31
	;;#ASMEND
	;;#ASMSTART
	v_dot2_f32_f16 v31, v110, v122, v31
	;;#ASMEND
	;;#ASMSTART
	v_dot2_f32_f16 v31, v111, v123, v31
	;;#ASMEND
	;;#ASMSTART
	v_dot2_f32_f16 v30, v108, v124, v30
	;;#ASMEND
	;;#ASMSTART
	v_dot2_f32_f16 v30, v109, v125, v30
	;;#ASMEND
	;;#ASMSTART
	v_dot2_f32_f16 v30, v110, v126, v30
	;;#ASMEND
	;;#ASMSTART
	v_dot2_f32_f16 v30, v111, v127, v30
	;;#ASMEND
	;;#ASMSTART
	v_dot2_f32_f16 v25, v108, v128, v25
	;;#ASMEND
	;;#ASMSTART
	v_dot2_f32_f16 v25, v109, v129, v25
	;;#ASMEND
	;;#ASMSTART
	v_dot2_f32_f16 v25, v110, v130, v25
	;;#ASMEND
	;;#ASMSTART
	v_dot2_f32_f16 v25, v111, v131, v25
	;;#ASMEND
	;;#ASMSTART
	v_dot2_f32_f16 v27, v108, v132, v27
	;;#ASMEND
	;;#ASMSTART
	v_dot2_f32_f16 v27, v109, v133, v27
	;;#ASMEND
	;;#ASMSTART
	v_dot2_f32_f16 v27, v110, v134, v27
	;;#ASMEND
	;;#ASMSTART
	v_dot2_f32_f16 v27, v111, v135, v27
	;;#ASMEND
	;;#ASMSTART
	v_dot2_f32_f16 v29, v108, v136, v29
	;;#ASMEND
	;;#ASMSTART
	v_dot2_f32_f16 v29, v109, v137, v29
	;;#ASMEND
	;;#ASMSTART
	v_dot2_f32_f16 v29, v110, v138, v29
	;;#ASMEND
	;;#ASMSTART
	v_dot2_f32_f16 v29, v111, v139, v29
	;;#ASMEND
	;;#ASMSTART
	v_dot2_f32_f16 v9, v108, v140, v9
	;;#ASMEND
	;;#ASMSTART
	v_dot2_f32_f16 v9, v109, v141, v9
	;;#ASMEND
	;;#ASMSTART
	v_dot2_f32_f16 v9, v110, v142, v9
	;;#ASMEND
	;;#ASMSTART
	v_dot2_f32_f16 v9, v111, v143, v9
	;;#ASMEND
	s_barrier
	global_load_dwordx4 v[104:107], v[10:11], off offset:64
	s_waitcnt vmcnt(0)
	ds_write_b128 v38, v[104:107]
	s_waitcnt lgkmcnt(0)
	s_barrier
	ds_read_b128 v[104:107], v88 offset:24576
	ds_read_b128 v[108:111], v88 offset:27136
	;; [unrolled: 1-line block ×10, first 2 shown]
	s_waitcnt lgkmcnt(7)
	;;#ASMSTART
	v_dot2_f32_f16 v12, v104, v112, v12
	;;#ASMEND
	;;#ASMSTART
	v_dot2_f32_f16 v12, v105, v113, v12
	;;#ASMEND
	;;#ASMSTART
	v_dot2_f32_f16 v12, v106, v114, v12
	;;#ASMEND
	;;#ASMSTART
	v_dot2_f32_f16 v12, v107, v115, v12
	;;#ASMEND
	s_waitcnt lgkmcnt(6)
	;;#ASMSTART
	v_dot2_f32_f16 v13, v104, v116, v13
	;;#ASMEND
	;;#ASMSTART
	v_dot2_f32_f16 v13, v105, v117, v13
	;;#ASMEND
	;;#ASMSTART
	v_dot2_f32_f16 v13, v106, v118, v13
	;;#ASMEND
	;;#ASMSTART
	v_dot2_f32_f16 v13, v107, v119, v13
	;;#ASMEND
	;; [unrolled: 13-line block ×8, first 2 shown]
	;;#ASMSTART
	v_dot2_f32_f16 v33, v108, v112, v33
	;;#ASMEND
	;;#ASMSTART
	v_dot2_f32_f16 v33, v109, v113, v33
	;;#ASMEND
	;; [unrolled: 3-line block ×32, first 2 shown]
	ds_read_b128 v[104:107], v88 offset:24592
	ds_read_b128 v[108:111], v88 offset:27152
	;; [unrolled: 1-line block ×10, first 2 shown]
	s_waitcnt lgkmcnt(7)
	;;#ASMSTART
	v_dot2_f32_f16 v12, v104, v112, v12
	;;#ASMEND
	;;#ASMSTART
	v_dot2_f32_f16 v12, v105, v113, v12
	;;#ASMEND
	;;#ASMSTART
	v_dot2_f32_f16 v12, v106, v114, v12
	;;#ASMEND
	;;#ASMSTART
	v_dot2_f32_f16 v12, v107, v115, v12
	;;#ASMEND
	s_waitcnt lgkmcnt(6)
	;;#ASMSTART
	v_dot2_f32_f16 v13, v104, v116, v13
	;;#ASMEND
	;;#ASMSTART
	v_dot2_f32_f16 v13, v105, v117, v13
	;;#ASMEND
	;;#ASMSTART
	v_dot2_f32_f16 v13, v106, v118, v13
	;;#ASMEND
	;;#ASMSTART
	v_dot2_f32_f16 v13, v107, v119, v13
	;;#ASMEND
	;; [unrolled: 13-line block ×8, first 2 shown]
	;;#ASMSTART
	v_dot2_f32_f16 v33, v108, v112, v33
	;;#ASMEND
	;;#ASMSTART
	v_dot2_f32_f16 v33, v109, v113, v33
	;;#ASMEND
	;; [unrolled: 3-line block ×32, first 2 shown]
	ds_read_b128 v[104:107], v88 offset:24608
	ds_read_b128 v[108:111], v88 offset:27168
	;; [unrolled: 1-line block ×10, first 2 shown]
	s_waitcnt lgkmcnt(7)
	;;#ASMSTART
	v_dot2_f32_f16 v12, v104, v112, v12
	;;#ASMEND
	;;#ASMSTART
	v_dot2_f32_f16 v12, v105, v113, v12
	;;#ASMEND
	;;#ASMSTART
	v_dot2_f32_f16 v12, v106, v114, v12
	;;#ASMEND
	;;#ASMSTART
	v_dot2_f32_f16 v12, v107, v115, v12
	;;#ASMEND
	s_waitcnt lgkmcnt(6)
	;;#ASMSTART
	v_dot2_f32_f16 v13, v104, v116, v13
	;;#ASMEND
	;;#ASMSTART
	v_dot2_f32_f16 v13, v105, v117, v13
	;;#ASMEND
	;;#ASMSTART
	v_dot2_f32_f16 v13, v106, v118, v13
	;;#ASMEND
	;;#ASMSTART
	v_dot2_f32_f16 v13, v107, v119, v13
	;;#ASMEND
	;; [unrolled: 13-line block ×8, first 2 shown]
	;;#ASMSTART
	v_dot2_f32_f16 v33, v108, v112, v33
	;;#ASMEND
	;;#ASMSTART
	v_dot2_f32_f16 v33, v109, v113, v33
	;;#ASMEND
	;; [unrolled: 3-line block ×32, first 2 shown]
	ds_read_b128 v[104:107], v88 offset:24624
	ds_read_b128 v[108:111], v88 offset:27184
	;; [unrolled: 1-line block ×10, first 2 shown]
	s_waitcnt lgkmcnt(7)
	;;#ASMSTART
	v_dot2_f32_f16 v12, v104, v112, v12
	;;#ASMEND
	;;#ASMSTART
	v_dot2_f32_f16 v12, v105, v113, v12
	;;#ASMEND
	;;#ASMSTART
	v_dot2_f32_f16 v12, v106, v114, v12
	;;#ASMEND
	;;#ASMSTART
	v_dot2_f32_f16 v12, v107, v115, v12
	;;#ASMEND
	s_waitcnt lgkmcnt(6)
	;;#ASMSTART
	v_dot2_f32_f16 v13, v104, v116, v13
	;;#ASMEND
	;;#ASMSTART
	v_dot2_f32_f16 v13, v105, v117, v13
	;;#ASMEND
	;;#ASMSTART
	v_dot2_f32_f16 v13, v106, v118, v13
	;;#ASMEND
	;;#ASMSTART
	v_dot2_f32_f16 v13, v107, v119, v13
	;;#ASMEND
	;; [unrolled: 13-line block ×8, first 2 shown]
	;;#ASMSTART
	v_dot2_f32_f16 v33, v108, v112, v33
	;;#ASMEND
	;;#ASMSTART
	v_dot2_f32_f16 v33, v109, v113, v33
	;;#ASMEND
	;; [unrolled: 3-line block ×32, first 2 shown]
	s_barrier
	global_load_dwordx4 v[104:107], v[10:11], off offset:128
	s_waitcnt vmcnt(0)
	ds_write_b128 v38, v[104:107]
	s_waitcnt lgkmcnt(0)
	s_barrier
	ds_read_b128 v[104:107], v88 offset:24576
	ds_read_b128 v[108:111], v88 offset:27136
	;; [unrolled: 1-line block ×10, first 2 shown]
	s_waitcnt lgkmcnt(7)
	;;#ASMSTART
	v_dot2_f32_f16 v12, v104, v112, v12
	;;#ASMEND
	;;#ASMSTART
	v_dot2_f32_f16 v12, v105, v113, v12
	;;#ASMEND
	;;#ASMSTART
	v_dot2_f32_f16 v12, v106, v114, v12
	;;#ASMEND
	;;#ASMSTART
	v_dot2_f32_f16 v12, v107, v115, v12
	;;#ASMEND
	s_waitcnt lgkmcnt(6)
	;;#ASMSTART
	v_dot2_f32_f16 v13, v104, v116, v13
	;;#ASMEND
	;;#ASMSTART
	v_dot2_f32_f16 v13, v105, v117, v13
	;;#ASMEND
	;;#ASMSTART
	v_dot2_f32_f16 v13, v106, v118, v13
	;;#ASMEND
	;;#ASMSTART
	v_dot2_f32_f16 v13, v107, v119, v13
	;;#ASMEND
	;; [unrolled: 13-line block ×8, first 2 shown]
	;;#ASMSTART
	v_dot2_f32_f16 v33, v108, v112, v33
	;;#ASMEND
	;;#ASMSTART
	v_dot2_f32_f16 v33, v109, v113, v33
	;;#ASMEND
	;;#ASMSTART
	v_dot2_f32_f16 v33, v110, v114, v33
	;;#ASMEND
	;;#ASMSTART
	v_dot2_f32_f16 v33, v111, v115, v33
	;;#ASMEND
	;;#ASMSTART
	v_dot2_f32_f16 v32, v108, v116, v32
	;;#ASMEND
	;;#ASMSTART
	v_dot2_f32_f16 v32, v109, v117, v32
	;;#ASMEND
	;;#ASMSTART
	v_dot2_f32_f16 v32, v110, v118, v32
	;;#ASMEND
	;;#ASMSTART
	v_dot2_f32_f16 v32, v111, v119, v32
	;;#ASMEND
	;;#ASMSTART
	v_dot2_f32_f16 v31, v108, v120, v31
	;;#ASMEND
	;;#ASMSTART
	v_dot2_f32_f16 v31, v109, v121, v31
	;;#ASMEND
	;;#ASMSTART
	v_dot2_f32_f16 v31, v110, v122, v31
	;;#ASMEND
	;;#ASMSTART
	v_dot2_f32_f16 v31, v111, v123, v31
	;;#ASMEND
	;;#ASMSTART
	v_dot2_f32_f16 v30, v108, v124, v30
	;;#ASMEND
	;;#ASMSTART
	v_dot2_f32_f16 v30, v109, v125, v30
	;;#ASMEND
	;;#ASMSTART
	v_dot2_f32_f16 v30, v110, v126, v30
	;;#ASMEND
	;;#ASMSTART
	v_dot2_f32_f16 v30, v111, v127, v30
	;;#ASMEND
	;;#ASMSTART
	v_dot2_f32_f16 v25, v108, v128, v25
	;;#ASMEND
	;;#ASMSTART
	v_dot2_f32_f16 v25, v109, v129, v25
	;;#ASMEND
	;;#ASMSTART
	v_dot2_f32_f16 v25, v110, v130, v25
	;;#ASMEND
	;;#ASMSTART
	v_dot2_f32_f16 v25, v111, v131, v25
	;;#ASMEND
	;;#ASMSTART
	v_dot2_f32_f16 v27, v108, v132, v27
	;;#ASMEND
	;;#ASMSTART
	v_dot2_f32_f16 v27, v109, v133, v27
	;;#ASMEND
	;;#ASMSTART
	v_dot2_f32_f16 v27, v110, v134, v27
	;;#ASMEND
	;;#ASMSTART
	v_dot2_f32_f16 v27, v111, v135, v27
	;;#ASMEND
	;;#ASMSTART
	v_dot2_f32_f16 v29, v108, v136, v29
	;;#ASMEND
	;;#ASMSTART
	v_dot2_f32_f16 v29, v109, v137, v29
	;;#ASMEND
	;;#ASMSTART
	v_dot2_f32_f16 v29, v110, v138, v29
	;;#ASMEND
	;;#ASMSTART
	v_dot2_f32_f16 v29, v111, v139, v29
	;;#ASMEND
	;;#ASMSTART
	v_dot2_f32_f16 v9, v108, v140, v9
	;;#ASMEND
	;;#ASMSTART
	v_dot2_f32_f16 v9, v109, v141, v9
	;;#ASMEND
	;;#ASMSTART
	v_dot2_f32_f16 v9, v110, v142, v9
	;;#ASMEND
	;;#ASMSTART
	v_dot2_f32_f16 v9, v111, v143, v9
	;;#ASMEND
	ds_read_b128 v[104:107], v88 offset:24592
	ds_read_b128 v[108:111], v88 offset:27152
	;; [unrolled: 1-line block ×10, first 2 shown]
	s_waitcnt lgkmcnt(7)
	;;#ASMSTART
	v_dot2_f32_f16 v12, v104, v112, v12
	;;#ASMEND
	;;#ASMSTART
	v_dot2_f32_f16 v12, v105, v113, v12
	;;#ASMEND
	;;#ASMSTART
	v_dot2_f32_f16 v12, v106, v114, v12
	;;#ASMEND
	;;#ASMSTART
	v_dot2_f32_f16 v12, v107, v115, v12
	;;#ASMEND
	s_waitcnt lgkmcnt(6)
	;;#ASMSTART
	v_dot2_f32_f16 v13, v104, v116, v13
	;;#ASMEND
	;;#ASMSTART
	v_dot2_f32_f16 v13, v105, v117, v13
	;;#ASMEND
	;;#ASMSTART
	v_dot2_f32_f16 v13, v106, v118, v13
	;;#ASMEND
	;;#ASMSTART
	v_dot2_f32_f16 v13, v107, v119, v13
	;;#ASMEND
	;; [unrolled: 13-line block ×8, first 2 shown]
	;;#ASMSTART
	v_dot2_f32_f16 v33, v108, v112, v33
	;;#ASMEND
	;;#ASMSTART
	v_dot2_f32_f16 v33, v109, v113, v33
	;;#ASMEND
	;; [unrolled: 3-line block ×32, first 2 shown]
	ds_read_b128 v[104:107], v88 offset:24608
	ds_read_b128 v[108:111], v88 offset:27168
	;; [unrolled: 1-line block ×10, first 2 shown]
	s_waitcnt lgkmcnt(7)
	;;#ASMSTART
	v_dot2_f32_f16 v12, v104, v112, v12
	;;#ASMEND
	;;#ASMSTART
	v_dot2_f32_f16 v12, v105, v113, v12
	;;#ASMEND
	;;#ASMSTART
	v_dot2_f32_f16 v12, v106, v114, v12
	;;#ASMEND
	;;#ASMSTART
	v_dot2_f32_f16 v12, v107, v115, v12
	;;#ASMEND
	s_waitcnt lgkmcnt(6)
	;;#ASMSTART
	v_dot2_f32_f16 v13, v104, v116, v13
	;;#ASMEND
	;;#ASMSTART
	v_dot2_f32_f16 v13, v105, v117, v13
	;;#ASMEND
	;;#ASMSTART
	v_dot2_f32_f16 v13, v106, v118, v13
	;;#ASMEND
	;;#ASMSTART
	v_dot2_f32_f16 v13, v107, v119, v13
	;;#ASMEND
	;; [unrolled: 13-line block ×8, first 2 shown]
	;;#ASMSTART
	v_dot2_f32_f16 v33, v108, v112, v33
	;;#ASMEND
	;;#ASMSTART
	v_dot2_f32_f16 v33, v109, v113, v33
	;;#ASMEND
	;; [unrolled: 3-line block ×32, first 2 shown]
	ds_read_b128 v[104:107], v88 offset:24624
	ds_read_b128 v[108:111], v88 offset:27184
	;; [unrolled: 1-line block ×10, first 2 shown]
	s_waitcnt lgkmcnt(7)
	;;#ASMSTART
	v_dot2_f32_f16 v12, v104, v112, v12
	;;#ASMEND
	;;#ASMSTART
	v_dot2_f32_f16 v12, v105, v113, v12
	;;#ASMEND
	;;#ASMSTART
	v_dot2_f32_f16 v12, v106, v114, v12
	;;#ASMEND
	;;#ASMSTART
	v_dot2_f32_f16 v12, v107, v115, v12
	;;#ASMEND
	s_waitcnt lgkmcnt(6)
	;;#ASMSTART
	v_dot2_f32_f16 v13, v104, v116, v13
	;;#ASMEND
	;;#ASMSTART
	v_dot2_f32_f16 v13, v105, v117, v13
	;;#ASMEND
	;;#ASMSTART
	v_dot2_f32_f16 v13, v106, v118, v13
	;;#ASMEND
	;;#ASMSTART
	v_dot2_f32_f16 v13, v107, v119, v13
	;;#ASMEND
	;; [unrolled: 13-line block ×8, first 2 shown]
	;;#ASMSTART
	v_dot2_f32_f16 v33, v108, v112, v33
	;;#ASMEND
	;;#ASMSTART
	v_dot2_f32_f16 v33, v109, v113, v33
	;;#ASMEND
	;; [unrolled: 3-line block ×32, first 2 shown]
	s_barrier
	global_load_dwordx4 v[104:107], v[10:11], off offset:192
	s_waitcnt vmcnt(0)
	ds_write_b128 v38, v[104:107]
	s_waitcnt lgkmcnt(0)
	s_barrier
	ds_read_b128 v[104:107], v88 offset:24576
	ds_read_b128 v[108:111], v88 offset:27136
	;; [unrolled: 1-line block ×10, first 2 shown]
	s_waitcnt lgkmcnt(7)
	;;#ASMSTART
	v_dot2_f32_f16 v12, v104, v112, v12
	;;#ASMEND
	;;#ASMSTART
	v_dot2_f32_f16 v12, v105, v113, v12
	;;#ASMEND
	;;#ASMSTART
	v_dot2_f32_f16 v12, v106, v114, v12
	;;#ASMEND
	;;#ASMSTART
	v_dot2_f32_f16 v12, v107, v115, v12
	;;#ASMEND
	s_waitcnt lgkmcnt(6)
	;;#ASMSTART
	v_dot2_f32_f16 v13, v104, v116, v13
	;;#ASMEND
	;;#ASMSTART
	v_dot2_f32_f16 v13, v105, v117, v13
	;;#ASMEND
	;;#ASMSTART
	v_dot2_f32_f16 v13, v106, v118, v13
	;;#ASMEND
	;;#ASMSTART
	v_dot2_f32_f16 v13, v107, v119, v13
	;;#ASMEND
	;; [unrolled: 13-line block ×8, first 2 shown]
	;;#ASMSTART
	v_dot2_f32_f16 v33, v108, v112, v33
	;;#ASMEND
	;;#ASMSTART
	v_dot2_f32_f16 v33, v109, v113, v33
	;;#ASMEND
	;; [unrolled: 3-line block ×32, first 2 shown]
	ds_read_b128 v[104:107], v88 offset:24592
	ds_read_b128 v[108:111], v88 offset:27152
	;; [unrolled: 1-line block ×10, first 2 shown]
	s_waitcnt lgkmcnt(7)
	;;#ASMSTART
	v_dot2_f32_f16 v12, v104, v112, v12
	;;#ASMEND
	;;#ASMSTART
	v_dot2_f32_f16 v12, v105, v113, v12
	;;#ASMEND
	;;#ASMSTART
	v_dot2_f32_f16 v12, v106, v114, v12
	;;#ASMEND
	;;#ASMSTART
	v_dot2_f32_f16 v12, v107, v115, v12
	;;#ASMEND
	s_waitcnt lgkmcnt(6)
	;;#ASMSTART
	v_dot2_f32_f16 v13, v104, v116, v13
	;;#ASMEND
	;;#ASMSTART
	v_dot2_f32_f16 v13, v105, v117, v13
	;;#ASMEND
	;;#ASMSTART
	v_dot2_f32_f16 v13, v106, v118, v13
	;;#ASMEND
	;;#ASMSTART
	v_dot2_f32_f16 v13, v107, v119, v13
	;;#ASMEND
	;; [unrolled: 13-line block ×8, first 2 shown]
	;;#ASMSTART
	v_dot2_f32_f16 v33, v108, v112, v33
	;;#ASMEND
	;;#ASMSTART
	v_dot2_f32_f16 v33, v109, v113, v33
	;;#ASMEND
	;; [unrolled: 3-line block ×32, first 2 shown]
	ds_read_b128 v[104:107], v88 offset:24608
	ds_read_b128 v[108:111], v88 offset:27168
	;; [unrolled: 1-line block ×10, first 2 shown]
	s_waitcnt lgkmcnt(7)
	;;#ASMSTART
	v_dot2_f32_f16 v12, v104, v112, v12
	;;#ASMEND
	;;#ASMSTART
	v_dot2_f32_f16 v12, v105, v113, v12
	;;#ASMEND
	;;#ASMSTART
	v_dot2_f32_f16 v12, v106, v114, v12
	;;#ASMEND
	;;#ASMSTART
	v_dot2_f32_f16 v12, v107, v115, v12
	;;#ASMEND
	s_waitcnt lgkmcnt(6)
	;;#ASMSTART
	v_dot2_f32_f16 v13, v104, v116, v13
	;;#ASMEND
	;;#ASMSTART
	v_dot2_f32_f16 v13, v105, v117, v13
	;;#ASMEND
	;;#ASMSTART
	v_dot2_f32_f16 v13, v106, v118, v13
	;;#ASMEND
	;;#ASMSTART
	v_dot2_f32_f16 v13, v107, v119, v13
	;;#ASMEND
	;; [unrolled: 13-line block ×8, first 2 shown]
	;;#ASMSTART
	v_dot2_f32_f16 v33, v108, v112, v33
	;;#ASMEND
	;;#ASMSTART
	v_dot2_f32_f16 v33, v109, v113, v33
	;;#ASMEND
	;; [unrolled: 3-line block ×32, first 2 shown]
	ds_read_b128 v[104:107], v88 offset:24624
	ds_read_b128 v[108:111], v88 offset:27184
	ds_read_b128 v[112:115], v35 offset:240
	ds_read_b128 v[116:119], v35 offset:496
	ds_read_b128 v[120:123], v35 offset:752
	ds_read_b128 v[124:127], v35 offset:1008
	ds_read_b128 v[128:131], v35 offset:1264
	ds_read_b128 v[132:135], v35 offset:1520
	ds_read_b128 v[136:139], v35 offset:1776
	ds_read_b128 v[140:143], v35 offset:2032
	s_waitcnt lgkmcnt(7)
	;;#ASMSTART
	v_dot2_f32_f16 v12, v104, v112, v12
	;;#ASMEND
	;;#ASMSTART
	v_dot2_f32_f16 v12, v105, v113, v12
	;;#ASMEND
	;;#ASMSTART
	v_dot2_f32_f16 v12, v106, v114, v12
	;;#ASMEND
	;;#ASMSTART
	v_dot2_f32_f16 v12, v107, v115, v12
	;;#ASMEND
	s_waitcnt lgkmcnt(6)
	;;#ASMSTART
	v_dot2_f32_f16 v13, v104, v116, v13
	;;#ASMEND
	;;#ASMSTART
	v_dot2_f32_f16 v13, v105, v117, v13
	;;#ASMEND
	;;#ASMSTART
	v_dot2_f32_f16 v13, v106, v118, v13
	;;#ASMEND
	;;#ASMSTART
	v_dot2_f32_f16 v13, v107, v119, v13
	;;#ASMEND
	;; [unrolled: 13-line block ×8, first 2 shown]
	;;#ASMSTART
	v_dot2_f32_f16 v33, v108, v112, v33
	;;#ASMEND
	;;#ASMSTART
	v_dot2_f32_f16 v33, v109, v113, v33
	;;#ASMEND
	;; [unrolled: 3-line block ×29, first 2 shown]
	v_add_u32_e32 v120, s18, v56
	;;#ASMSTART
	v_dot2_f32_f16 v9, v109, v141, v9
	;;#ASMEND
	v_add_u32_e32 v10, v120, v34
	;;#ASMSTART
	v_dot2_f32_f16 v9, v110, v142, v9
	;;#ASMEND
	v_ashrrev_i32_e32 v11, 31, v10
	v_mov_b32_e32 v104, 0
	;;#ASMSTART
	v_dot2_f32_f16 v9, v111, v143, v9
	;;#ASMEND
	s_cbranch_vccnz .LBB52_10
; %bb.9:                                ;   in Loop: Header=BB52_8 Depth=1
	v_lshlrev_b64 v[104:105], 1, v[10:11]
	v_mov_b32_e32 v106, s15
	v_add_co_u32_e32 v104, vcc, s14, v104
	v_addc_co_u32_e32 v105, vcc, v106, v105, vcc
	flat_load_ushort v104, v[104:105]
	s_waitcnt vmcnt(0) lgkmcnt(0)
	v_cvt_f32_f16_e32 v104, v104
	v_mul_f32_e32 v104, v62, v104
.LBB52_10:                              ;   in Loop: Header=BB52_8 Depth=1
	s_and_b64 vcc, exec, s[6:7]
	v_mov_b32_e32 v105, 0
	v_mov_b32_e32 v106, 0
	s_cbranch_vccnz .LBB52_12
; %bb.11:                               ;   in Loop: Header=BB52_8 Depth=1
	v_lshlrev_b64 v[10:11], 1, v[10:11]
	v_mov_b32_e32 v106, s26
	v_add_co_u32_e32 v10, vcc, s21, v10
	v_addc_co_u32_e32 v11, vcc, v106, v11, vcc
	flat_load_ushort v10, v[10:11]
	s_waitcnt vmcnt(0) lgkmcnt(0)
	v_cvt_f32_f16_e32 v10, v10
	v_mul_f32_e32 v106, v62, v10
.LBB52_12:                              ;   in Loop: Header=BB52_8 Depth=1
	v_and_b32_e32 v11, 0x60, v101
	v_add_f32_e32 v104, v12, v104
	v_add_u32_e32 v11, 32, v11
	v_xor_b32_e32 v12, 16, v101
	v_cmp_lt_i32_e32 vcc, v12, v11
	v_cndmask_b32_e32 v12, v101, v12, vcc
	v_lshlrev_b32_e32 v117, 2, v12
	v_add_f32_e32 v12, v33, v106
	v_add_f32_e32 v10, 0x40051340, v104
	;; [unrolled: 1-line block ×3, first 2 shown]
	v_max3_f32 v10, v4, v10, v33
	ds_bpermute_b32 v33, v117, v10
	v_xor_b32_e32 v106, 8, v101
	v_cmp_lt_i32_e32 vcc, v106, v11
	v_cndmask_b32_e32 v106, v101, v106, vcc
	v_lshlrev_b32_e32 v122, 2, v106
	s_waitcnt lgkmcnt(0)
	v_max_f32_e32 v33, v33, v33
	v_max_f32_e32 v10, v10, v33
	ds_bpermute_b32 v33, v122, v10
	v_xor_b32_e32 v106, 4, v101
	v_cmp_lt_i32_e32 vcc, v106, v11
	v_cndmask_b32_e32 v106, v101, v106, vcc
	v_lshlrev_b32_e32 v121, 2, v106
	s_waitcnt lgkmcnt(0)
	v_max_f32_e32 v33, v33, v33
	v_max_f32_e32 v10, v10, v33
	;; [unrolled: 8-line block ×4, first 2 shown]
	ds_bpermute_b32 v108, v116, v107
	v_add_u32_e32 v10, v120, v89
	s_and_b64 vcc, exec, s[6:7]
	v_ashrrev_i32_e32 v11, 31, v10
	s_cbranch_vccnz .LBB52_14
; %bb.13:                               ;   in Loop: Header=BB52_8 Depth=1
	v_lshlrev_b64 v[110:111], 1, v[10:11]
	v_mov_b32_e32 v33, s15
	v_add_co_u32_e32 v110, vcc, s14, v110
	v_addc_co_u32_e32 v111, vcc, v33, v111, vcc
	flat_load_ushort v33, v[110:111]
	s_waitcnt vmcnt(0) lgkmcnt(0)
	v_cvt_f32_f16_e32 v33, v33
	v_mul_f32_e32 v105, v62, v33
.LBB52_14:                              ;   in Loop: Header=BB52_8 Depth=1
	s_and_b64 vcc, exec, s[6:7]
	v_mov_b32_e32 v33, 0
	v_mov_b32_e32 v106, 0
	s_cbranch_vccnz .LBB52_16
; %bb.15:                               ;   in Loop: Header=BB52_8 Depth=1
	v_lshlrev_b64 v[10:11], 1, v[10:11]
	v_mov_b32_e32 v106, s26
	v_add_co_u32_e32 v10, vcc, s21, v10
	v_addc_co_u32_e32 v11, vcc, v106, v11, vcc
	flat_load_ushort v10, v[10:11]
	s_waitcnt vmcnt(0) lgkmcnt(0)
	v_cvt_f32_f16_e32 v10, v10
	v_mul_f32_e32 v106, v62, v10
.LBB52_16:                              ;   in Loop: Header=BB52_8 Depth=1
	v_add_f32_e32 v109, v13, v105
	v_add_f32_e32 v13, v32, v106
	v_add_f32_e32 v10, 0x40051340, v109
	v_add_f32_e32 v11, 0x40051340, v13
	v_max3_f32 v10, v5, v10, v11
	ds_bpermute_b32 v11, v117, v10
	s_and_b64 vcc, exec, s[6:7]
	s_waitcnt lgkmcnt(0)
	v_max_f32_e32 v11, v11, v11
	v_max_f32_e32 v10, v10, v11
	ds_bpermute_b32 v11, v122, v10
	s_waitcnt lgkmcnt(0)
	v_max_f32_e32 v11, v11, v11
	v_max_f32_e32 v10, v10, v11
	ds_bpermute_b32 v11, v121, v10
	s_waitcnt lgkmcnt(0)
	v_max_f32_e32 v11, v11, v11
	v_max_f32_e32 v10, v10, v11
	ds_bpermute_b32 v11, v119, v10
	s_waitcnt lgkmcnt(0)
	v_max_f32_e32 v11, v11, v11
	v_max_f32_e32 v112, v10, v11
	ds_bpermute_b32 v113, v116, v112
	v_add_u32_e32 v10, v120, v90
	v_ashrrev_i32_e32 v11, 31, v10
	s_cbranch_vccnz .LBB52_18
; %bb.17:                               ;   in Loop: Header=BB52_8 Depth=1
	v_lshlrev_b64 v[32:33], 1, v[10:11]
	v_mov_b32_e32 v105, s15
	v_add_co_u32_e32 v32, vcc, s14, v32
	v_addc_co_u32_e32 v33, vcc, v105, v33, vcc
	flat_load_ushort v32, v[32:33]
	s_waitcnt vmcnt(0) lgkmcnt(0)
	v_cvt_f32_f16_e32 v32, v32
	v_mul_f32_e32 v33, v62, v32
.LBB52_18:                              ;   in Loop: Header=BB52_8 Depth=1
	s_and_b64 vcc, exec, s[6:7]
	v_mov_b32_e32 v32, 0
	v_mov_b32_e32 v105, 0
	s_cbranch_vccnz .LBB52_20
; %bb.19:                               ;   in Loop: Header=BB52_8 Depth=1
	v_lshlrev_b64 v[10:11], 1, v[10:11]
	v_mov_b32_e32 v105, s26
	v_add_co_u32_e32 v10, vcc, s21, v10
	v_addc_co_u32_e32 v11, vcc, v105, v11, vcc
	flat_load_ushort v10, v[10:11]
	s_waitcnt vmcnt(0) lgkmcnt(0)
	v_cvt_f32_f16_e32 v10, v10
	v_mul_f32_e32 v105, v62, v10
.LBB52_20:                              ;   in Loop: Header=BB52_8 Depth=1
	v_add_f32_e32 v114, v14, v33
	v_add_f32_e32 v14, v31, v105
	v_add_f32_e32 v10, 0x40051340, v114
	v_add_f32_e32 v11, 0x40051340, v14
	v_max3_f32 v10, v2, v10, v11
	ds_bpermute_b32 v11, v117, v10
	s_and_b64 vcc, exec, s[6:7]
	s_waitcnt lgkmcnt(0)
	v_max_f32_e32 v11, v11, v11
	v_max_f32_e32 v10, v10, v11
	ds_bpermute_b32 v11, v122, v10
	s_waitcnt lgkmcnt(0)
	v_max_f32_e32 v11, v11, v11
	v_max_f32_e32 v10, v10, v11
	ds_bpermute_b32 v11, v121, v10
	s_waitcnt lgkmcnt(0)
	v_max_f32_e32 v11, v11, v11
	v_max_f32_e32 v10, v10, v11
	ds_bpermute_b32 v11, v119, v10
	s_waitcnt lgkmcnt(0)
	v_max_f32_e32 v11, v11, v11
	v_max_f32_e32 v115, v10, v11
	ds_bpermute_b32 v118, v116, v115
	v_add_u32_e32 v10, v120, v91
	;; [unrolled: 50-line block ×4, first 2 shown]
	v_ashrrev_i32_e32 v25, 31, v24
	s_cbranch_vccnz .LBB52_30
; %bb.29:                               ;   in Loop: Header=BB52_8 Depth=1
	v_lshlrev_b64 v[30:31], 1, v[24:25]
	v_mov_b32_e32 v11, s15
	v_add_co_u32_e32 v30, vcc, s14, v30
	v_addc_co_u32_e32 v31, vcc, v11, v31, vcc
	flat_load_ushort v11, v[30:31]
	s_waitcnt vmcnt(0) lgkmcnt(0)
	v_cvt_f32_f16_e32 v11, v11
	v_mul_f32_e32 v30, v62, v11
.LBB52_30:                              ;   in Loop: Header=BB52_8 Depth=1
	s_and_b64 vcc, exec, s[6:7]
	v_mov_b32_e32 v31, 0
	v_mov_b32_e32 v11, 0
	s_cbranch_vccnz .LBB52_32
; %bb.31:                               ;   in Loop: Header=BB52_8 Depth=1
	v_lshlrev_b64 v[24:25], 1, v[24:25]
	v_mov_b32_e32 v11, s26
	v_add_co_u32_e32 v24, vcc, s21, v24
	v_addc_co_u32_e32 v25, vcc, v11, v25, vcc
	flat_load_ushort v11, v[24:25]
	s_waitcnt vmcnt(0) lgkmcnt(0)
	v_cvt_f32_f16_e32 v11, v11
	v_mul_f32_e32 v11, v62, v11
.LBB52_32:                              ;   in Loop: Header=BB52_8 Depth=1
	v_add_f32_e32 v33, v26, v30
	v_add_f32_e32 v11, v27, v11
	;; [unrolled: 1-line block ×4, first 2 shown]
	v_max3_f32 v24, v1, v24, v25
	ds_bpermute_b32 v25, v117, v24
	v_add_u32_e32 v26, v120, v94
	s_and_b64 vcc, exec, s[6:7]
	v_ashrrev_i32_e32 v27, 31, v26
	s_waitcnt lgkmcnt(0)
	v_max_f32_e32 v25, v25, v25
	v_max_f32_e32 v24, v24, v25
	ds_bpermute_b32 v25, v122, v24
	s_waitcnt lgkmcnt(0)
	v_max_f32_e32 v25, v25, v25
	v_max_f32_e32 v24, v24, v25
	ds_bpermute_b32 v25, v121, v24
	;; [unrolled: 4-line block ×4, first 2 shown]
	s_cbranch_vccnz .LBB52_34
; %bb.33:                               ;   in Loop: Header=BB52_8 Depth=1
	v_lshlrev_b64 v[24:25], 1, v[26:27]
	v_mov_b32_e32 v30, s15
	v_add_co_u32_e32 v24, vcc, s14, v24
	v_addc_co_u32_e32 v25, vcc, v30, v25, vcc
	flat_load_ushort v24, v[24:25]
	s_waitcnt vmcnt(0) lgkmcnt(0)
	v_cvt_f32_f16_e32 v24, v24
	v_mul_f32_e32 v31, v62, v24
.LBB52_34:                              ;   in Loop: Header=BB52_8 Depth=1
	s_and_b64 vcc, exec, s[6:7]
	v_mov_b32_e32 v24, 0
	v_mov_b32_e32 v25, 0
	s_cbranch_vccnz .LBB52_36
; %bb.35:                               ;   in Loop: Header=BB52_8 Depth=1
	v_lshlrev_b64 v[26:27], 1, v[26:27]
	v_mov_b32_e32 v25, s26
	v_add_co_u32_e32 v26, vcc, s21, v26
	v_addc_co_u32_e32 v27, vcc, v25, v27, vcc
	flat_load_ushort v25, v[26:27]
	s_waitcnt vmcnt(0) lgkmcnt(0)
	v_cvt_f32_f16_e32 v25, v25
	v_mul_f32_e32 v25, v62, v25
.LBB52_36:                              ;   in Loop: Header=BB52_8 Depth=1
	v_add_f32_e32 v31, v28, v31
	v_add_f32_e32 v28, v29, v25
	;; [unrolled: 1-line block ×4, first 2 shown]
	v_max3_f32 v25, v6, v26, v25
	ds_bpermute_b32 v26, v117, v25
	s_and_b64 vcc, exec, s[6:7]
	s_waitcnt lgkmcnt(0)
	v_max_f32_e32 v26, v26, v26
	v_max_f32_e32 v25, v25, v26
	ds_bpermute_b32 v26, v122, v25
	s_waitcnt lgkmcnt(0)
	v_max_f32_e32 v26, v26, v26
	v_max_f32_e32 v25, v25, v26
	ds_bpermute_b32 v26, v121, v25
	;; [unrolled: 4-line block ×4, first 2 shown]
	v_add_u32_e32 v26, v120, v95
	v_ashrrev_i32_e32 v27, 31, v26
	s_cbranch_vccnz .LBB52_38
; %bb.37:                               ;   in Loop: Header=BB52_8 Depth=1
	v_lshlrev_b64 v[24:25], 1, v[26:27]
	v_mov_b32_e32 v120, s15
	v_add_co_u32_e32 v24, vcc, s14, v24
	v_addc_co_u32_e32 v25, vcc, v120, v25, vcc
	flat_load_ushort v24, v[24:25]
	s_waitcnt vmcnt(0) lgkmcnt(0)
	v_cvt_f32_f16_e32 v24, v24
	v_mul_f32_e32 v24, v62, v24
.LBB52_38:                              ;   in Loop: Header=BB52_8 Depth=1
	s_and_b64 vcc, exec, s[6:7]
	s_cbranch_vccnz .LBB52_40
; %bb.39:                               ;   in Loop: Header=BB52_8 Depth=1
	v_lshlrev_b64 v[26:27], 1, v[26:27]
	v_mov_b32_e32 v25, s26
	v_add_co_u32_e32 v26, vcc, s21, v26
	v_addc_co_u32_e32 v27, vcc, v25, v27, vcc
	flat_load_ushort v25, v[26:27]
	s_waitcnt vmcnt(0) lgkmcnt(0)
	v_cvt_f32_f16_e32 v25, v25
	v_mul_f32_e32 v25, v62, v25
	s_branch .LBB52_41
.LBB52_40:                              ;   in Loop: Header=BB52_8 Depth=1
	v_mov_b32_e32 v25, 0
.LBB52_41:                              ;   in Loop: Header=BB52_8 Depth=1
	v_pk_add_f32 v[24:25], v[8:9], v[24:25]
	v_add_f32_e32 v8, 0x40051340, v24
	v_add_f32_e32 v9, 0x40051340, v25
	v_max3_f32 v8, v7, v8, v9
	ds_bpermute_b32 v9, v117, v8
	s_waitcnt lgkmcnt(1)
	v_max_f32_e32 v26, v30, v30
	v_max_f32_e32 v27, v29, v29
	v_max_f32_e32 v30, v27, v26
	v_sub_f32_e32 v26, v31, v30
	s_waitcnt lgkmcnt(0)
	v_max_f32_e32 v9, v9, v9
	v_max_f32_e32 v8, v8, v9
	ds_bpermute_b32 v9, v122, v8
	v_mul_f32_e32 v27, 0x3fb8aa3b, v26
	v_fma_f32 v29, v26, s27, -v27
	v_rndne_f32_e32 v31, v27
	v_fmac_f32_e32 v29, 0x32a5705f, v26
	s_waitcnt lgkmcnt(0)
	v_max_f32_e32 v9, v9, v9
	v_max_f32_e32 v8, v8, v9
	ds_bpermute_b32 v9, v121, v8
	v_sub_f32_e32 v27, v27, v31
	v_add_f32_e32 v27, v27, v29
	v_cvt_i32_f32_e32 v31, v31
	v_exp_f32_e32 v27, v27
	s_waitcnt lgkmcnt(0)
	v_max_f32_e32 v9, v9, v9
	v_max_f32_e32 v8, v8, v9
	ds_bpermute_b32 v9, v119, v8
	v_sub_f32_e32 v28, v28, v30
	v_ldexp_f32 v27, v27, v31
	v_cmp_ngt_f32_e32 vcc, s40, v26
	v_cndmask_b32_e32 v27, 0, v27, vcc
	s_waitcnt lgkmcnt(0)
	v_max_f32_e32 v9, v9, v9
	v_max_f32_e32 v8, v8, v9
	ds_bpermute_b32 v9, v116, v8
	v_cmp_nlt_f32_e32 vcc, s41, v26
	v_cndmask_b32_e32 v26, v103, v27, vcc
	v_cmp_ngt_f32_e32 vcc, s40, v28
	s_mul_hi_i32 s43, s18, s8
	s_waitcnt lgkmcnt(0)
	v_max_f32_e32 v9, v9, v9
	v_max_f32_e32 v31, v8, v9
	v_mul_f32_e32 v8, 0x3fb8aa3b, v28
	v_fma_f32 v9, v28, s27, -v8
	v_rndne_f32_e32 v29, v8
	v_fmac_f32_e32 v9, 0x32a5705f, v28
	v_sub_f32_e32 v8, v8, v29
	v_add_f32_e32 v8, v8, v9
	v_exp_f32_e32 v9, v8
	v_cvt_i32_f32_e32 v29, v29
	v_pk_add_f32 v[6:7], v[6:7], v[30:31] neg_lo:[0,1] neg_hi:[0,1]
	v_mul_f32_e32 v27, 0x3fb8aa3b, v7
	v_rndne_f32_e32 v116, v27
	v_ldexp_f32 v9, v9, v29
	v_fma_f32 v29, v7, s27, -v27
	v_fmac_f32_e32 v29, 0x32a5705f, v7
	v_sub_f32_e32 v27, v27, v116
	v_add_f32_e32 v27, v27, v29
	v_cvt_i32_f32_e32 v29, v116
	v_mul_f32_e32 v116, 0x3fb8aa3b, v6
	v_fma_f32 v117, v6, s27, -v116
	v_rndne_f32_e32 v119, v116
	v_fmac_f32_e32 v117, 0x32a5705f, v6
	v_sub_f32_e32 v116, v116, v119
	v_exp_f32_e32 v27, v27
	v_add_f32_e32 v116, v116, v117
	v_exp_f32_e32 v116, v116
	v_cvt_i32_f32_e32 v117, v119
	v_cndmask_b32_e32 v9, 0, v9, vcc
	v_cmp_nlt_f32_e32 vcc, s41, v28
	v_cndmask_b32_e32 v28, v103, v9, vcc
	v_ldexp_f32 v27, v27, v29
	v_cmp_ngt_f32_e32 vcc, s40, v7
	v_cndmask_b32_e32 v27, 0, v27, vcc
	v_ldexp_f32 v29, v116, v117
	v_cmp_ngt_f32_e32 vcc, s40, v6
	v_cndmask_b32_e32 v29, 0, v29, vcc
	v_cmp_nlt_f32_e32 vcc, s41, v6
	v_mov_b32_e32 v6, v31
	v_cndmask_b32_e32 v116, v103, v29, vcc
	v_pk_add_f32 v[24:25], v[24:25], v[6:7] op_sel_hi:[1,0] neg_lo:[0,1] neg_hi:[0,1]
	v_cvt_f16_f32_e32 v29, v116
	v_mul_f32_e32 v6, 0x3fb8aa3b, v25
	v_fma_f32 v117, v25, s27, -v6
	v_rndne_f32_e32 v119, v6
	v_fmac_f32_e32 v117, 0x32a5705f, v25
	v_sub_f32_e32 v6, v6, v119
	v_add_f32_e32 v6, v6, v117
	v_exp_f32_e32 v120, v6
	v_cmp_nlt_f32_e32 vcc, s41, v7
	v_pk_mul_f16 v7, v29, v74 op_sel_hi:[0,1]
	v_pk_mul_f16 v6, v29, v75 op_sel_hi:[0,1]
	v_mul_f32_e32 v29, 0x3fb8aa3b, v24
	v_fma_f32 v74, v24, s27, -v29
	v_rndne_f32_e32 v75, v29
	v_cvt_i32_f32_e32 v119, v119
	v_fmac_f32_e32 v74, 0x32a5705f, v24
	v_sub_f32_e32 v29, v29, v75
	v_add_f32_e32 v29, v29, v74
	v_exp_f32_e32 v74, v29
	v_cvt_i32_f32_e32 v75, v75
	v_cndmask_b32_e32 v117, v103, v27, vcc
	v_ldexp_f32 v27, v120, v119
	v_cmp_ngt_f32_e32 vcc, s40, v25
	v_cndmask_b32_e32 v27, 0, v27, vcc
	v_cmp_nlt_f32_e32 vcc, s41, v25
	v_cndmask_b32_e32 v29, v103, v27, vcc
	v_ldexp_f32 v25, v74, v75
	v_cmp_ngt_f32_e32 vcc, s40, v24
	v_cndmask_b32_e32 v25, 0, v25, vcc
	v_cmp_nlt_f32_e32 vcc, s41, v24
	v_cndmask_b32_e32 v27, v103, v25, vcc
	v_pk_add_f32 v[24:25], v[26:27], v[28:29]
	v_pk_fma_f32 v[22:23], v[22:23], v[116:117], v[24:25]
	v_max_f32_e32 v24, v118, v118
	v_max_f32_e32 v25, v115, v115
	v_cvt_f16_f32_e32 v8, v26
	v_max_f32_e32 v26, v25, v24
	v_max_f32_e32 v24, v125, v125
	v_max_f32_e32 v25, v124, v124
	v_cvt_f16_f32_e32 v74, v27
	v_max_f32_e32 v27, v25, v24
	;; [unrolled: 4-line block ×3, first 2 shown]
	v_max_f32_e32 v24, v108, v108
	v_max_f32_e32 v28, v107, v107
	;; [unrolled: 1-line block ×3, first 2 shown]
	v_sub_f32_e32 v28, v114, v26
	v_cvt_f16_f32_e32 v75, v29
	v_mul_f32_e32 v29, 0x3fb8aa3b, v28
	v_fma_f32 v107, v28, s27, -v29
	v_rndne_f32_e32 v108, v29
	v_fmac_f32_e32 v107, 0x32a5705f, v28
	v_sub_f32_e32 v29, v29, v108
	v_add_f32_e32 v29, v29, v107
	v_exp_f32_e32 v29, v29
	v_cvt_i32_f32_e32 v107, v108
	v_sub_f32_e32 v108, v109, v25
	v_sub_f32_e32 v109, v123, v27
	v_cmp_ngt_f32_e32 vcc, s40, v28
	v_ldexp_f32 v29, v29, v107
	v_mul_f32_e32 v107, 0x3fb8aa3b, v109
	v_fma_f32 v112, v109, s27, -v107
	v_rndne_f32_e32 v113, v107
	v_fmac_f32_e32 v112, 0x32a5705f, v109
	v_sub_f32_e32 v107, v107, v113
	v_add_f32_e32 v107, v107, v112
	v_exp_f32_e32 v107, v107
	v_cvt_i32_f32_e32 v112, v113
	v_cndmask_b32_e32 v29, 0, v29, vcc
	v_cmp_nlt_f32_e32 vcc, s41, v28
	v_cndmask_b32_e32 v28, v103, v29, vcc
	v_ldexp_f32 v29, v107, v112
	v_mul_f32_e32 v107, 0x3fb8aa3b, v108
	v_fma_f32 v112, v108, s27, -v107
	v_rndne_f32_e32 v113, v107
	v_fmac_f32_e32 v112, 0x32a5705f, v108
	v_sub_f32_e32 v107, v107, v113
	v_add_f32_e32 v107, v107, v112
	v_exp_f32_e32 v107, v107
	v_cvt_i32_f32_e32 v112, v113
	v_sub_f32_e32 v104, v104, v24
	v_cmp_ngt_f32_e32 vcc, s40, v109
	v_cndmask_b32_e32 v29, 0, v29, vcc
	v_cmp_nlt_f32_e32 vcc, s41, v109
	v_mul_f32_e32 v109, 0x3fb8aa3b, v104
	v_ldexp_f32 v107, v107, v112
	v_fma_f32 v112, v104, s27, -v109
	v_rndne_f32_e32 v113, v109
	v_fmac_f32_e32 v112, 0x32a5705f, v104
	v_sub_f32_e32 v109, v109, v113
	v_add_f32_e32 v109, v109, v112
	v_exp_f32_e32 v112, v109
	v_cvt_i32_f32_e32 v113, v113
	v_cndmask_b32_e32 v29, v103, v29, vcc
	v_cmp_ngt_f32_e32 vcc, s40, v108
	v_pk_add_f32 v[12:13], v[12:13], v[24:25] neg_lo:[0,1] neg_hi:[0,1]
	v_cndmask_b32_e32 v107, 0, v107, vcc
	v_cmp_nlt_f32_e32 vcc, s41, v108
	v_mul_f32_e32 v108, 0x3fb8aa3b, v13
	v_cndmask_b32_e32 v109, v103, v107, vcc
	v_ldexp_f32 v107, v112, v113
	v_fma_f32 v112, v13, s27, -v108
	v_rndne_f32_e32 v113, v108
	v_fmac_f32_e32 v112, 0x32a5705f, v13
	v_sub_f32_e32 v108, v108, v113
	v_add_f32_e32 v108, v108, v112
	v_exp_f32_e32 v112, v108
	v_cvt_i32_f32_e32 v113, v113
	v_cmp_ngt_f32_e32 vcc, s40, v104
	v_cndmask_b32_e32 v107, 0, v107, vcc
	v_cmp_nlt_f32_e32 vcc, s41, v104
	v_cndmask_b32_e32 v108, v103, v107, vcc
	v_mul_f32_e32 v107, 0x3fb8aa3b, v12
	v_ldexp_f32 v104, v112, v113
	v_fma_f32 v112, v12, s27, -v107
	v_rndne_f32_e32 v113, v107
	v_fmac_f32_e32 v112, 0x32a5705f, v12
	v_sub_f32_e32 v107, v107, v113
	v_add_f32_e32 v107, v107, v112
	v_exp_f32_e32 v107, v107
	v_cvt_i32_f32_e32 v112, v113
	v_cmp_ngt_f32_e32 vcc, s40, v13
	v_cndmask_b32_e32 v104, 0, v104, vcc
	v_cmp_nlt_f32_e32 vcc, s41, v13
	v_cndmask_b32_e32 v13, v103, v104, vcc
	v_ldexp_f32 v104, v107, v112
	v_cmp_ngt_f32_e32 vcc, s40, v12
	v_cndmask_b32_e32 v104, 0, v104, vcc
	v_cmp_nlt_f32_e32 vcc, s41, v12
	v_cndmask_b32_e32 v12, v103, v104, vcc
	v_pk_add_f32 v[4:5], v[4:5], v[24:25] neg_lo:[0,1] neg_hi:[0,1]
	v_cvt_f16_f32_e32 v104, v12
	v_pk_add_f32 v[112:113], v[108:109], v[12:13]
	v_mul_f32_e32 v12, 0x3fb8aa3b, v5
	v_fma_f32 v107, v5, s27, -v12
	v_rndne_f32_e32 v114, v12
	v_fmac_f32_e32 v107, 0x32a5705f, v5
	v_sub_f32_e32 v12, v12, v114
	v_add_f32_e32 v12, v12, v107
	v_cvt_i32_f32_e32 v107, v114
	v_mul_f32_e32 v114, 0x3fb8aa3b, v4
	v_fma_f32 v115, v4, s27, -v114
	v_rndne_f32_e32 v116, v114
	v_fmac_f32_e32 v115, 0x32a5705f, v4
	v_sub_f32_e32 v114, v114, v116
	v_exp_f32_e32 v12, v12
	v_add_f32_e32 v114, v114, v115
	v_exp_f32_e32 v114, v114
	v_cvt_i32_f32_e32 v115, v116
	v_ldexp_f32 v12, v12, v107
	v_cmp_ngt_f32_e32 vcc, s40, v5
	v_cndmask_b32_e32 v12, 0, v12, vcc
	v_ldexp_f32 v107, v114, v115
	v_cmp_ngt_f32_e32 vcc, s40, v4
	v_cndmask_b32_e32 v107, 0, v107, vcc
	v_cmp_nlt_f32_e32 vcc, s41, v4
	v_cndmask_b32_e32 v4, v103, v107, vcc
	v_cmp_nlt_f32_e32 vcc, s41, v5
	v_cndmask_b32_e32 v5, v103, v12, vcc
	v_cvt_f16_f32_e32 v107, v4
	v_pk_fma_f32 v[16:17], v[16:17], v[4:5], v[112:113]
	v_cvt_f16_f32_e32 v4, v5
	v_pk_add_f32 v[2:3], v[2:3], v[26:27] neg_lo:[0,1] neg_hi:[0,1]
	v_pk_mul_f16 v85, v107, v85 op_sel_hi:[0,1]
	v_pk_mul_f16 v86, v107, v86 op_sel_hi:[0,1]
	;; [unrolled: 1-line block ×4, first 2 shown]
	v_pk_add_f32 v[4:5], v[14:15], v[26:27] neg_lo:[0,1] neg_hi:[0,1]
	v_mul_f32_e32 v12, 0x3fb8aa3b, v5
	v_cvt_f16_f32_e32 v107, v13
	v_fma_f32 v13, v5, s27, -v12
	v_rndne_f32_e32 v14, v12
	v_fmac_f32_e32 v13, 0x32a5705f, v5
	v_sub_f32_e32 v12, v12, v14
	v_add_f32_e32 v12, v12, v13
	v_exp_f32_e32 v12, v12
	v_cvt_i32_f32_e32 v13, v14
	v_cmp_ngt_f32_e32 vcc, s40, v5
	v_cvt_f16_f32_e32 v14, v108
	v_cvt_f16_f32_e32 v15, v29
	v_ldexp_f32 v12, v12, v13
	v_mul_f32_e32 v13, 0x3fb8aa3b, v4
	v_fma_f32 v112, v4, s27, -v13
	v_rndne_f32_e32 v113, v13
	v_fmac_f32_e32 v112, 0x32a5705f, v4
	v_sub_f32_e32 v13, v13, v113
	v_add_f32_e32 v13, v13, v112
	v_exp_f32_e32 v13, v13
	v_cvt_i32_f32_e32 v112, v113
	v_cndmask_b32_e32 v12, 0, v12, vcc
	v_cmp_nlt_f32_e32 vcc, s41, v5
	v_cndmask_b32_e32 v5, v103, v12, vcc
	v_ldexp_f32 v12, v13, v112
	v_cmp_ngt_f32_e32 vcc, s40, v4
	v_cndmask_b32_e32 v12, 0, v12, vcc
	v_cmp_nlt_f32_e32 vcc, s41, v4
	v_cndmask_b32_e32 v4, v103, v12, vcc
	v_cvt_f16_f32_e32 v112, v4
	v_pk_add_f32 v[12:13], v[28:29], v[4:5]
	v_mul_f32_e32 v4, 0x3fb8aa3b, v3
	v_cvt_f16_f32_e32 v108, v28
	v_fma_f32 v28, v3, s27, -v4
	v_rndne_f32_e32 v29, v4
	v_fmac_f32_e32 v28, 0x32a5705f, v3
	v_sub_f32_e32 v4, v4, v29
	v_add_f32_e32 v4, v4, v28
	v_cvt_i32_f32_e32 v28, v29
	v_mul_f32_e32 v29, 0x3fb8aa3b, v2
	v_fma_f32 v113, v2, s27, -v29
	v_rndne_f32_e32 v114, v29
	v_fmac_f32_e32 v113, 0x32a5705f, v2
	v_sub_f32_e32 v29, v29, v114
	v_exp_f32_e32 v4, v4
	v_add_f32_e32 v29, v29, v113
	v_exp_f32_e32 v29, v29
	v_cvt_i32_f32_e32 v113, v114
	v_ldexp_f32 v4, v4, v28
	v_cmp_ngt_f32_e32 vcc, s40, v3
	v_cndmask_b32_e32 v4, 0, v4, vcc
	v_ldexp_f32 v28, v29, v113
	v_cmp_ngt_f32_e32 vcc, s40, v2
	v_cndmask_b32_e32 v28, 0, v28, vcc
	v_cmp_nlt_f32_e32 vcc, s41, v2
	v_cndmask_b32_e32 v2, v103, v28, vcc
	v_cvt_f16_f32_e32 v28, v2
	v_cmp_nlt_f32_e32 vcc, s41, v3
	v_cndmask_b32_e32 v3, v103, v4, vcc
	v_pk_fma_f32 v[18:19], v[18:19], v[2:3], v[12:13]
	v_cvt_f16_f32_e32 v2, v3
	v_max_f32_e32 v3, v111, v111
	v_max_f32_e32 v4, v110, v110
	;; [unrolled: 1-line block ×5, first 2 shown]
	v_pk_mul_f16 v79, v28, v79 op_sel_hi:[0,1]
	v_pk_mul_f16 v80, v28, v80 op_sel_hi:[0,1]
	v_max_f32_e32 v28, v4, v3
	v_pk_add_f32 v[12:13], v[32:33], v[28:29] neg_lo:[0,1] neg_hi:[0,1]
	v_mul_f32_e32 v3, 0x3fb8aa3b, v13
	v_fma_f32 v4, v13, s27, -v3
	v_rndne_f32_e32 v32, v3
	v_fmac_f32_e32 v4, 0x32a5705f, v13
	v_sub_f32_e32 v3, v3, v32
	v_add_f32_e32 v3, v3, v4
	v_exp_f32_e32 v3, v3
	v_cvt_i32_f32_e32 v4, v32
	v_pk_mul_f16 v33, v2, v71 op_sel_hi:[0,1]
	v_pk_mul_f16 v71, v2, v72 op_sel_hi:[0,1]
	v_cvt_f16_f32_e32 v32, v5
	v_ldexp_f32 v2, v3, v4
	v_mul_f32_e32 v3, 0x3fb8aa3b, v12
	v_fma_f32 v4, v12, s27, -v3
	v_rndne_f32_e32 v5, v3
	v_fmac_f32_e32 v4, 0x32a5705f, v12
	v_sub_f32_e32 v3, v3, v5
	v_add_f32_e32 v3, v3, v4
	v_exp_f32_e32 v3, v3
	v_cvt_i32_f32_e32 v4, v5
	v_cmp_ngt_f32_e32 vcc, s40, v13
	s_mul_i32 s42, s18, s8
	v_cndmask_b32_e32 v2, 0, v2, vcc
	v_cmp_nlt_f32_e32 vcc, s41, v13
	s_lshl_b64 s[42:43], s[42:43], 2
	v_cndmask_b32_e32 v13, v103, v2, vcc
	v_ldexp_f32 v72, v3, v4
	v_mov_b32_e32 v3, s43
	v_add_co_u32_e32 v2, vcc, s42, v98
	v_addc_co_u32_e32 v3, vcc, v99, v3, vcc
	s_barrier
	global_load_dwordx4 v[2:5], v[2:3], off
	v_pk_add_f32 v[10:11], v[10:11], v[28:29] neg_lo:[0,1] neg_hi:[0,1]
	v_mul_f32_e32 v105, 0x3fb8aa3b, v11
	v_fma_f32 v106, v11, s27, -v105
	v_rndne_f32_e32 v110, v105
	v_fmac_f32_e32 v106, 0x32a5705f, v11
	v_sub_f32_e32 v105, v105, v110
	v_add_f32_e32 v105, v105, v106
	v_exp_f32_e32 v105, v105
	v_cvt_i32_f32_e32 v106, v110
	v_cmp_ngt_f32_e32 vcc, s40, v12
	v_cndmask_b32_e32 v72, 0, v72, vcc
	v_cmp_nlt_f32_e32 vcc, s41, v12
	v_ldexp_f32 v105, v105, v106
	v_mul_f32_e32 v106, 0x3fb8aa3b, v10
	v_fma_f32 v111, v10, s27, -v106
	v_rndne_f32_e32 v113, v106
	v_fmac_f32_e32 v111, 0x32a5705f, v10
	v_sub_f32_e32 v106, v106, v113
	v_add_f32_e32 v106, v106, v111
	v_exp_f32_e32 v106, v106
	v_cvt_i32_f32_e32 v111, v113
	v_cndmask_b32_e32 v12, v103, v72, vcc
	v_cmp_ngt_f32_e32 vcc, s40, v11
	v_cndmask_b32_e32 v105, 0, v105, vcc
	v_cmp_nlt_f32_e32 vcc, s41, v11
	v_pk_add_f32 v[0:1], v[0:1], v[28:29] neg_lo:[0,1] neg_hi:[0,1]
	v_cndmask_b32_e32 v11, v103, v105, vcc
	v_ldexp_f32 v105, v106, v111
	v_mul_f32_e32 v106, 0x3fb8aa3b, v1
	v_fma_f32 v111, v1, s27, -v106
	v_rndne_f32_e32 v113, v106
	v_fmac_f32_e32 v111, 0x32a5705f, v1
	v_sub_f32_e32 v106, v106, v113
	v_add_f32_e32 v106, v106, v111
	v_cvt_i32_f32_e32 v111, v113
	v_mul_f32_e32 v113, 0x3fb8aa3b, v0
	v_fma_f32 v114, v0, s27, -v113
	v_rndne_f32_e32 v115, v113
	v_fmac_f32_e32 v114, 0x32a5705f, v0
	v_sub_f32_e32 v113, v113, v115
	v_add_f32_e32 v113, v113, v114
	v_exp_f32_e32 v106, v106
	v_exp_f32_e32 v113, v113
	v_cvt_i32_f32_e32 v114, v115
	v_cmp_ngt_f32_e32 vcc, s40, v10
	v_cndmask_b32_e32 v105, 0, v105, vcc
	v_cmp_nlt_f32_e32 vcc, s41, v10
	v_cndmask_b32_e32 v10, v103, v105, vcc
	v_ldexp_f32 v106, v106, v111
	v_ldexp_f32 v111, v113, v114
	v_cmp_ngt_f32_e32 vcc, s40, v0
	v_cndmask_b32_e32 v111, 0, v111, vcc
	v_cmp_nlt_f32_e32 vcc, s41, v0
	v_cndmask_b32_e32 v0, v103, v111, vcc
	v_cvt_f16_f32_e32 v111, v0
	v_cvt_f16_f32_e32 v109, v109
	;; [unrolled: 1-line block ×5, first 2 shown]
	v_cmp_ngt_f32_e32 vcc, s40, v1
	v_pk_mul_f16 v65, v111, v65 op_sel_hi:[0,1]
	v_pk_mul_f16 v66, v111, v66 op_sel_hi:[0,1]
	v_cvt_f16_f32_e32 v111, v11
	v_cndmask_b32_e32 v106, 0, v106, vcc
	v_cmp_nlt_f32_e32 vcc, s41, v1
	v_cndmask_b32_e32 v1, v103, v106, vcc
	v_pk_add_f32 v[12:13], v[12:13], v[10:11]
	v_pk_fma_f32 v[20:21], v[20:21], v[0:1], v[12:13]
	v_pack_b32_f16 v13, v8, v74
	v_pack_b32_f16 v12, v110, v72
	;; [unrolled: 1-line block ×4, first 2 shown]
	v_cvt_f16_f32_e32 v106, v1
	ds_write_b128 v102, v[10:13]
	v_pack_b32_f16 v11, v9, v75
	v_pack_b32_f16 v10, v105, v111
	;; [unrolled: 1-line block ×4, first 2 shown]
	ds_write_b128 v102, v[8:11] offset:512
	s_waitcnt vmcnt(0)
	ds_write_b128 v97, v[2:5]
	s_waitcnt lgkmcnt(0)
	s_barrier
	ds_read2_b64 v[0:3], v100 offset1:32
	ds_read_b128 v[8:11], v96
	v_cvt_f16_f32_e32 v119, v117
	v_pk_mul_f16 v64, v106, v64 op_sel_hi:[0,1]
	v_pk_mul_f16 v4, v106, v63 op_sel_hi:[0,1]
	ds_read_b128 v[12:15], v96 offset:16
	ds_read_b128 v[104:107], v96 offset:32
	;; [unrolled: 1-line block ×3, first 2 shown]
	v_pk_mul_f16 v69, v119, v69 op_sel_hi:[0,1]
	v_pk_mul_f16 v68, v119, v68 op_sel_hi:[0,1]
	s_waitcnt lgkmcnt(3)
	v_pk_fma_f16 v5, v0, v8, v85 op_sel_hi:[1,0,1]
	v_pk_fma_f16 v7, v0, v11, v7 op_sel_hi:[1,0,1]
	v_pk_fma_f16 v32, v0, v8, v83 op_sel:[0,1,0]
	v_pk_fma_f16 v63, v0, v9, v79 op_sel_hi:[1,0,1]
	v_pk_fma_f16 v33, v0, v9, v33 op_sel:[0,1,0]
	;; [unrolled: 2-line block ×3, first 2 shown]
	v_pk_fma_f16 v0, v0, v11, v69 op_sel:[0,1,0]
	v_pk_fma_f16 v69, v1, v8, v86 op_sel_hi:[1,0,1]
	v_pk_fma_f16 v8, v1, v8, v84 op_sel:[0,1,0]
	v_pk_fma_f16 v72, v1, v9, v80 op_sel_hi:[1,0,1]
	;; [unrolled: 2-line block ×4, first 2 shown]
	v_pk_fma_f16 v1, v1, v11, v68 op_sel:[0,1,0]
	s_waitcnt lgkmcnt(2)
	v_pk_fma_f16 v11, v2, v12, v5 op_sel_hi:[1,0,1]
	v_pk_fma_f16 v68, v2, v15, v7 op_sel_hi:[1,0,1]
	ds_read2_b64 v[4:7], v100 offset0:64 offset1:96
	v_pk_fma_f16 v32, v2, v12, v32 op_sel:[0,1,0]
	v_pk_fma_f16 v63, v2, v13, v63 op_sel_hi:[1,0,1]
	v_pk_fma_f16 v33, v2, v13, v33 op_sel:[0,1,0]
	v_pk_fma_f16 v65, v2, v14, v65 op_sel_hi:[1,0,1]
	v_pk_fma_f16 v64, v2, v14, v64 op_sel:[0,1,0]
	v_pk_fma_f16 v0, v2, v15, v0 op_sel:[0,1,0]
	v_pk_fma_f16 v2, v3, v12, v69 op_sel_hi:[1,0,1]
	v_pk_fma_f16 v8, v3, v12, v8 op_sel:[0,1,0]
	v_pk_fma_f16 v12, v3, v13, v72 op_sel_hi:[1,0,1]
	;; [unrolled: 2-line block ×4, first 2 shown]
	v_pk_fma_f16 v1, v3, v15, v1 op_sel:[0,1,0]
	s_waitcnt lgkmcnt(0)
	v_pk_fma_f16 v3, v4, v104, v11 op_sel_hi:[1,0,1]
	v_pk_fma_f16 v11, v4, v104, v32 op_sel:[0,1,0]
	v_pk_fma_f16 v15, v4, v105, v63 op_sel_hi:[1,0,1]
	v_pk_fma_f16 v32, v4, v105, v33 op_sel:[0,1,0]
	;; [unrolled: 2-line block ×9, first 2 shown]
	v_pk_fma_f16 v68, v6, v111, v0 op_sel:[0,1,0]
	v_pk_fma_f16 v69, v7, v108, v2 op_sel_hi:[1,0,1]
	v_pk_fma_f16 v72, v7, v109, v8 op_sel_hi:[1,0,1]
	v_pk_fma_f16 v74, v7, v109, v9 op_sel:[0,1,0]
	ds_read2_b64 v[0:3], v100 offset0:128 offset1:160
	ds_read_b128 v[8:11], v96 offset:64
	v_pk_fma_f16 v15, v6, v109, v15 op_sel_hi:[1,0,1]
	v_pk_fma_f16 v32, v6, v109, v32 op_sel:[0,1,0]
	v_pk_fma_f16 v33, v6, v110, v33 op_sel_hi:[1,0,1]
	v_pk_fma_f16 v63, v6, v110, v63 op_sel:[0,1,0]
	;; [unrolled: 2-line block ×5, first 2 shown]
	ds_read_b128 v[4:7], v96 offset:80
	s_waitcnt lgkmcnt(1)
	v_pk_fma_f16 v65, v0, v8, v65 op_sel_hi:[1,0,1]
	v_pk_fma_f16 v66, v0, v8, v66 op_sel:[0,1,0]
	v_pk_fma_f16 v15, v0, v9, v15 op_sel_hi:[1,0,1]
	v_pk_fma_f16 v32, v0, v9, v32 op_sel:[0,1,0]
	;; [unrolled: 2-line block ×8, first 2 shown]
	s_waitcnt lgkmcnt(0)
	v_pk_fma_f16 v65, v2, v4, v65 op_sel_hi:[1,0,1]
	v_pk_fma_f16 v66, v2, v4, v66 op_sel:[0,1,0]
	v_pk_fma_f16 v74, v2, v5, v15 op_sel_hi:[1,0,1]
	v_pk_fma_f16 v32, v2, v5, v32 op_sel:[0,1,0]
	;; [unrolled: 2-line block ×4, first 2 shown]
	v_pk_fma_f16 v79, v3, v6, v12 op_sel_hi:[1,0,1]
	ds_read2_b64 v[8:11], v100 offset0:192 offset1:224
	ds_read_b128 v[12:15], v96 offset:96
	v_pk_fma_f16 v33, v2, v6, v33 op_sel_hi:[1,0,1]
	v_pk_fma_f16 v63, v2, v6, v63 op_sel:[0,1,0]
	v_pk_fma_f16 v64, v2, v7, v64 op_sel_hi:[1,0,1]
	v_pk_fma_f16 v75, v2, v7, v0 op_sel:[0,1,0]
	v_pk_fma_f16 v6, v3, v6, v71 op_sel:[0,1,0]
	v_pk_fma_f16 v71, v3, v7, v72 op_sel_hi:[1,0,1]
	v_pk_fma_f16 v7, v3, v7, v1 op_sel:[0,1,0]
	ds_read_b128 v[0:3], v96 offset:112
	s_waitcnt lgkmcnt(1)
	v_pk_fma_f16 v65, v8, v12, v65 op_sel_hi:[1,0,1]
	v_pk_fma_f16 v66, v8, v12, v66 op_sel:[0,1,0]
	v_pk_fma_f16 v68, v9, v12, v68 op_sel_hi:[1,0,1]
	v_pk_fma_f16 v4, v9, v12, v4 op_sel:[0,1,0]
	v_pk_fma_f16 v72, v8, v13, v74 op_sel_hi:[1,0,1]
	v_pk_fma_f16 v32, v8, v13, v32 op_sel:[0,1,0]
	v_pk_fma_f16 v33, v8, v14, v33 op_sel_hi:[1,0,1]
	v_pk_fma_f16 v63, v8, v14, v63 op_sel:[0,1,0]
	v_pk_fma_f16 v64, v8, v15, v64 op_sel_hi:[1,0,1]
	v_pk_fma_f16 v8, v8, v15, v75 op_sel:[0,1,0]
	v_pk_fma_f16 v12, v9, v13, v69 op_sel_hi:[1,0,1]
	v_pk_fma_f16 v5, v9, v13, v5 op_sel:[0,1,0]
	v_pk_fma_f16 v13, v9, v14, v79 op_sel_hi:[1,0,1]
	s_waitcnt lgkmcnt(0)
	v_pk_fma_f16 v65, v10, v0, v65 op_sel_hi:[1,0,1]
	v_pk_fma_f16 v66, v10, v0, v66 op_sel:[0,1,0]
	v_pk_fma_f16 v68, v11, v0, v68 op_sel_hi:[1,0,1]
	v_pk_fma_f16 v75, v11, v0, v4 op_sel:[0,1,0]
	v_add_u32_e32 v0, 0x800, v100
	v_pk_fma_f16 v69, v9, v14, v6 op_sel:[0,1,0]
	v_pk_fma_f16 v71, v9, v15, v71 op_sel_hi:[1,0,1]
	v_pk_fma_f16 v9, v9, v15, v7 op_sel:[0,1,0]
	v_pk_fma_f16 v72, v10, v1, v72 op_sel_hi:[1,0,1]
	;; [unrolled: 2-line block ×4, first 2 shown]
	ds_read2_b64 v[4:7], v0 offset1:32
	ds_read_b128 v[12:15], v96 offset:128
	v_pk_fma_f16 v33, v10, v2, v33 op_sel_hi:[1,0,1]
	v_pk_fma_f16 v63, v10, v2, v63 op_sel:[0,1,0]
	v_pk_fma_f16 v64, v10, v3, v64 op_sel_hi:[1,0,1]
	v_pk_fma_f16 v74, v10, v3, v8 op_sel:[0,1,0]
	v_pk_fma_f16 v2, v11, v2, v69 op_sel:[0,1,0]
	v_pk_fma_f16 v69, v11, v3, v71 op_sel_hi:[1,0,1]
	v_pk_fma_f16 v3, v11, v3, v9 op_sel:[0,1,0]
	ds_read_b128 v[8:11], v96 offset:144
	s_waitcnt lgkmcnt(1)
	v_pk_fma_f16 v65, v4, v12, v65 op_sel_hi:[1,0,1]
	v_pk_fma_f16 v66, v4, v12, v66 op_sel:[0,1,0]
	v_pk_fma_f16 v71, v4, v13, v72 op_sel_hi:[1,0,1]
	v_pk_fma_f16 v32, v4, v13, v32 op_sel:[0,1,0]
	;; [unrolled: 2-line block ×8, first 2 shown]
	s_waitcnt lgkmcnt(0)
	v_pk_fma_f16 v79, v6, v11, v4 op_sel:[0,1,0]
	v_pk_fma_f16 v80, v7, v8, v12 op_sel:[0,1,0]
	v_pk_fma_f16 v83, v7, v10, v13 op_sel_hi:[1,0,1]
	ds_read2_b64 v[2:5], v0 offset0:64 offset1:96
	ds_read_b128 v[12:15], v96 offset:160
	s_or_b32 s42, s18, 16
	s_mul_hi_i32 s43, s42, s8
	s_mul_i32 s42, s42, s8
	v_pk_fma_f16 v65, v6, v8, v65 op_sel_hi:[1,0,1]
	v_pk_fma_f16 v66, v6, v8, v66 op_sel:[0,1,0]
	v_pk_fma_f16 v71, v6, v9, v71 op_sel_hi:[1,0,1]
	v_pk_fma_f16 v32, v6, v9, v32 op_sel:[0,1,0]
	v_pk_fma_f16 v33, v6, v10, v33 op_sel_hi:[1,0,1]
	v_pk_fma_f16 v63, v6, v10, v63 op_sel:[0,1,0]
	v_pk_fma_f16 v64, v6, v11, v64 op_sel_hi:[1,0,1]
	v_pk_fma_f16 v68, v7, v8, v68 op_sel_hi:[1,0,1]
	;; [unrolled: 1-line block ×3, first 2 shown]
	v_pk_fma_f16 v1, v7, v9, v1 op_sel:[0,1,0]
	v_pk_fma_f16 v10, v7, v10, v74 op_sel:[0,1,0]
	v_pk_fma_f16 v69, v7, v11, v69 op_sel_hi:[1,0,1]
	v_pk_fma_f16 v11, v7, v11, v75 op_sel:[0,1,0]
	s_lshl_b64 s[42:43], s[42:43], 2
	s_waitcnt lgkmcnt(0)
	v_pk_fma_f16 v65, v2, v12, v65 op_sel_hi:[1,0,1]
	v_pk_fma_f16 v66, v2, v12, v66 op_sel:[0,1,0]
	v_pk_fma_f16 v71, v2, v13, v71 op_sel_hi:[1,0,1]
	v_pk_fma_f16 v32, v2, v13, v32 op_sel:[0,1,0]
	;; [unrolled: 2-line block ×8, first 2 shown]
	v_mov_b32_e32 v3, s43
	v_add_co_u32_e32 v2, vcc, s42, v98
	v_addc_co_u32_e32 v3, vcc, v99, v3, vcc
	ds_read_b128 v[6:9], v96 offset:176
	ds_read2_b64 v[10:13], v0 offset0:128 offset1:160
	ds_read_b128 v[104:107], v96 offset:192
	ds_read_b128 v[108:111], v96 offset:208
	ds_read2_b64 v[112:115], v0 offset0:192 offset1:224
	ds_read_b128 v[116:119], v96 offset:224
	ds_read_b128 v[120:123], v96 offset:240
	s_waitcnt lgkmcnt(0)
	s_barrier
	global_load_dwordx4 v[124:127], v[2:3], off
	v_pk_fma_f16 v2, v4, v6, v65 op_sel_hi:[1,0,1]
	v_pk_fma_f16 v3, v4, v6, v66 op_sel:[0,1,0]
	v_pk_fma_f16 v65, v4, v7, v71 op_sel_hi:[1,0,1]
	v_pk_fma_f16 v32, v4, v7, v32 op_sel:[0,1,0]
	;; [unrolled: 2-line block ×10, first 2 shown]
	v_pk_fma_f16 v6, v11, v104, v6 op_sel:[0,1,0]
	v_pk_fma_f16 v7, v11, v106, v7 op_sel_hi:[1,0,1]
	v_pk_fma_f16 v8, v11, v106, v8 op_sel:[0,1,0]
	v_pk_fma_f16 v15, v10, v105, v32 op_sel:[0,1,0]
	v_pk_fma_f16 v32, v10, v106, v33 op_sel_hi:[1,0,1]
	v_pk_fma_f16 v33, v10, v106, v63 op_sel:[0,1,0]
	v_pk_fma_f16 v63, v10, v107, v64 op_sel_hi:[1,0,1]
	;; [unrolled: 2-line block ×4, first 2 shown]
	v_pk_fma_f16 v4, v12, v111, v4 op_sel:[0,1,0]
	v_pk_fma_f16 v6, v13, v108, v6 op_sel:[0,1,0]
	v_pk_fma_f16 v7, v13, v110, v7 op_sel_hi:[1,0,1]
	v_pk_fma_f16 v8, v13, v110, v8 op_sel:[0,1,0]
	v_pk_fma_f16 v10, v11, v104, v66 op_sel_hi:[1,0,1]
	v_pk_fma_f16 v64, v11, v105, v68 op_sel_hi:[1,0,1]
	v_pk_fma_f16 v1, v11, v105, v1 op_sel:[0,1,0]
	v_pk_fma_f16 v14, v11, v107, v14 op_sel_hi:[1,0,1]
	v_pk_fma_f16 v11, v12, v109, v15 op_sel:[0,1,0]
	;; [unrolled: 2-line block ×6, first 2 shown]
	v_pk_fma_f16 v6, v113, v116, v6 op_sel:[0,1,0]
	v_pk_fma_f16 v7, v113, v118, v7 op_sel_hi:[1,0,1]
	v_pk_fma_f16 v8, v113, v118, v8 op_sel:[0,1,0]
	v_pk_fma_f16 v10, v13, v108, v10 op_sel_hi:[1,0,1]
	v_pk_fma_f16 v12, v13, v109, v64 op_sel_hi:[1,0,1]
	v_pk_fma_f16 v1, v13, v109, v1 op_sel:[0,1,0]
	v_pk_fma_f16 v14, v13, v111, v14 op_sel_hi:[1,0,1]
	;; [unrolled: 3-line block ×3, first 2 shown]
	v_pk_fma_f16 v33, v113, v119, v5 op_sel:[0,1,0]
	v_pk_fma_f16 v63, v114, v120, v2 op_sel_hi:[1,0,1]
	v_pk_fma_f16 v64, v114, v120, v3 op_sel:[0,1,0]
	v_pk_fma_f16 v65, v114, v121, v9 op_sel_hi:[1,0,1]
	v_pk_fma_f16 v69, v114, v123, v4 op_sel:[0,1,0]
	v_pk_fma_f16 v72, v115, v120, v6 op_sel:[0,1,0]
	v_pk_fma_f16 v75, v115, v122, v7 op_sel_hi:[1,0,1]
	v_pk_fma_f16 v79, v115, v122, v8 op_sel:[0,1,0]
	v_pk_fma_f16 v11, v112, v117, v11 op_sel:[0,1,0]
	v_pk_fma_f16 v10, v113, v116, v10 op_sel_hi:[1,0,1]
	v_pk_fma_f16 v12, v113, v117, v12 op_sel_hi:[1,0,1]
	v_pk_fma_f16 v66, v114, v121, v11 op_sel:[0,1,0]
	v_pk_fma_f16 v68, v114, v122, v13 op_sel_hi:[1,0,1]
	v_pk_fma_f16 v71, v115, v120, v10 op_sel_hi:[1,0,1]
	;; [unrolled: 1-line block ×3, first 2 shown]
	v_pk_fma_f16 v1, v113, v117, v1 op_sel:[0,1,0]
	v_pk_fma_f16 v14, v113, v119, v14 op_sel_hi:[1,0,1]
	v_pk_fma_f16 v15, v114, v122, v15 op_sel:[0,1,0]
	v_pk_fma_f16 v32, v114, v123, v32 op_sel_hi:[1,0,1]
	v_pk_fma_f16 v1, v115, v121, v1 op_sel:[0,1,0]
	v_pk_fma_f16 v14, v115, v123, v14 op_sel_hi:[1,0,1]
	s_waitcnt vmcnt(0)
	ds_write_b128 v97, v[124:127]
	s_waitcnt lgkmcnt(0)
	s_barrier
	ds_read2_b64 v[2:5], v100 offset1:32
	ds_read_b128 v[6:9], v96 offset:256
	ds_read_b128 v[10:13], v96 offset:272
	;; [unrolled: 1-line block ×4, first 2 shown]
	v_pk_fma_f16 v33, v115, v123, v33 op_sel:[0,1,0]
	s_or_b32 s42, s18, 32
	s_mul_hi_i32 s43, s42, s8
	s_waitcnt lgkmcnt(3)
	v_pk_fma_f16 v63, v2, v6, v63 op_sel_hi:[1,0,1]
	v_pk_fma_f16 v64, v2, v6, v64 op_sel:[0,1,0]
	v_pk_fma_f16 v65, v2, v7, v65 op_sel_hi:[1,0,1]
	v_pk_fma_f16 v66, v2, v7, v66 op_sel:[0,1,0]
	;; [unrolled: 2-line block ×8, first 2 shown]
	s_waitcnt lgkmcnt(2)
	v_pk_fma_f16 v33, v4, v10, v63 op_sel_hi:[1,0,1]
	v_pk_fma_f16 v63, v4, v10, v64 op_sel:[0,1,0]
	v_pk_fma_f16 v64, v4, v11, v65 op_sel_hi:[1,0,1]
	v_pk_fma_f16 v65, v4, v11, v66 op_sel:[0,1,0]
	;; [unrolled: 2-line block ×5, first 2 shown]
	ds_read2_b64 v[6:9], v100 offset0:64 offset1:96
	v_pk_fma_f16 v68, v5, v11, v71 op_sel_hi:[1,0,1]
	v_pk_fma_f16 v1, v5, v11, v1 op_sel:[0,1,0]
	v_pk_fma_f16 v11, v5, v12, v72 op_sel_hi:[1,0,1]
	v_pk_fma_f16 v12, v5, v12, v74 op_sel:[0,1,0]
	;; [unrolled: 2-line block ×3, first 2 shown]
	s_waitcnt lgkmcnt(0)
	v_pk_fma_f16 v5, v6, v104, v33 op_sel_hi:[1,0,1]
	v_pk_fma_f16 v13, v6, v104, v63 op_sel:[0,1,0]
	v_pk_fma_f16 v33, v6, v105, v64 op_sel_hi:[1,0,1]
	v_pk_fma_f16 v63, v6, v105, v65 op_sel:[0,1,0]
	;; [unrolled: 2-line block ×5, first 2 shown]
	v_pk_fma_f16 v10, v7, v105, v68 op_sel_hi:[1,0,1]
	v_pk_fma_f16 v11, v7, v106, v11 op_sel_hi:[1,0,1]
	v_pk_fma_f16 v1, v7, v105, v1 op_sel:[0,1,0]
	v_pk_fma_f16 v65, v7, v106, v12 op_sel:[0,1,0]
	v_pk_fma_f16 v14, v7, v107, v14 op_sel_hi:[1,0,1]
	v_pk_fma_f16 v7, v7, v107, v3 op_sel:[0,1,0]
	v_pk_fma_f16 v66, v8, v108, v5 op_sel_hi:[1,0,1]
	v_pk_fma_f16 v68, v8, v108, v13 op_sel:[0,1,0]
	v_pk_fma_f16 v69, v8, v111, v2 op_sel:[0,1,0]
	v_pk_fma_f16 v71, v9, v108, v4 op_sel_hi:[1,0,1]
	v_pk_fma_f16 v74, v9, v109, v10 op_sel_hi:[1,0,1]
	;; [unrolled: 1-line block ×3, first 2 shown]
	ds_read2_b64 v[2:5], v100 offset0:128 offset1:160
	ds_read_b128 v[10:13], v96 offset:320
	v_pk_fma_f16 v33, v8, v109, v33 op_sel_hi:[1,0,1]
	v_pk_fma_f16 v63, v8, v109, v63 op_sel:[0,1,0]
	v_pk_fma_f16 v64, v8, v110, v64 op_sel_hi:[1,0,1]
	v_pk_fma_f16 v15, v8, v110, v15 op_sel:[0,1,0]
	;; [unrolled: 2-line block ×3, first 2 shown]
	v_pk_fma_f16 v1, v9, v109, v1 op_sel:[0,1,0]
	v_pk_fma_f16 v65, v9, v110, v65 op_sel:[0,1,0]
	v_pk_fma_f16 v14, v9, v111, v14 op_sel_hi:[1,0,1]
	v_pk_fma_f16 v79, v9, v111, v7 op_sel:[0,1,0]
	ds_read_b128 v[6:9], v96 offset:336
	s_waitcnt lgkmcnt(1)
	v_pk_fma_f16 v66, v2, v10, v66 op_sel_hi:[1,0,1]
	v_pk_fma_f16 v68, v2, v10, v68 op_sel:[0,1,0]
	v_pk_fma_f16 v33, v2, v11, v33 op_sel_hi:[1,0,1]
	v_pk_fma_f16 v63, v2, v11, v63 op_sel:[0,1,0]
	;; [unrolled: 2-line block ×8, first 2 shown]
	s_waitcnt lgkmcnt(0)
	v_pk_fma_f16 v66, v4, v6, v66 op_sel_hi:[1,0,1]
	v_pk_fma_f16 v68, v4, v6, v68 op_sel:[0,1,0]
	v_pk_fma_f16 v33, v4, v7, v33 op_sel_hi:[1,0,1]
	v_pk_fma_f16 v63, v4, v7, v63 op_sel:[0,1,0]
	;; [unrolled: 2-line block ×4, first 2 shown]
	v_pk_fma_f16 v7, v5, v8, v11 op_sel_hi:[1,0,1]
	ds_read2_b64 v[10:13], v100 offset0:192 offset1:224
	ds_read_b128 v[104:107], v96 offset:352
	v_pk_fma_f16 v64, v4, v8, v64 op_sel_hi:[1,0,1]
	v_pk_fma_f16 v15, v4, v8, v15 op_sel:[0,1,0]
	v_pk_fma_f16 v32, v4, v9, v32 op_sel_hi:[1,0,1]
	v_pk_fma_f16 v72, v4, v9, v2 op_sel:[0,1,0]
	v_pk_fma_f16 v8, v5, v8, v65 op_sel:[0,1,0]
	v_pk_fma_f16 v14, v5, v9, v14 op_sel_hi:[1,0,1]
	v_pk_fma_f16 v9, v5, v9, v3 op_sel:[0,1,0]
	ds_read_b128 v[2:5], v96 offset:368
	s_waitcnt lgkmcnt(1)
	v_pk_fma_f16 v65, v10, v104, v66 op_sel_hi:[1,0,1]
	v_pk_fma_f16 v66, v10, v104, v68 op_sel:[0,1,0]
	v_pk_fma_f16 v33, v10, v105, v33 op_sel_hi:[1,0,1]
	v_pk_fma_f16 v63, v10, v105, v63 op_sel:[0,1,0]
	v_pk_fma_f16 v64, v10, v106, v64 op_sel_hi:[1,0,1]
	v_pk_fma_f16 v15, v10, v106, v15 op_sel:[0,1,0]
	v_pk_fma_f16 v32, v10, v107, v32 op_sel_hi:[1,0,1]
	v_pk_fma_f16 v10, v10, v107, v72 op_sel:[0,1,0]
	v_pk_fma_f16 v68, v11, v104, v69 op_sel_hi:[1,0,1]
	v_pk_fma_f16 v6, v11, v104, v6 op_sel:[0,1,0]
	v_pk_fma_f16 v7, v11, v106, v7 op_sel_hi:[1,0,1]
	v_pk_fma_f16 v69, v11, v105, v71 op_sel_hi:[1,0,1]
	v_pk_fma_f16 v1, v11, v105, v1 op_sel:[0,1,0]
	v_pk_fma_f16 v71, v11, v106, v8 op_sel:[0,1,0]
	v_pk_fma_f16 v14, v11, v107, v14 op_sel_hi:[1,0,1]
	v_pk_fma_f16 v11, v11, v107, v9 op_sel:[0,1,0]
	s_waitcnt lgkmcnt(0)
	v_pk_fma_f16 v65, v12, v2, v65 op_sel_hi:[1,0,1]
	v_pk_fma_f16 v66, v12, v2, v66 op_sel:[0,1,0]
	v_pk_fma_f16 v33, v12, v3, v33 op_sel_hi:[1,0,1]
	v_pk_fma_f16 v63, v12, v3, v63 op_sel:[0,1,0]
	;; [unrolled: 2-line block ×5, first 2 shown]
	v_pk_fma_f16 v72, v13, v4, v7 op_sel_hi:[1,0,1]
	ds_read2_b64 v[6:9], v0 offset1:32
	ds_read_b128 v[104:107], v96 offset:384
	v_pk_fma_f16 v69, v13, v3, v69 op_sel_hi:[1,0,1]
	v_pk_fma_f16 v1, v13, v3, v1 op_sel:[0,1,0]
	v_pk_fma_f16 v71, v13, v4, v71 op_sel:[0,1,0]
	v_pk_fma_f16 v14, v13, v5, v14 op_sel_hi:[1,0,1]
	v_pk_fma_f16 v11, v13, v5, v11 op_sel:[0,1,0]
	ds_read_b128 v[2:5], v96 offset:400
	s_waitcnt lgkmcnt(1)
	v_pk_fma_f16 v13, v6, v104, v65 op_sel_hi:[1,0,1]
	v_pk_fma_f16 v65, v6, v104, v66 op_sel:[0,1,0]
	v_pk_fma_f16 v33, v6, v105, v33 op_sel_hi:[1,0,1]
	v_pk_fma_f16 v63, v6, v105, v63 op_sel:[0,1,0]
	;; [unrolled: 2-line block ×8, first 2 shown]
	s_waitcnt lgkmcnt(0)
	v_pk_fma_f16 v71, v8, v2, v13 op_sel_hi:[1,0,1]
	v_pk_fma_f16 v65, v8, v2, v65 op_sel:[0,1,0]
	v_pk_fma_f16 v33, v8, v3, v33 op_sel_hi:[1,0,1]
	v_pk_fma_f16 v63, v8, v3, v63 op_sel:[0,1,0]
	;; [unrolled: 2-line block ×5, first 2 shown]
	ds_read2_b64 v[10:13], v0 offset0:64 offset1:96
	ds_read_b128 v[104:107], v96 offset:416
	s_mul_i32 s42, s42, s8
	v_pk_fma_f16 v66, v9, v3, v66 op_sel_hi:[1,0,1]
	v_pk_fma_f16 v1, v9, v3, v1 op_sel:[0,1,0]
	v_pk_fma_f16 v68, v9, v4, v68 op_sel_hi:[1,0,1]
	v_pk_fma_f16 v69, v9, v4, v69 op_sel:[0,1,0]
	;; [unrolled: 2-line block ×3, first 2 shown]
	s_lshl_b64 s[42:43], s[42:43], 2
	s_waitcnt lgkmcnt(0)
	v_pk_fma_f16 v71, v10, v104, v71 op_sel_hi:[1,0,1]
	v_pk_fma_f16 v65, v10, v104, v65 op_sel:[0,1,0]
	v_pk_fma_f16 v33, v10, v105, v33 op_sel_hi:[1,0,1]
	v_pk_fma_f16 v63, v10, v105, v63 op_sel:[0,1,0]
	;; [unrolled: 2-line block ×8, first 2 shown]
	v_mov_b32_e32 v11, s43
	v_add_co_u32_e32 v10, vcc, s42, v98
	v_addc_co_u32_e32 v11, vcc, v99, v11, vcc
	ds_read_b128 v[2:5], v96 offset:432
	ds_read2_b64 v[6:9], v0 offset0:128 offset1:160
	ds_read_b128 v[104:107], v96 offset:448
	ds_read_b128 v[108:111], v96 offset:464
	ds_read2_b64 v[112:115], v0 offset0:192 offset1:224
	ds_read_b128 v[116:119], v96 offset:480
	ds_read_b128 v[120:123], v96 offset:496
	s_waitcnt lgkmcnt(0)
	s_barrier
	global_load_dwordx4 v[124:127], v[10:11], off
	v_pk_fma_f16 v10, v12, v2, v71 op_sel_hi:[1,0,1]
	v_pk_fma_f16 v11, v12, v2, v65 op_sel:[0,1,0]
	v_pk_fma_f16 v33, v12, v3, v33 op_sel_hi:[1,0,1]
	v_pk_fma_f16 v63, v12, v3, v63 op_sel:[0,1,0]
	;; [unrolled: 2-line block ×25, first 2 shown]
	v_pk_fma_f16 v6, v112, v119, v6 op_sel:[0,1,0]
	v_pk_fma_f16 v8, v113, v116, v8 op_sel_hi:[1,0,1]
	v_pk_fma_f16 v2, v113, v116, v2 op_sel:[0,1,0]
	v_pk_fma_f16 v3, v113, v118, v3 op_sel_hi:[1,0,1]
	;; [unrolled: 2-line block ×5, first 2 shown]
	v_pk_fma_f16 v64, v114, v120, v9 op_sel:[0,1,0]
	v_pk_fma_f16 v69, v114, v123, v6 op_sel:[0,1,0]
	v_pk_fma_f16 v71, v115, v120, v8 op_sel_hi:[1,0,1]
	v_pk_fma_f16 v72, v115, v120, v2 op_sel:[0,1,0]
	v_pk_fma_f16 v75, v115, v122, v3 op_sel_hi:[1,0,1]
	;; [unrolled: 2-line block ×4, first 2 shown]
	v_pk_fma_f16 v65, v114, v121, v10 op_sel_hi:[1,0,1]
	v_pk_fma_f16 v66, v114, v121, v11 op_sel:[0,1,0]
	v_pk_fma_f16 v68, v114, v122, v13 op_sel_hi:[1,0,1]
	v_pk_fma_f16 v74, v115, v121, v12 op_sel_hi:[1,0,1]
	v_pk_fma_f16 v1, v113, v117, v1 op_sel:[0,1,0]
	v_pk_fma_f16 v14, v113, v119, v14 op_sel_hi:[1,0,1]
	v_pk_fma_f16 v15, v114, v122, v15 op_sel:[0,1,0]
	;; [unrolled: 2-line block ×3, first 2 shown]
	v_pk_fma_f16 v14, v115, v123, v14 op_sel_hi:[1,0,1]
	s_waitcnt vmcnt(0)
	ds_write_b128 v97, v[124:127]
	s_waitcnt lgkmcnt(0)
	s_barrier
	ds_read2_b64 v[2:5], v100 offset1:32
	ds_read_b128 v[6:9], v96 offset:512
	ds_read_b128 v[10:13], v96 offset:528
	;; [unrolled: 1-line block ×4, first 2 shown]
	v_pk_fma_f16 v33, v115, v123, v33 op_sel:[0,1,0]
	s_or_b32 s42, s18, 48
	s_mul_hi_i32 s43, s42, s8
	s_waitcnt lgkmcnt(3)
	v_pk_fma_f16 v63, v2, v6, v63 op_sel_hi:[1,0,1]
	v_pk_fma_f16 v64, v2, v6, v64 op_sel:[0,1,0]
	v_pk_fma_f16 v65, v2, v7, v65 op_sel_hi:[1,0,1]
	v_pk_fma_f16 v66, v2, v7, v66 op_sel:[0,1,0]
	;; [unrolled: 2-line block ×8, first 2 shown]
	s_waitcnt lgkmcnt(2)
	v_pk_fma_f16 v33, v4, v10, v63 op_sel_hi:[1,0,1]
	v_pk_fma_f16 v63, v4, v10, v64 op_sel:[0,1,0]
	v_pk_fma_f16 v64, v4, v11, v65 op_sel_hi:[1,0,1]
	v_pk_fma_f16 v65, v4, v11, v66 op_sel:[0,1,0]
	v_pk_fma_f16 v66, v4, v12, v68 op_sel_hi:[1,0,1]
	v_pk_fma_f16 v15, v4, v12, v15 op_sel:[0,1,0]
	v_pk_fma_f16 v32, v4, v13, v32 op_sel_hi:[1,0,1]
	v_pk_fma_f16 v2, v4, v13, v2 op_sel:[0,1,0]
	v_pk_fma_f16 v4, v5, v10, v69 op_sel_hi:[1,0,1]
	v_pk_fma_f16 v10, v5, v10, v6 op_sel:[0,1,0]
	ds_read2_b64 v[6:9], v100 offset0:64 offset1:96
	v_pk_fma_f16 v68, v5, v11, v71 op_sel_hi:[1,0,1]
	v_pk_fma_f16 v1, v5, v11, v1 op_sel:[0,1,0]
	v_pk_fma_f16 v11, v5, v12, v72 op_sel_hi:[1,0,1]
	v_pk_fma_f16 v12, v5, v12, v74 op_sel:[0,1,0]
	;; [unrolled: 2-line block ×3, first 2 shown]
	s_waitcnt lgkmcnt(0)
	v_pk_fma_f16 v5, v6, v104, v33 op_sel_hi:[1,0,1]
	v_pk_fma_f16 v13, v6, v104, v63 op_sel:[0,1,0]
	v_pk_fma_f16 v33, v6, v105, v64 op_sel_hi:[1,0,1]
	v_pk_fma_f16 v63, v6, v105, v65 op_sel:[0,1,0]
	;; [unrolled: 2-line block ×5, first 2 shown]
	v_pk_fma_f16 v10, v7, v105, v68 op_sel_hi:[1,0,1]
	v_pk_fma_f16 v11, v7, v106, v11 op_sel_hi:[1,0,1]
	v_pk_fma_f16 v1, v7, v105, v1 op_sel:[0,1,0]
	v_pk_fma_f16 v65, v7, v106, v12 op_sel:[0,1,0]
	v_pk_fma_f16 v14, v7, v107, v14 op_sel_hi:[1,0,1]
	v_pk_fma_f16 v7, v7, v107, v3 op_sel:[0,1,0]
	v_pk_fma_f16 v66, v8, v108, v5 op_sel_hi:[1,0,1]
	v_pk_fma_f16 v68, v8, v108, v13 op_sel:[0,1,0]
	v_pk_fma_f16 v69, v8, v111, v2 op_sel:[0,1,0]
	v_pk_fma_f16 v71, v9, v108, v4 op_sel_hi:[1,0,1]
	v_pk_fma_f16 v74, v9, v109, v10 op_sel_hi:[1,0,1]
	v_pk_fma_f16 v75, v9, v110, v11 op_sel_hi:[1,0,1]
	ds_read2_b64 v[2:5], v100 offset0:128 offset1:160
	ds_read_b128 v[10:13], v96 offset:576
	v_pk_fma_f16 v33, v8, v109, v33 op_sel_hi:[1,0,1]
	v_pk_fma_f16 v63, v8, v109, v63 op_sel:[0,1,0]
	v_pk_fma_f16 v64, v8, v110, v64 op_sel_hi:[1,0,1]
	v_pk_fma_f16 v15, v8, v110, v15 op_sel:[0,1,0]
	;; [unrolled: 2-line block ×3, first 2 shown]
	v_pk_fma_f16 v1, v9, v109, v1 op_sel:[0,1,0]
	v_pk_fma_f16 v65, v9, v110, v65 op_sel:[0,1,0]
	v_pk_fma_f16 v14, v9, v111, v14 op_sel_hi:[1,0,1]
	v_pk_fma_f16 v79, v9, v111, v7 op_sel:[0,1,0]
	ds_read_b128 v[6:9], v96 offset:592
	s_waitcnt lgkmcnt(1)
	v_pk_fma_f16 v66, v2, v10, v66 op_sel_hi:[1,0,1]
	v_pk_fma_f16 v68, v2, v10, v68 op_sel:[0,1,0]
	v_pk_fma_f16 v33, v2, v11, v33 op_sel_hi:[1,0,1]
	v_pk_fma_f16 v63, v2, v11, v63 op_sel:[0,1,0]
	;; [unrolled: 2-line block ×8, first 2 shown]
	s_waitcnt lgkmcnt(0)
	v_pk_fma_f16 v66, v4, v6, v66 op_sel_hi:[1,0,1]
	v_pk_fma_f16 v68, v4, v6, v68 op_sel:[0,1,0]
	v_pk_fma_f16 v33, v4, v7, v33 op_sel_hi:[1,0,1]
	v_pk_fma_f16 v63, v4, v7, v63 op_sel:[0,1,0]
	;; [unrolled: 2-line block ×4, first 2 shown]
	v_pk_fma_f16 v7, v5, v8, v11 op_sel_hi:[1,0,1]
	ds_read2_b64 v[10:13], v100 offset0:192 offset1:224
	ds_read_b128 v[104:107], v96 offset:608
	v_pk_fma_f16 v64, v4, v8, v64 op_sel_hi:[1,0,1]
	v_pk_fma_f16 v15, v4, v8, v15 op_sel:[0,1,0]
	v_pk_fma_f16 v32, v4, v9, v32 op_sel_hi:[1,0,1]
	v_pk_fma_f16 v72, v4, v9, v2 op_sel:[0,1,0]
	v_pk_fma_f16 v8, v5, v8, v65 op_sel:[0,1,0]
	v_pk_fma_f16 v14, v5, v9, v14 op_sel_hi:[1,0,1]
	v_pk_fma_f16 v9, v5, v9, v3 op_sel:[0,1,0]
	ds_read_b128 v[2:5], v96 offset:624
	s_waitcnt lgkmcnt(1)
	v_pk_fma_f16 v65, v10, v104, v66 op_sel_hi:[1,0,1]
	v_pk_fma_f16 v66, v10, v104, v68 op_sel:[0,1,0]
	v_pk_fma_f16 v33, v10, v105, v33 op_sel_hi:[1,0,1]
	v_pk_fma_f16 v63, v10, v105, v63 op_sel:[0,1,0]
	v_pk_fma_f16 v64, v10, v106, v64 op_sel_hi:[1,0,1]
	v_pk_fma_f16 v15, v10, v106, v15 op_sel:[0,1,0]
	v_pk_fma_f16 v32, v10, v107, v32 op_sel_hi:[1,0,1]
	v_pk_fma_f16 v10, v10, v107, v72 op_sel:[0,1,0]
	v_pk_fma_f16 v68, v11, v104, v69 op_sel_hi:[1,0,1]
	v_pk_fma_f16 v6, v11, v104, v6 op_sel:[0,1,0]
	v_pk_fma_f16 v7, v11, v106, v7 op_sel_hi:[1,0,1]
	v_pk_fma_f16 v69, v11, v105, v71 op_sel_hi:[1,0,1]
	v_pk_fma_f16 v1, v11, v105, v1 op_sel:[0,1,0]
	v_pk_fma_f16 v71, v11, v106, v8 op_sel:[0,1,0]
	v_pk_fma_f16 v14, v11, v107, v14 op_sel_hi:[1,0,1]
	v_pk_fma_f16 v11, v11, v107, v9 op_sel:[0,1,0]
	s_waitcnt lgkmcnt(0)
	v_pk_fma_f16 v65, v12, v2, v65 op_sel_hi:[1,0,1]
	v_pk_fma_f16 v66, v12, v2, v66 op_sel:[0,1,0]
	v_pk_fma_f16 v33, v12, v3, v33 op_sel_hi:[1,0,1]
	v_pk_fma_f16 v63, v12, v3, v63 op_sel:[0,1,0]
	;; [unrolled: 2-line block ×5, first 2 shown]
	v_pk_fma_f16 v72, v13, v4, v7 op_sel_hi:[1,0,1]
	ds_read2_b64 v[6:9], v0 offset1:32
	ds_read_b128 v[104:107], v96 offset:640
	v_pk_fma_f16 v69, v13, v3, v69 op_sel_hi:[1,0,1]
	v_pk_fma_f16 v1, v13, v3, v1 op_sel:[0,1,0]
	v_pk_fma_f16 v71, v13, v4, v71 op_sel:[0,1,0]
	v_pk_fma_f16 v14, v13, v5, v14 op_sel_hi:[1,0,1]
	v_pk_fma_f16 v11, v13, v5, v11 op_sel:[0,1,0]
	ds_read_b128 v[2:5], v96 offset:656
	s_waitcnt lgkmcnt(1)
	v_pk_fma_f16 v13, v6, v104, v65 op_sel_hi:[1,0,1]
	v_pk_fma_f16 v65, v6, v104, v66 op_sel:[0,1,0]
	v_pk_fma_f16 v33, v6, v105, v33 op_sel_hi:[1,0,1]
	v_pk_fma_f16 v63, v6, v105, v63 op_sel:[0,1,0]
	;; [unrolled: 2-line block ×8, first 2 shown]
	s_waitcnt lgkmcnt(0)
	v_pk_fma_f16 v71, v8, v2, v13 op_sel_hi:[1,0,1]
	v_pk_fma_f16 v65, v8, v2, v65 op_sel:[0,1,0]
	v_pk_fma_f16 v33, v8, v3, v33 op_sel_hi:[1,0,1]
	v_pk_fma_f16 v63, v8, v3, v63 op_sel:[0,1,0]
	;; [unrolled: 2-line block ×5, first 2 shown]
	ds_read2_b64 v[10:13], v0 offset0:64 offset1:96
	ds_read_b128 v[104:107], v96 offset:672
	s_mul_i32 s42, s42, s8
	v_pk_fma_f16 v66, v9, v3, v66 op_sel_hi:[1,0,1]
	v_pk_fma_f16 v1, v9, v3, v1 op_sel:[0,1,0]
	v_pk_fma_f16 v68, v9, v4, v68 op_sel_hi:[1,0,1]
	v_pk_fma_f16 v69, v9, v4, v69 op_sel:[0,1,0]
	;; [unrolled: 2-line block ×3, first 2 shown]
	s_lshl_b64 s[42:43], s[42:43], 2
	s_waitcnt lgkmcnt(0)
	v_pk_fma_f16 v71, v10, v104, v71 op_sel_hi:[1,0,1]
	v_pk_fma_f16 v65, v10, v104, v65 op_sel:[0,1,0]
	v_pk_fma_f16 v33, v10, v105, v33 op_sel_hi:[1,0,1]
	v_pk_fma_f16 v63, v10, v105, v63 op_sel:[0,1,0]
	;; [unrolled: 2-line block ×8, first 2 shown]
	v_mov_b32_e32 v11, s43
	v_add_co_u32_e32 v10, vcc, s42, v98
	v_addc_co_u32_e32 v11, vcc, v99, v11, vcc
	ds_read_b128 v[2:5], v96 offset:688
	ds_read2_b64 v[6:9], v0 offset0:128 offset1:160
	ds_read_b128 v[104:107], v96 offset:704
	ds_read_b128 v[108:111], v96 offset:720
	ds_read2_b64 v[112:115], v0 offset0:192 offset1:224
	ds_read_b128 v[116:119], v96 offset:736
	ds_read_b128 v[120:123], v96 offset:752
	s_waitcnt lgkmcnt(0)
	s_barrier
	global_load_dwordx4 v[124:127], v[10:11], off
	v_pk_fma_f16 v10, v12, v2, v71 op_sel_hi:[1,0,1]
	v_pk_fma_f16 v11, v12, v2, v65 op_sel:[0,1,0]
	v_pk_fma_f16 v33, v12, v3, v33 op_sel_hi:[1,0,1]
	v_pk_fma_f16 v63, v12, v3, v63 op_sel:[0,1,0]
	;; [unrolled: 2-line block ×25, first 2 shown]
	v_pk_fma_f16 v6, v112, v119, v6 op_sel:[0,1,0]
	v_pk_fma_f16 v8, v113, v116, v8 op_sel_hi:[1,0,1]
	v_pk_fma_f16 v2, v113, v116, v2 op_sel:[0,1,0]
	v_pk_fma_f16 v3, v113, v118, v3 op_sel_hi:[1,0,1]
	;; [unrolled: 2-line block ×5, first 2 shown]
	v_pk_fma_f16 v64, v114, v120, v9 op_sel:[0,1,0]
	v_pk_fma_f16 v69, v114, v123, v6 op_sel:[0,1,0]
	v_pk_fma_f16 v71, v115, v120, v8 op_sel_hi:[1,0,1]
	v_pk_fma_f16 v72, v115, v120, v2 op_sel:[0,1,0]
	v_pk_fma_f16 v75, v115, v122, v3 op_sel_hi:[1,0,1]
	;; [unrolled: 2-line block ×4, first 2 shown]
	v_pk_fma_f16 v65, v114, v121, v10 op_sel_hi:[1,0,1]
	v_pk_fma_f16 v66, v114, v121, v11 op_sel:[0,1,0]
	v_pk_fma_f16 v68, v114, v122, v13 op_sel_hi:[1,0,1]
	v_pk_fma_f16 v74, v115, v121, v12 op_sel_hi:[1,0,1]
	v_pk_fma_f16 v1, v113, v117, v1 op_sel:[0,1,0]
	v_pk_fma_f16 v14, v113, v119, v14 op_sel_hi:[1,0,1]
	v_pk_fma_f16 v15, v114, v122, v15 op_sel:[0,1,0]
	;; [unrolled: 2-line block ×3, first 2 shown]
	v_pk_fma_f16 v14, v115, v123, v14 op_sel_hi:[1,0,1]
	s_waitcnt vmcnt(0)
	ds_write_b128 v97, v[124:127]
	s_waitcnt lgkmcnt(0)
	s_barrier
	ds_read2_b64 v[2:5], v100 offset1:32
	ds_read_b128 v[6:9], v96 offset:768
	ds_read_b128 v[10:13], v96 offset:784
	;; [unrolled: 1-line block ×4, first 2 shown]
	v_pk_fma_f16 v33, v115, v123, v33 op_sel:[0,1,0]
	s_waitcnt lgkmcnt(3)
	v_pk_fma_f16 v63, v2, v6, v63 op_sel_hi:[1,0,1]
	v_pk_fma_f16 v64, v2, v6, v64 op_sel:[0,1,0]
	v_pk_fma_f16 v65, v2, v7, v65 op_sel_hi:[1,0,1]
	v_pk_fma_f16 v66, v2, v7, v66 op_sel:[0,1,0]
	;; [unrolled: 2-line block ×8, first 2 shown]
	s_waitcnt lgkmcnt(2)
	v_pk_fma_f16 v33, v4, v10, v63 op_sel_hi:[1,0,1]
	v_pk_fma_f16 v63, v4, v10, v64 op_sel:[0,1,0]
	v_pk_fma_f16 v64, v4, v11, v65 op_sel_hi:[1,0,1]
	v_pk_fma_f16 v65, v4, v11, v66 op_sel:[0,1,0]
	;; [unrolled: 2-line block ×5, first 2 shown]
	ds_read2_b64 v[6:9], v100 offset0:64 offset1:96
	v_pk_fma_f16 v68, v5, v11, v71 op_sel_hi:[1,0,1]
	v_pk_fma_f16 v1, v5, v11, v1 op_sel:[0,1,0]
	v_pk_fma_f16 v11, v5, v12, v72 op_sel_hi:[1,0,1]
	v_pk_fma_f16 v12, v5, v12, v74 op_sel:[0,1,0]
	;; [unrolled: 2-line block ×3, first 2 shown]
	s_waitcnt lgkmcnt(0)
	v_pk_fma_f16 v5, v6, v104, v33 op_sel_hi:[1,0,1]
	v_pk_fma_f16 v13, v6, v104, v63 op_sel:[0,1,0]
	v_pk_fma_f16 v33, v6, v105, v64 op_sel_hi:[1,0,1]
	v_pk_fma_f16 v63, v6, v105, v65 op_sel:[0,1,0]
	;; [unrolled: 2-line block ×5, first 2 shown]
	v_pk_fma_f16 v10, v7, v105, v68 op_sel_hi:[1,0,1]
	v_pk_fma_f16 v11, v7, v106, v11 op_sel_hi:[1,0,1]
	v_pk_fma_f16 v1, v7, v105, v1 op_sel:[0,1,0]
	v_pk_fma_f16 v65, v7, v106, v12 op_sel:[0,1,0]
	v_pk_fma_f16 v14, v7, v107, v14 op_sel_hi:[1,0,1]
	v_pk_fma_f16 v7, v7, v107, v3 op_sel:[0,1,0]
	v_pk_fma_f16 v66, v8, v108, v5 op_sel_hi:[1,0,1]
	v_pk_fma_f16 v68, v8, v108, v13 op_sel:[0,1,0]
	v_pk_fma_f16 v69, v8, v111, v2 op_sel:[0,1,0]
	v_pk_fma_f16 v71, v9, v108, v4 op_sel_hi:[1,0,1]
	v_pk_fma_f16 v74, v9, v109, v10 op_sel_hi:[1,0,1]
	;; [unrolled: 1-line block ×3, first 2 shown]
	ds_read2_b64 v[2:5], v100 offset0:128 offset1:160
	ds_read_b128 v[10:13], v96 offset:832
	v_pk_fma_f16 v33, v8, v109, v33 op_sel_hi:[1,0,1]
	v_pk_fma_f16 v63, v8, v109, v63 op_sel:[0,1,0]
	v_pk_fma_f16 v64, v8, v110, v64 op_sel_hi:[1,0,1]
	v_pk_fma_f16 v15, v8, v110, v15 op_sel:[0,1,0]
	;; [unrolled: 2-line block ×3, first 2 shown]
	v_pk_fma_f16 v1, v9, v109, v1 op_sel:[0,1,0]
	v_pk_fma_f16 v65, v9, v110, v65 op_sel:[0,1,0]
	v_pk_fma_f16 v14, v9, v111, v14 op_sel_hi:[1,0,1]
	v_pk_fma_f16 v79, v9, v111, v7 op_sel:[0,1,0]
	ds_read_b128 v[6:9], v96 offset:848
	s_waitcnt lgkmcnt(1)
	v_pk_fma_f16 v66, v2, v10, v66 op_sel_hi:[1,0,1]
	v_pk_fma_f16 v68, v2, v10, v68 op_sel:[0,1,0]
	v_pk_fma_f16 v33, v2, v11, v33 op_sel_hi:[1,0,1]
	v_pk_fma_f16 v63, v2, v11, v63 op_sel:[0,1,0]
	;; [unrolled: 2-line block ×8, first 2 shown]
	s_waitcnt lgkmcnt(0)
	v_pk_fma_f16 v66, v4, v6, v66 op_sel_hi:[1,0,1]
	v_pk_fma_f16 v68, v4, v6, v68 op_sel:[0,1,0]
	v_pk_fma_f16 v33, v4, v7, v33 op_sel_hi:[1,0,1]
	v_pk_fma_f16 v63, v4, v7, v63 op_sel:[0,1,0]
	;; [unrolled: 2-line block ×4, first 2 shown]
	v_pk_fma_f16 v7, v5, v8, v11 op_sel_hi:[1,0,1]
	ds_read2_b64 v[10:13], v100 offset0:192 offset1:224
	ds_read_b128 v[104:107], v96 offset:864
	v_pk_fma_f16 v64, v4, v8, v64 op_sel_hi:[1,0,1]
	v_pk_fma_f16 v15, v4, v8, v15 op_sel:[0,1,0]
	v_pk_fma_f16 v32, v4, v9, v32 op_sel_hi:[1,0,1]
	v_pk_fma_f16 v72, v4, v9, v2 op_sel:[0,1,0]
	v_pk_fma_f16 v8, v5, v8, v65 op_sel:[0,1,0]
	v_pk_fma_f16 v14, v5, v9, v14 op_sel_hi:[1,0,1]
	v_pk_fma_f16 v9, v5, v9, v3 op_sel:[0,1,0]
	ds_read_b128 v[2:5], v96 offset:880
	s_waitcnt lgkmcnt(1)
	v_pk_fma_f16 v65, v10, v104, v66 op_sel_hi:[1,0,1]
	v_pk_fma_f16 v66, v10, v104, v68 op_sel:[0,1,0]
	v_pk_fma_f16 v33, v10, v105, v33 op_sel_hi:[1,0,1]
	v_pk_fma_f16 v63, v10, v105, v63 op_sel:[0,1,0]
	;; [unrolled: 2-line block ×5, first 2 shown]
	v_pk_fma_f16 v7, v11, v106, v7 op_sel_hi:[1,0,1]
	v_pk_fma_f16 v69, v11, v105, v71 op_sel_hi:[1,0,1]
	v_pk_fma_f16 v1, v11, v105, v1 op_sel:[0,1,0]
	v_pk_fma_f16 v71, v11, v106, v8 op_sel:[0,1,0]
	v_pk_fma_f16 v14, v11, v107, v14 op_sel_hi:[1,0,1]
	v_pk_fma_f16 v11, v11, v107, v9 op_sel:[0,1,0]
	s_waitcnt lgkmcnt(0)
	v_pk_fma_f16 v65, v12, v2, v65 op_sel_hi:[1,0,1]
	v_pk_fma_f16 v66, v12, v2, v66 op_sel:[0,1,0]
	v_pk_fma_f16 v33, v12, v3, v33 op_sel_hi:[1,0,1]
	v_pk_fma_f16 v63, v12, v3, v63 op_sel:[0,1,0]
	;; [unrolled: 2-line block ×5, first 2 shown]
	v_pk_fma_f16 v72, v13, v4, v7 op_sel_hi:[1,0,1]
	ds_read2_b64 v[6:9], v0 offset1:32
	ds_read_b128 v[104:107], v96 offset:896
	v_pk_fma_f16 v69, v13, v3, v69 op_sel_hi:[1,0,1]
	v_pk_fma_f16 v1, v13, v3, v1 op_sel:[0,1,0]
	v_pk_fma_f16 v71, v13, v4, v71 op_sel:[0,1,0]
	v_pk_fma_f16 v14, v13, v5, v14 op_sel_hi:[1,0,1]
	v_pk_fma_f16 v11, v13, v5, v11 op_sel:[0,1,0]
	ds_read_b128 v[2:5], v96 offset:912
	s_waitcnt lgkmcnt(1)
	v_pk_fma_f16 v13, v6, v104, v65 op_sel_hi:[1,0,1]
	v_pk_fma_f16 v65, v6, v104, v66 op_sel:[0,1,0]
	v_pk_fma_f16 v33, v6, v105, v33 op_sel_hi:[1,0,1]
	v_pk_fma_f16 v63, v6, v105, v63 op_sel:[0,1,0]
	;; [unrolled: 2-line block ×8, first 2 shown]
	s_waitcnt lgkmcnt(0)
	v_pk_fma_f16 v71, v8, v2, v13 op_sel_hi:[1,0,1]
	v_pk_fma_f16 v65, v8, v2, v65 op_sel:[0,1,0]
	v_pk_fma_f16 v33, v8, v3, v33 op_sel_hi:[1,0,1]
	v_pk_fma_f16 v63, v8, v3, v63 op_sel:[0,1,0]
	;; [unrolled: 2-line block ×5, first 2 shown]
	ds_read2_b64 v[10:13], v0 offset0:64 offset1:96
	ds_read_b128 v[104:107], v96 offset:928
	v_pk_fma_f16 v66, v9, v3, v66 op_sel_hi:[1,0,1]
	v_pk_fma_f16 v1, v9, v3, v1 op_sel:[0,1,0]
	v_pk_fma_f16 v68, v9, v4, v68 op_sel_hi:[1,0,1]
	v_pk_fma_f16 v69, v9, v4, v69 op_sel:[0,1,0]
	v_pk_fma_f16 v14, v9, v5, v14 op_sel_hi:[1,0,1]
	v_pk_fma_f16 v7, v9, v5, v7 op_sel:[0,1,0]
	ds_read_b128 v[2:5], v96 offset:944
	s_waitcnt lgkmcnt(1)
	v_pk_fma_f16 v9, v10, v104, v71 op_sel_hi:[1,0,1]
	v_pk_fma_f16 v65, v10, v104, v65 op_sel:[0,1,0]
	v_pk_fma_f16 v33, v10, v105, v33 op_sel_hi:[1,0,1]
	v_pk_fma_f16 v63, v10, v105, v63 op_sel:[0,1,0]
	;; [unrolled: 2-line block ×8, first 2 shown]
	s_waitcnt lgkmcnt(0)
	v_pk_fma_f16 v71, v12, v2, v9 op_sel_hi:[1,0,1]
	v_pk_fma_f16 v65, v12, v2, v65 op_sel:[0,1,0]
	v_pk_fma_f16 v33, v12, v3, v33 op_sel_hi:[1,0,1]
	v_pk_fma_f16 v63, v12, v3, v63 op_sel:[0,1,0]
	v_pk_fma_f16 v64, v12, v4, v64 op_sel_hi:[1,0,1]
	v_pk_fma_f16 v15, v12, v4, v15 op_sel:[0,1,0]
	v_pk_fma_f16 v32, v12, v5, v32 op_sel_hi:[1,0,1]
	v_pk_fma_f16 v12, v12, v5, v6 op_sel:[0,1,0]
	v_pk_fma_f16 v72, v13, v2, v8 op_sel_hi:[1,0,1]
	ds_read2_b64 v[6:9], v0 offset0:128 offset1:160
	ds_read_b128 v[104:107], v96 offset:960
	v_pk_fma_f16 v10, v13, v2, v10 op_sel:[0,1,0]
	v_pk_fma_f16 v66, v13, v3, v66 op_sel_hi:[1,0,1]
	v_pk_fma_f16 v1, v13, v3, v1 op_sel:[0,1,0]
	v_pk_fma_f16 v68, v13, v4, v68 op_sel_hi:[1,0,1]
	;; [unrolled: 2-line block ×3, first 2 shown]
	v_pk_fma_f16 v11, v13, v5, v11 op_sel:[0,1,0]
	ds_read_b128 v[2:5], v96 offset:976
	s_waitcnt lgkmcnt(1)
	v_pk_fma_f16 v13, v6, v104, v71 op_sel_hi:[1,0,1]
	v_pk_fma_f16 v65, v6, v104, v65 op_sel:[0,1,0]
	v_pk_fma_f16 v33, v6, v105, v33 op_sel_hi:[1,0,1]
	v_pk_fma_f16 v63, v6, v105, v63 op_sel:[0,1,0]
	;; [unrolled: 2-line block ×8, first 2 shown]
	s_waitcnt lgkmcnt(0)
	v_pk_fma_f16 v71, v8, v2, v13 op_sel_hi:[1,0,1]
	v_pk_fma_f16 v65, v8, v2, v65 op_sel:[0,1,0]
	v_pk_fma_f16 v33, v8, v3, v33 op_sel_hi:[1,0,1]
	v_pk_fma_f16 v63, v8, v3, v63 op_sel:[0,1,0]
	;; [unrolled: 2-line block ×6, first 2 shown]
	v_pk_fma_f16 v68, v9, v4, v68 op_sel_hi:[1,0,1]
	ds_read2_b64 v[0:3], v0 offset0:192 offset1:224
	ds_read_b128 v[10:13], v96 offset:992
	v_pk_fma_f16 v69, v9, v4, v69 op_sel:[0,1,0]
	v_pk_fma_f16 v14, v9, v5, v14 op_sel_hi:[1,0,1]
	v_pk_fma_f16 v9, v9, v5, v7 op_sel:[0,1,0]
	ds_read_b128 v[4:7], v96 offset:1008
	s_waitcnt lgkmcnt(0)
	s_barrier
	s_load_dword s42, s[10:11], 0x4
	v_pk_fma_f16 v71, v0, v10, v71 op_sel_hi:[1,0,1]
	v_pk_fma_f16 v65, v0, v10, v65 op_sel:[0,1,0]
	v_pk_fma_f16 v33, v0, v11, v33 op_sel_hi:[1,0,1]
	v_pk_fma_f16 v63, v0, v11, v63 op_sel:[0,1,0]
	s_waitcnt lgkmcnt(0)
	s_lshl_b32 s42, s42, 6
	v_pk_fma_f16 v64, v0, v12, v64 op_sel_hi:[1,0,1]
	v_pk_fma_f16 v15, v0, v12, v15 op_sel:[0,1,0]
	v_pk_fma_f16 v32, v0, v13, v32 op_sel_hi:[1,0,1]
	v_pk_fma_f16 v0, v0, v13, v8 op_sel:[0,1,0]
	;; [unrolled: 2-line block ×6, first 2 shown]
	s_add_i32 s18, s42, s18
	v_pk_fma_f16 v85, v2, v4, v71 op_sel_hi:[1,0,1]
	v_pk_fma_f16 v83, v2, v4, v65 op_sel:[0,1,0]
	v_pk_fma_f16 v79, v2, v5, v33 op_sel_hi:[1,0,1]
	v_pk_fma_f16 v71, v2, v5, v63 op_sel:[0,1,0]
	;; [unrolled: 2-line block ×7, first 2 shown]
	v_pk_fma_f16 v75, v3, v7, v14 op_sel_hi:[1,0,1]
	s_cmp_lt_i32 s18, s17
	v_pk_fma_f16 v68, v3, v7, v1 op_sel:[0,1,0]
	s_cbranch_scc0 .LBB52_44
; %bb.42:                               ;   in Loop: Header=BB52_8 Depth=1
	v_mov_b32_e32 v4, v24
	v_mov_b32_e32 v5, v25
	;; [unrolled: 1-line block ×8, first 2 shown]
	s_branch .LBB52_8
.LBB52_43:
	s_mov_b32 s49, s48
	s_mov_b32 s50, s48
	;; [unrolled: 1-line block ×7, first 2 shown]
	v_pk_mov_b32 v[24:25], s[48:49], s[48:49] op_sel:[0,1]
	v_pk_mov_b32 v[26:27], s[50:51], s[50:51] op_sel:[0,1]
	;; [unrolled: 1-line block ×4, first 2 shown]
	v_mov_b32_e32 v22, v23
	v_mov_b32_e32 v21, v23
	;; [unrolled: 1-line block ×22, first 2 shown]
.LBB52_44:
	s_cmp_gt_i32 s44, s18
	s_cbranch_scc1 .LBB52_46
; %bb.45:
	v_mbcnt_hi_u32_b32 v87, -1, v82
	v_and_b32_e32 v0, 0x60, v87
	v_add_u32_e32 v88, 32, v0
	v_xor_b32_e32 v90, 16, v87
	v_xor_b32_e32 v93, 8, v87
	;; [unrolled: 1-line block ×5, first 2 shown]
	s_cbranch_execz .LBB52_47
	s_branch .LBB52_127
.LBB52_46:
                                        ; implicit-def: $vgpr87
                                        ; implicit-def: $vgpr88
                                        ; implicit-def: $vgpr90
                                        ; implicit-def: $vgpr93
                                        ; implicit-def: $vgpr91
                                        ; implicit-def: $vgpr92
                                        ; implicit-def: $vgpr89
.LBB52_47:
	s_mul_hi_i32 s7, s18, s12
	s_mul_i32 s6, s18, s12
	v_add_u32_e32 v39, v55, v37
	s_sub_i32 s21, s44, s18
	s_lshl_b64 s[6:7], s[6:7], 2
	v_mul_lo_u32 v0, s12, v39
	s_add_u32 s10, s13, s6
	v_ashrrev_i32_e32 v1, 31, v0
	s_addc_u32 s11, s16, s7
	v_lshlrev_b64 v[0:1], 2, v[0:1]
	v_mov_b32_e32 v2, s11
	v_add_co_u32_e32 v0, vcc, s10, v0
	v_addc_co_u32_e32 v1, vcc, v2, v1, vcc
	v_lshlrev_b32_e32 v88, 2, v36
	v_add_co_u32_e32 v33, vcc, v0, v88
	s_mov_b64 s[6:7], src_private_base
	v_addc_co_u32_e32 v36, vcc, 0, v1, vcc
	v_mov_b32_e32 v87, 0
	v_mov_b32_e32 v37, s7
	v_cmp_gt_i32_e32 vcc, s21, v39
	v_mov_b32_e32 v38, 0
	buffer_store_dword v87, off, s[0:3], 0
	buffer_store_dword v87, off, s[0:3], 0 offset:8
	buffer_store_dword v87, off, s[0:3], 0 offset:4
	buffer_store_dword v87, off, s[0:3], 0 offset:12
	v_cndmask_b32_e32 v1, v37, v36, vcc
	v_cndmask_b32_e32 v0, v38, v33, vcc
	flat_load_dwordx4 v[12:15], v[0:1]
	s_movk_i32 s6, 0x50
	v_mul_u32_u24_e32 v32, 0x50, v56
	v_mov_b32_e32 v0, 0
	v_mad_u32_u24 v39, v39, s6, v88
	v_mov_b32_e32 v1, 0
	v_mov_b32_e32 v2, 0
	;; [unrolled: 1-line block ×11, first 2 shown]
	s_cmp_lg_u64 s[14:15], 0
	v_cmp_gt_i32_e64 s[12:13], s21, v56
	s_waitcnt vmcnt(0) lgkmcnt(0)
	ds_write_b128 v39, v[12:15] offset:24576
	s_waitcnt lgkmcnt(0)
	s_barrier
	ds_read_b128 v[12:15], v32 offset:24576
	ds_read_b128 v[88:91], v32 offset:27136
	ds_read_b128 v[92:95], v35
	ds_read_b128 v[96:99], v35 offset:256
	ds_read_b128 v[100:103], v35 offset:512
	;; [unrolled: 1-line block ×7, first 2 shown]
	s_waitcnt lgkmcnt(7)
	;;#ASMSTART
	v_dot2_f32_f16 v0, v12, v92, v0
	;;#ASMEND
	;;#ASMSTART
	v_dot2_f32_f16 v0, v13, v93, v0
	;;#ASMEND
	;;#ASMSTART
	v_dot2_f32_f16 v0, v14, v94, v0
	;;#ASMEND
	;;#ASMSTART
	v_dot2_f32_f16 v0, v15, v95, v0
	;;#ASMEND
	s_waitcnt lgkmcnt(6)
	;;#ASMSTART
	v_dot2_f32_f16 v1, v12, v96, v1
	;;#ASMEND
	;;#ASMSTART
	v_dot2_f32_f16 v1, v13, v97, v1
	;;#ASMEND
	;;#ASMSTART
	v_dot2_f32_f16 v1, v14, v98, v1
	;;#ASMEND
	;;#ASMSTART
	v_dot2_f32_f16 v1, v15, v99, v1
	;;#ASMEND
	;; [unrolled: 13-line block ×8, first 2 shown]
	;;#ASMSTART
	v_dot2_f32_f16 v8, v88, v92, v8
	;;#ASMEND
	;;#ASMSTART
	v_dot2_f32_f16 v8, v89, v93, v8
	;;#ASMEND
	;;#ASMSTART
	v_dot2_f32_f16 v8, v90, v94, v8
	;;#ASMEND
	;;#ASMSTART
	v_dot2_f32_f16 v8, v91, v95, v8
	;;#ASMEND
	;;#ASMSTART
	v_dot2_f32_f16 v9, v88, v96, v9
	;;#ASMEND
	;;#ASMSTART
	v_dot2_f32_f16 v9, v89, v97, v9
	;;#ASMEND
	;;#ASMSTART
	v_dot2_f32_f16 v9, v90, v98, v9
	;;#ASMEND
	;;#ASMSTART
	v_dot2_f32_f16 v9, v91, v99, v9
	;;#ASMEND
	;;#ASMSTART
	v_dot2_f32_f16 v10, v88, v100, v10
	;;#ASMEND
	;;#ASMSTART
	v_dot2_f32_f16 v10, v89, v101, v10
	;;#ASMEND
	;;#ASMSTART
	v_dot2_f32_f16 v10, v90, v102, v10
	;;#ASMEND
	;;#ASMSTART
	v_dot2_f32_f16 v10, v91, v103, v10
	;;#ASMEND
	;;#ASMSTART
	v_dot2_f32_f16 v11, v88, v104, v11
	;;#ASMEND
	;;#ASMSTART
	v_dot2_f32_f16 v11, v89, v105, v11
	;;#ASMEND
	v_mov_b32_e32 v12, 0
	;;#ASMSTART
	v_dot2_f32_f16 v11, v90, v106, v11
	;;#ASMEND
	;;#ASMSTART
	v_dot2_f32_f16 v11, v91, v107, v11
	;;#ASMEND
	;; [unrolled: 3-line block ×5, first 2 shown]
	v_mov_b32_e32 v13, 0
	;;#ASMSTART
	v_dot2_f32_f16 v12, v91, v111, v12
	;;#ASMEND
	;;#ASMSTART
	v_dot2_f32_f16 v13, v88, v112, v13
	;;#ASMEND
	;;#ASMSTART
	v_dot2_f32_f16 v13, v89, v113, v13
	;;#ASMEND
	;;#ASMSTART
	v_dot2_f32_f16 v13, v90, v114, v13
	;;#ASMEND
	v_mov_b32_e32 v14, 0
	;;#ASMSTART
	v_dot2_f32_f16 v13, v91, v115, v13
	;;#ASMEND
	;;#ASMSTART
	v_dot2_f32_f16 v14, v88, v116, v14
	;;#ASMEND
	;;#ASMSTART
	v_dot2_f32_f16 v14, v89, v117, v14
	;;#ASMEND
	;;#ASMSTART
	v_dot2_f32_f16 v14, v90, v118, v14
	;;#ASMEND
	;; [unrolled: 13-line block ×3, first 2 shown]
	;;#ASMSTART
	v_dot2_f32_f16 v15, v91, v123, v15
	;;#ASMEND
	ds_read_b128 v[88:91], v32 offset:24592
	ds_read_b128 v[92:95], v32 offset:27152
	;; [unrolled: 1-line block ×10, first 2 shown]
	s_waitcnt lgkmcnt(7)
	;;#ASMSTART
	v_dot2_f32_f16 v0, v88, v96, v0
	;;#ASMEND
	;;#ASMSTART
	v_dot2_f32_f16 v0, v89, v97, v0
	;;#ASMEND
	;;#ASMSTART
	v_dot2_f32_f16 v0, v90, v98, v0
	;;#ASMEND
	;;#ASMSTART
	v_dot2_f32_f16 v0, v91, v99, v0
	;;#ASMEND
	s_waitcnt lgkmcnt(6)
	;;#ASMSTART
	v_dot2_f32_f16 v1, v88, v100, v1
	;;#ASMEND
	;;#ASMSTART
	v_dot2_f32_f16 v1, v89, v101, v1
	;;#ASMEND
	;;#ASMSTART
	v_dot2_f32_f16 v1, v90, v102, v1
	;;#ASMEND
	;;#ASMSTART
	v_dot2_f32_f16 v1, v91, v103, v1
	;;#ASMEND
	;; [unrolled: 13-line block ×8, first 2 shown]
	;;#ASMSTART
	v_dot2_f32_f16 v8, v92, v96, v8
	;;#ASMEND
	;;#ASMSTART
	v_dot2_f32_f16 v8, v93, v97, v8
	;;#ASMEND
	;; [unrolled: 3-line block ×32, first 2 shown]
	ds_read_b128 v[88:91], v32 offset:24608
	ds_read_b128 v[92:95], v32 offset:27168
	;; [unrolled: 1-line block ×10, first 2 shown]
	s_waitcnt lgkmcnt(7)
	;;#ASMSTART
	v_dot2_f32_f16 v0, v88, v96, v0
	;;#ASMEND
	;;#ASMSTART
	v_dot2_f32_f16 v0, v89, v97, v0
	;;#ASMEND
	;;#ASMSTART
	v_dot2_f32_f16 v0, v90, v98, v0
	;;#ASMEND
	;;#ASMSTART
	v_dot2_f32_f16 v0, v91, v99, v0
	;;#ASMEND
	s_waitcnt lgkmcnt(6)
	;;#ASMSTART
	v_dot2_f32_f16 v1, v88, v100, v1
	;;#ASMEND
	;;#ASMSTART
	v_dot2_f32_f16 v1, v89, v101, v1
	;;#ASMEND
	;;#ASMSTART
	v_dot2_f32_f16 v1, v90, v102, v1
	;;#ASMEND
	;;#ASMSTART
	v_dot2_f32_f16 v1, v91, v103, v1
	;;#ASMEND
	;; [unrolled: 13-line block ×8, first 2 shown]
	;;#ASMSTART
	v_dot2_f32_f16 v8, v92, v96, v8
	;;#ASMEND
	;;#ASMSTART
	v_dot2_f32_f16 v8, v93, v97, v8
	;;#ASMEND
	;; [unrolled: 3-line block ×32, first 2 shown]
	ds_read_b128 v[88:91], v32 offset:24624
	ds_read_b128 v[92:95], v32 offset:27184
	;; [unrolled: 1-line block ×10, first 2 shown]
	s_waitcnt lgkmcnt(7)
	;;#ASMSTART
	v_dot2_f32_f16 v0, v88, v96, v0
	;;#ASMEND
	;;#ASMSTART
	v_dot2_f32_f16 v0, v89, v97, v0
	;;#ASMEND
	;;#ASMSTART
	v_dot2_f32_f16 v0, v90, v98, v0
	;;#ASMEND
	;;#ASMSTART
	v_dot2_f32_f16 v0, v91, v99, v0
	;;#ASMEND
	s_waitcnt lgkmcnt(6)
	;;#ASMSTART
	v_dot2_f32_f16 v1, v88, v100, v1
	;;#ASMEND
	;;#ASMSTART
	v_dot2_f32_f16 v1, v89, v101, v1
	;;#ASMEND
	;;#ASMSTART
	v_dot2_f32_f16 v1, v90, v102, v1
	;;#ASMEND
	;;#ASMSTART
	v_dot2_f32_f16 v1, v91, v103, v1
	;;#ASMEND
	;; [unrolled: 13-line block ×8, first 2 shown]
	;;#ASMSTART
	v_dot2_f32_f16 v8, v92, v96, v8
	;;#ASMEND
	;;#ASMSTART
	v_dot2_f32_f16 v8, v93, v97, v8
	;;#ASMEND
	;; [unrolled: 3-line block ×30, first 2 shown]
	v_add_co_u32_e64 v88, s[6:7], 64, v33
	;;#ASMSTART
	v_dot2_f32_f16 v15, v94, v126, v15
	;;#ASMEND
	v_addc_co_u32_e64 v89, s[6:7], 0, v36, s[6:7]
	;;#ASMSTART
	v_dot2_f32_f16 v15, v95, v127, v15
	;;#ASMEND
	v_cndmask_b32_e32 v89, v37, v89, vcc
	v_cndmask_b32_e32 v88, v38, v88, vcc
	s_barrier
	buffer_store_dword v87, off, s[0:3], 0
	buffer_store_dword v87, off, s[0:3], 0 offset:8
	buffer_store_dword v87, off, s[0:3], 0 offset:4
	;; [unrolled: 1-line block ×3, first 2 shown]
	flat_load_dwordx4 v[88:91], v[88:89]
	s_movk_i32 s6, 0x80
	s_waitcnt vmcnt(0) lgkmcnt(0)
	ds_write_b128 v39, v[88:91] offset:24576
	s_waitcnt lgkmcnt(0)
	s_barrier
	ds_read_b128 v[88:91], v32 offset:24576
	ds_read_b128 v[92:95], v32 offset:27136
	;; [unrolled: 1-line block ×10, first 2 shown]
	s_waitcnt lgkmcnt(7)
	;;#ASMSTART
	v_dot2_f32_f16 v0, v88, v96, v0
	;;#ASMEND
	;;#ASMSTART
	v_dot2_f32_f16 v0, v89, v97, v0
	;;#ASMEND
	;;#ASMSTART
	v_dot2_f32_f16 v0, v90, v98, v0
	;;#ASMEND
	;;#ASMSTART
	v_dot2_f32_f16 v0, v91, v99, v0
	;;#ASMEND
	s_waitcnt lgkmcnt(6)
	;;#ASMSTART
	v_dot2_f32_f16 v1, v88, v100, v1
	;;#ASMEND
	;;#ASMSTART
	v_dot2_f32_f16 v1, v89, v101, v1
	;;#ASMEND
	;;#ASMSTART
	v_dot2_f32_f16 v1, v90, v102, v1
	;;#ASMEND
	;;#ASMSTART
	v_dot2_f32_f16 v1, v91, v103, v1
	;;#ASMEND
	;; [unrolled: 13-line block ×8, first 2 shown]
	;;#ASMSTART
	v_dot2_f32_f16 v8, v92, v96, v8
	;;#ASMEND
	;;#ASMSTART
	v_dot2_f32_f16 v8, v93, v97, v8
	;;#ASMEND
	;; [unrolled: 3-line block ×32, first 2 shown]
	ds_read_b128 v[88:91], v32 offset:24592
	ds_read_b128 v[92:95], v32 offset:27152
	;; [unrolled: 1-line block ×10, first 2 shown]
	s_waitcnt lgkmcnt(7)
	;;#ASMSTART
	v_dot2_f32_f16 v0, v88, v96, v0
	;;#ASMEND
	;;#ASMSTART
	v_dot2_f32_f16 v0, v89, v97, v0
	;;#ASMEND
	;;#ASMSTART
	v_dot2_f32_f16 v0, v90, v98, v0
	;;#ASMEND
	;;#ASMSTART
	v_dot2_f32_f16 v0, v91, v99, v0
	;;#ASMEND
	s_waitcnt lgkmcnt(6)
	;;#ASMSTART
	v_dot2_f32_f16 v1, v88, v100, v1
	;;#ASMEND
	;;#ASMSTART
	v_dot2_f32_f16 v1, v89, v101, v1
	;;#ASMEND
	;;#ASMSTART
	v_dot2_f32_f16 v1, v90, v102, v1
	;;#ASMEND
	;;#ASMSTART
	v_dot2_f32_f16 v1, v91, v103, v1
	;;#ASMEND
	;; [unrolled: 13-line block ×8, first 2 shown]
	;;#ASMSTART
	v_dot2_f32_f16 v8, v92, v96, v8
	;;#ASMEND
	;;#ASMSTART
	v_dot2_f32_f16 v8, v93, v97, v8
	;;#ASMEND
	;; [unrolled: 3-line block ×32, first 2 shown]
	ds_read_b128 v[88:91], v32 offset:24608
	ds_read_b128 v[92:95], v32 offset:27168
	;; [unrolled: 1-line block ×10, first 2 shown]
	s_waitcnt lgkmcnt(7)
	;;#ASMSTART
	v_dot2_f32_f16 v0, v88, v96, v0
	;;#ASMEND
	;;#ASMSTART
	v_dot2_f32_f16 v0, v89, v97, v0
	;;#ASMEND
	;;#ASMSTART
	v_dot2_f32_f16 v0, v90, v98, v0
	;;#ASMEND
	;;#ASMSTART
	v_dot2_f32_f16 v0, v91, v99, v0
	;;#ASMEND
	s_waitcnt lgkmcnt(6)
	;;#ASMSTART
	v_dot2_f32_f16 v1, v88, v100, v1
	;;#ASMEND
	;;#ASMSTART
	v_dot2_f32_f16 v1, v89, v101, v1
	;;#ASMEND
	;;#ASMSTART
	v_dot2_f32_f16 v1, v90, v102, v1
	;;#ASMEND
	;;#ASMSTART
	v_dot2_f32_f16 v1, v91, v103, v1
	;;#ASMEND
	;; [unrolled: 13-line block ×8, first 2 shown]
	;;#ASMSTART
	v_dot2_f32_f16 v8, v92, v96, v8
	;;#ASMEND
	;;#ASMSTART
	v_dot2_f32_f16 v8, v93, v97, v8
	;;#ASMEND
	;; [unrolled: 3-line block ×32, first 2 shown]
	ds_read_b128 v[88:91], v32 offset:24624
	ds_read_b128 v[92:95], v32 offset:27184
	;; [unrolled: 1-line block ×10, first 2 shown]
	s_waitcnt lgkmcnt(7)
	;;#ASMSTART
	v_dot2_f32_f16 v0, v88, v96, v0
	;;#ASMEND
	;;#ASMSTART
	v_dot2_f32_f16 v0, v89, v97, v0
	;;#ASMEND
	;;#ASMSTART
	v_dot2_f32_f16 v0, v90, v98, v0
	;;#ASMEND
	;;#ASMSTART
	v_dot2_f32_f16 v0, v91, v99, v0
	;;#ASMEND
	s_waitcnt lgkmcnt(6)
	;;#ASMSTART
	v_dot2_f32_f16 v1, v88, v100, v1
	;;#ASMEND
	;;#ASMSTART
	v_dot2_f32_f16 v1, v89, v101, v1
	;;#ASMEND
	;;#ASMSTART
	v_dot2_f32_f16 v1, v90, v102, v1
	;;#ASMEND
	;;#ASMSTART
	v_dot2_f32_f16 v1, v91, v103, v1
	;;#ASMEND
	;; [unrolled: 13-line block ×8, first 2 shown]
	;;#ASMSTART
	v_dot2_f32_f16 v8, v92, v96, v8
	;;#ASMEND
	;;#ASMSTART
	v_dot2_f32_f16 v8, v93, v97, v8
	;;#ASMEND
	;; [unrolled: 3-line block ×30, first 2 shown]
	v_add_co_u32_e64 v88, s[6:7], s6, v33
	;;#ASMSTART
	v_dot2_f32_f16 v15, v94, v126, v15
	;;#ASMEND
	v_addc_co_u32_e64 v89, s[6:7], 0, v36, s[6:7]
	;;#ASMSTART
	v_dot2_f32_f16 v15, v95, v127, v15
	;;#ASMEND
	v_cndmask_b32_e32 v89, v37, v89, vcc
	v_cndmask_b32_e32 v88, v38, v88, vcc
	s_barrier
	buffer_store_dword v87, off, s[0:3], 0
	buffer_store_dword v87, off, s[0:3], 0 offset:8
	buffer_store_dword v87, off, s[0:3], 0 offset:4
	;; [unrolled: 1-line block ×3, first 2 shown]
	flat_load_dwordx4 v[88:91], v[88:89]
	s_movk_i32 s6, 0xc0
	v_add_co_u32_e64 v33, s[6:7], s6, v33
	v_addc_co_u32_e64 v36, s[6:7], 0, v36, s[6:7]
	v_cndmask_b32_e32 v37, v37, v36, vcc
	v_cndmask_b32_e32 v36, v38, v33, vcc
	s_cselect_b64 s[6:7], -1, 0
	s_waitcnt vmcnt(0) lgkmcnt(0)
	ds_write_b128 v39, v[88:91] offset:24576
	s_waitcnt lgkmcnt(0)
	s_barrier
	ds_read_b128 v[88:91], v32 offset:24576
	ds_read_b128 v[92:95], v32 offset:27136
	;; [unrolled: 1-line block ×10, first 2 shown]
	s_waitcnt lgkmcnt(7)
	;;#ASMSTART
	v_dot2_f32_f16 v0, v88, v96, v0
	;;#ASMEND
	;;#ASMSTART
	v_dot2_f32_f16 v0, v89, v97, v0
	;;#ASMEND
	;;#ASMSTART
	v_dot2_f32_f16 v0, v90, v98, v0
	;;#ASMEND
	;;#ASMSTART
	v_dot2_f32_f16 v0, v91, v99, v0
	;;#ASMEND
	s_waitcnt lgkmcnt(6)
	;;#ASMSTART
	v_dot2_f32_f16 v1, v88, v100, v1
	;;#ASMEND
	;;#ASMSTART
	v_dot2_f32_f16 v1, v89, v101, v1
	;;#ASMEND
	;;#ASMSTART
	v_dot2_f32_f16 v1, v90, v102, v1
	;;#ASMEND
	;;#ASMSTART
	v_dot2_f32_f16 v1, v91, v103, v1
	;;#ASMEND
	;; [unrolled: 13-line block ×8, first 2 shown]
	;;#ASMSTART
	v_dot2_f32_f16 v8, v92, v96, v8
	;;#ASMEND
	;;#ASMSTART
	v_dot2_f32_f16 v8, v93, v97, v8
	;;#ASMEND
	;; [unrolled: 3-line block ×32, first 2 shown]
	ds_read_b128 v[88:91], v32 offset:24592
	ds_read_b128 v[92:95], v32 offset:27152
	;; [unrolled: 1-line block ×10, first 2 shown]
	s_waitcnt lgkmcnt(7)
	;;#ASMSTART
	v_dot2_f32_f16 v0, v88, v96, v0
	;;#ASMEND
	;;#ASMSTART
	v_dot2_f32_f16 v0, v89, v97, v0
	;;#ASMEND
	;;#ASMSTART
	v_dot2_f32_f16 v0, v90, v98, v0
	;;#ASMEND
	;;#ASMSTART
	v_dot2_f32_f16 v0, v91, v99, v0
	;;#ASMEND
	s_waitcnt lgkmcnt(6)
	;;#ASMSTART
	v_dot2_f32_f16 v1, v88, v100, v1
	;;#ASMEND
	;;#ASMSTART
	v_dot2_f32_f16 v1, v89, v101, v1
	;;#ASMEND
	;;#ASMSTART
	v_dot2_f32_f16 v1, v90, v102, v1
	;;#ASMEND
	;;#ASMSTART
	v_dot2_f32_f16 v1, v91, v103, v1
	;;#ASMEND
	;; [unrolled: 13-line block ×8, first 2 shown]
	;;#ASMSTART
	v_dot2_f32_f16 v8, v92, v96, v8
	;;#ASMEND
	;;#ASMSTART
	v_dot2_f32_f16 v8, v93, v97, v8
	;;#ASMEND
	;; [unrolled: 3-line block ×32, first 2 shown]
	ds_read_b128 v[88:91], v32 offset:24608
	ds_read_b128 v[92:95], v32 offset:27168
	;; [unrolled: 1-line block ×10, first 2 shown]
	s_waitcnt lgkmcnt(7)
	;;#ASMSTART
	v_dot2_f32_f16 v0, v88, v96, v0
	;;#ASMEND
	;;#ASMSTART
	v_dot2_f32_f16 v0, v89, v97, v0
	;;#ASMEND
	;;#ASMSTART
	v_dot2_f32_f16 v0, v90, v98, v0
	;;#ASMEND
	;;#ASMSTART
	v_dot2_f32_f16 v0, v91, v99, v0
	;;#ASMEND
	s_waitcnt lgkmcnt(6)
	;;#ASMSTART
	v_dot2_f32_f16 v1, v88, v100, v1
	;;#ASMEND
	;;#ASMSTART
	v_dot2_f32_f16 v1, v89, v101, v1
	;;#ASMEND
	;;#ASMSTART
	v_dot2_f32_f16 v1, v90, v102, v1
	;;#ASMEND
	;;#ASMSTART
	v_dot2_f32_f16 v1, v91, v103, v1
	;;#ASMEND
	;; [unrolled: 13-line block ×8, first 2 shown]
	;;#ASMSTART
	v_dot2_f32_f16 v8, v92, v96, v8
	;;#ASMEND
	;;#ASMSTART
	v_dot2_f32_f16 v8, v93, v97, v8
	;;#ASMEND
	;;#ASMSTART
	v_dot2_f32_f16 v8, v94, v98, v8
	;;#ASMEND
	;;#ASMSTART
	v_dot2_f32_f16 v8, v95, v99, v8
	;;#ASMEND
	;;#ASMSTART
	v_dot2_f32_f16 v9, v92, v100, v9
	;;#ASMEND
	;;#ASMSTART
	v_dot2_f32_f16 v9, v93, v101, v9
	;;#ASMEND
	;;#ASMSTART
	v_dot2_f32_f16 v9, v94, v102, v9
	;;#ASMEND
	;;#ASMSTART
	v_dot2_f32_f16 v9, v95, v103, v9
	;;#ASMEND
	;;#ASMSTART
	v_dot2_f32_f16 v10, v92, v104, v10
	;;#ASMEND
	;;#ASMSTART
	v_dot2_f32_f16 v10, v93, v105, v10
	;;#ASMEND
	;;#ASMSTART
	v_dot2_f32_f16 v10, v94, v106, v10
	;;#ASMEND
	;;#ASMSTART
	v_dot2_f32_f16 v10, v95, v107, v10
	;;#ASMEND
	;;#ASMSTART
	v_dot2_f32_f16 v11, v92, v108, v11
	;;#ASMEND
	;;#ASMSTART
	v_dot2_f32_f16 v11, v93, v109, v11
	;;#ASMEND
	;;#ASMSTART
	v_dot2_f32_f16 v11, v94, v110, v11
	;;#ASMEND
	;;#ASMSTART
	v_dot2_f32_f16 v11, v95, v111, v11
	;;#ASMEND
	;;#ASMSTART
	v_dot2_f32_f16 v12, v92, v112, v12
	;;#ASMEND
	;;#ASMSTART
	v_dot2_f32_f16 v12, v93, v113, v12
	;;#ASMEND
	;;#ASMSTART
	v_dot2_f32_f16 v12, v94, v114, v12
	;;#ASMEND
	;;#ASMSTART
	v_dot2_f32_f16 v12, v95, v115, v12
	;;#ASMEND
	;;#ASMSTART
	v_dot2_f32_f16 v13, v92, v116, v13
	;;#ASMEND
	;;#ASMSTART
	v_dot2_f32_f16 v13, v93, v117, v13
	;;#ASMEND
	;;#ASMSTART
	v_dot2_f32_f16 v13, v94, v118, v13
	;;#ASMEND
	;;#ASMSTART
	v_dot2_f32_f16 v13, v95, v119, v13
	;;#ASMEND
	;;#ASMSTART
	v_dot2_f32_f16 v14, v92, v120, v14
	;;#ASMEND
	;;#ASMSTART
	v_dot2_f32_f16 v14, v93, v121, v14
	;;#ASMEND
	;;#ASMSTART
	v_dot2_f32_f16 v14, v94, v122, v14
	;;#ASMEND
	;;#ASMSTART
	v_dot2_f32_f16 v14, v95, v123, v14
	;;#ASMEND
	;;#ASMSTART
	v_dot2_f32_f16 v15, v92, v124, v15
	;;#ASMEND
	;;#ASMSTART
	v_dot2_f32_f16 v15, v93, v125, v15
	;;#ASMEND
	;;#ASMSTART
	v_dot2_f32_f16 v15, v94, v126, v15
	;;#ASMEND
	;;#ASMSTART
	v_dot2_f32_f16 v15, v95, v127, v15
	;;#ASMEND
	ds_read_b128 v[88:91], v32 offset:24624
	ds_read_b128 v[92:95], v32 offset:27184
	ds_read_b128 v[96:99], v35 offset:176
	ds_read_b128 v[100:103], v35 offset:432
	ds_read_b128 v[104:107], v35 offset:688
	ds_read_b128 v[108:111], v35 offset:944
	ds_read_b128 v[112:115], v35 offset:1200
	ds_read_b128 v[116:119], v35 offset:1456
	ds_read_b128 v[120:123], v35 offset:1712
	ds_read_b128 v[124:127], v35 offset:1968
	s_waitcnt lgkmcnt(7)
	;;#ASMSTART
	v_dot2_f32_f16 v0, v88, v96, v0
	;;#ASMEND
	;;#ASMSTART
	v_dot2_f32_f16 v0, v89, v97, v0
	;;#ASMEND
	;;#ASMSTART
	v_dot2_f32_f16 v0, v90, v98, v0
	;;#ASMEND
	;;#ASMSTART
	v_dot2_f32_f16 v0, v91, v99, v0
	;;#ASMEND
	s_waitcnt lgkmcnt(6)
	;;#ASMSTART
	v_dot2_f32_f16 v1, v88, v100, v1
	;;#ASMEND
	;;#ASMSTART
	v_dot2_f32_f16 v1, v89, v101, v1
	;;#ASMEND
	;;#ASMSTART
	v_dot2_f32_f16 v1, v90, v102, v1
	;;#ASMEND
	;;#ASMSTART
	v_dot2_f32_f16 v1, v91, v103, v1
	;;#ASMEND
	s_waitcnt lgkmcnt(5)
	;;#ASMSTART
	v_dot2_f32_f16 v2, v88, v104, v2
	;;#ASMEND
	;;#ASMSTART
	v_dot2_f32_f16 v2, v89, v105, v2
	;;#ASMEND
	;;#ASMSTART
	v_dot2_f32_f16 v2, v90, v106, v2
	;;#ASMEND
	;;#ASMSTART
	v_dot2_f32_f16 v2, v91, v107, v2
	;;#ASMEND
	s_waitcnt lgkmcnt(4)
	;;#ASMSTART
	v_dot2_f32_f16 v3, v88, v108, v3
	;;#ASMEND
	;;#ASMSTART
	v_dot2_f32_f16 v3, v89, v109, v3
	;;#ASMEND
	;;#ASMSTART
	v_dot2_f32_f16 v3, v90, v110, v3
	;;#ASMEND
	;;#ASMSTART
	v_dot2_f32_f16 v3, v91, v111, v3
	;;#ASMEND
	s_waitcnt lgkmcnt(3)
	;;#ASMSTART
	v_dot2_f32_f16 v4, v88, v112, v4
	;;#ASMEND
	;;#ASMSTART
	v_dot2_f32_f16 v4, v89, v113, v4
	;;#ASMEND
	;;#ASMSTART
	v_dot2_f32_f16 v4, v90, v114, v4
	;;#ASMEND
	;;#ASMSTART
	v_dot2_f32_f16 v4, v91, v115, v4
	;;#ASMEND
	s_waitcnt lgkmcnt(2)
	;;#ASMSTART
	v_dot2_f32_f16 v5, v88, v116, v5
	;;#ASMEND
	;;#ASMSTART
	v_dot2_f32_f16 v5, v89, v117, v5
	;;#ASMEND
	;;#ASMSTART
	v_dot2_f32_f16 v5, v90, v118, v5
	;;#ASMEND
	;;#ASMSTART
	v_dot2_f32_f16 v5, v91, v119, v5
	;;#ASMEND
	s_waitcnt lgkmcnt(1)
	;;#ASMSTART
	v_dot2_f32_f16 v6, v88, v120, v6
	;;#ASMEND
	;;#ASMSTART
	v_dot2_f32_f16 v6, v89, v121, v6
	;;#ASMEND
	;;#ASMSTART
	v_dot2_f32_f16 v6, v90, v122, v6
	;;#ASMEND
	;;#ASMSTART
	v_dot2_f32_f16 v6, v91, v123, v6
	;;#ASMEND
	s_waitcnt lgkmcnt(0)
	;;#ASMSTART
	v_dot2_f32_f16 v7, v88, v124, v7
	;;#ASMEND
	;;#ASMSTART
	v_dot2_f32_f16 v7, v89, v125, v7
	;;#ASMEND
	;;#ASMSTART
	v_dot2_f32_f16 v7, v90, v126, v7
	;;#ASMEND
	;;#ASMSTART
	v_dot2_f32_f16 v7, v91, v127, v7
	;;#ASMEND
	;;#ASMSTART
	v_dot2_f32_f16 v8, v92, v96, v8
	;;#ASMEND
	;;#ASMSTART
	v_dot2_f32_f16 v8, v93, v97, v8
	;;#ASMEND
	;; [unrolled: 3-line block ×32, first 2 shown]
	s_barrier
	buffer_store_dword v87, off, s[0:3], 0
	buffer_store_dword v87, off, s[0:3], 0 offset:8
	buffer_store_dword v87, off, s[0:3], 0 offset:4
	;; [unrolled: 1-line block ×3, first 2 shown]
	flat_load_dwordx4 v[88:91], v[36:37]
	s_waitcnt vmcnt(0) lgkmcnt(0)
	ds_write_b128 v39, v[88:91] offset:24576
	s_waitcnt lgkmcnt(0)
	s_barrier
	ds_read_b128 v[36:39], v32 offset:24576
	ds_read_b128 v[88:91], v32 offset:27136
	;; [unrolled: 1-line block ×10, first 2 shown]
	s_waitcnt lgkmcnt(7)
	;;#ASMSTART
	v_dot2_f32_f16 v0, v36, v92, v0
	;;#ASMEND
	;;#ASMSTART
	v_dot2_f32_f16 v0, v37, v93, v0
	;;#ASMEND
	;;#ASMSTART
	v_dot2_f32_f16 v0, v38, v94, v0
	;;#ASMEND
	;;#ASMSTART
	v_dot2_f32_f16 v0, v39, v95, v0
	;;#ASMEND
	s_waitcnt lgkmcnt(6)
	;;#ASMSTART
	v_dot2_f32_f16 v1, v36, v96, v1
	;;#ASMEND
	;;#ASMSTART
	v_dot2_f32_f16 v1, v37, v97, v1
	;;#ASMEND
	;;#ASMSTART
	v_dot2_f32_f16 v1, v38, v98, v1
	;;#ASMEND
	;;#ASMSTART
	v_dot2_f32_f16 v1, v39, v99, v1
	;;#ASMEND
	;; [unrolled: 13-line block ×8, first 2 shown]
	;;#ASMSTART
	v_dot2_f32_f16 v8, v88, v92, v8
	;;#ASMEND
	;;#ASMSTART
	v_dot2_f32_f16 v8, v89, v93, v8
	;;#ASMEND
	;; [unrolled: 3-line block ×32, first 2 shown]
	ds_read_b128 v[36:39], v32 offset:24592
	ds_read_b128 v[88:91], v32 offset:27152
	;; [unrolled: 1-line block ×10, first 2 shown]
	s_waitcnt lgkmcnt(7)
	;;#ASMSTART
	v_dot2_f32_f16 v0, v36, v92, v0
	;;#ASMEND
	;;#ASMSTART
	v_dot2_f32_f16 v0, v37, v93, v0
	;;#ASMEND
	;;#ASMSTART
	v_dot2_f32_f16 v0, v38, v94, v0
	;;#ASMEND
	;;#ASMSTART
	v_dot2_f32_f16 v0, v39, v95, v0
	;;#ASMEND
	s_waitcnt lgkmcnt(6)
	;;#ASMSTART
	v_dot2_f32_f16 v1, v36, v96, v1
	;;#ASMEND
	;;#ASMSTART
	v_dot2_f32_f16 v1, v37, v97, v1
	;;#ASMEND
	;;#ASMSTART
	v_dot2_f32_f16 v1, v38, v98, v1
	;;#ASMEND
	;;#ASMSTART
	v_dot2_f32_f16 v1, v39, v99, v1
	;;#ASMEND
	;; [unrolled: 13-line block ×8, first 2 shown]
	;;#ASMSTART
	v_dot2_f32_f16 v8, v88, v92, v8
	;;#ASMEND
	;;#ASMSTART
	v_dot2_f32_f16 v8, v89, v93, v8
	;;#ASMEND
	;; [unrolled: 3-line block ×32, first 2 shown]
	ds_read_b128 v[36:39], v32 offset:24608
	ds_read_b128 v[88:91], v32 offset:27168
	ds_read_b128 v[92:95], v35 offset:224
	ds_read_b128 v[96:99], v35 offset:480
	ds_read_b128 v[100:103], v35 offset:736
	ds_read_b128 v[104:107], v35 offset:992
	ds_read_b128 v[108:111], v35 offset:1248
	ds_read_b128 v[112:115], v35 offset:1504
	ds_read_b128 v[116:119], v35 offset:1760
	ds_read_b128 v[120:123], v35 offset:2016
	s_waitcnt lgkmcnt(7)
	;;#ASMSTART
	v_dot2_f32_f16 v0, v36, v92, v0
	;;#ASMEND
	;;#ASMSTART
	v_dot2_f32_f16 v0, v37, v93, v0
	;;#ASMEND
	;;#ASMSTART
	v_dot2_f32_f16 v0, v38, v94, v0
	;;#ASMEND
	;;#ASMSTART
	v_dot2_f32_f16 v0, v39, v95, v0
	;;#ASMEND
	s_waitcnt lgkmcnt(6)
	;;#ASMSTART
	v_dot2_f32_f16 v1, v36, v96, v1
	;;#ASMEND
	;;#ASMSTART
	v_dot2_f32_f16 v1, v37, v97, v1
	;;#ASMEND
	;;#ASMSTART
	v_dot2_f32_f16 v1, v38, v98, v1
	;;#ASMEND
	;;#ASMSTART
	v_dot2_f32_f16 v1, v39, v99, v1
	;;#ASMEND
	;; [unrolled: 13-line block ×8, first 2 shown]
	;;#ASMSTART
	v_dot2_f32_f16 v8, v88, v92, v8
	;;#ASMEND
	;;#ASMSTART
	v_dot2_f32_f16 v8, v89, v93, v8
	;;#ASMEND
	;; [unrolled: 3-line block ×32, first 2 shown]
	ds_read_b128 v[36:39], v32 offset:24624
	ds_read_b128 v[88:91], v32 offset:27184
	;; [unrolled: 1-line block ×10, first 2 shown]
	s_waitcnt lgkmcnt(7)
	;;#ASMSTART
	v_dot2_f32_f16 v0, v36, v92, v0
	;;#ASMEND
	;;#ASMSTART
	v_dot2_f32_f16 v0, v37, v93, v0
	;;#ASMEND
	;;#ASMSTART
	v_dot2_f32_f16 v0, v38, v94, v0
	;;#ASMEND
	;;#ASMSTART
	v_dot2_f32_f16 v0, v39, v95, v0
	;;#ASMEND
	s_waitcnt lgkmcnt(6)
	;;#ASMSTART
	v_dot2_f32_f16 v1, v36, v96, v1
	;;#ASMEND
	;;#ASMSTART
	v_dot2_f32_f16 v1, v37, v97, v1
	;;#ASMEND
	;;#ASMSTART
	v_dot2_f32_f16 v1, v38, v98, v1
	;;#ASMEND
	;;#ASMSTART
	v_dot2_f32_f16 v1, v39, v99, v1
	;;#ASMEND
	;; [unrolled: 13-line block ×8, first 2 shown]
	;;#ASMSTART
	v_dot2_f32_f16 v8, v88, v92, v8
	;;#ASMEND
	;;#ASMSTART
	v_dot2_f32_f16 v8, v89, v93, v8
	;;#ASMEND
	;; [unrolled: 3-line block ×29, first 2 shown]
	v_cndmask_b32_e64 v32, 0, 1, s[6:7]
	;;#ASMSTART
	v_dot2_f32_f16 v15, v89, v121, v15
	;;#ASMEND
	v_cmp_ne_u32_e64 s[6:7], 1, v32
	v_add_u32_e32 v88, s18, v34
	v_pk_mov_b32 v[38:39], v[30:31], v[30:31] op_sel:[0,1]
	;;#ASMSTART
	v_dot2_f32_f16 v15, v90, v122, v15
	;;#ASMEND
	v_pk_mov_b32 v[36:37], v[28:29], v[28:29] op_sel:[0,1]
	v_pk_mov_b32 v[34:35], v[26:27], v[26:27] op_sel:[0,1]
	;; [unrolled: 1-line block ×3, first 2 shown]
	;;#ASMSTART
	v_dot2_f32_f16 v15, v91, v123, v15
	;;#ASMEND
	s_and_saveexec_b64 s[10:11], s[12:13]
	s_cbranch_execz .LBB52_51
; %bb.48:
	s_and_b64 vcc, exec, s[6:7]
	s_cbranch_vccnz .LBB52_50
; %bb.49:
	v_add_u32_e32 v32, v88, v56
	v_ashrrev_i32_e32 v33, 31, v32
	v_lshlrev_b64 v[32:33], 1, v[32:33]
	v_mov_b32_e32 v34, s15
	v_add_co_u32_e32 v32, vcc, s14, v32
	v_addc_co_u32_e32 v33, vcc, v34, v33, vcc
	flat_load_ushort v32, v[32:33]
	s_waitcnt vmcnt(0) lgkmcnt(0)
	v_cvt_f32_f16_e32 v32, v32
	v_mul_f32_e32 v87, v62, v32
.LBB52_50:
	v_add_f32_e32 v0, v0, v87
	v_add_f32_e32 v32, 0x40051340, v0
	v_max_f32_e32 v33, v24, v24
	v_max_f32_e32 v87, v33, v32
	v_pk_mov_b32 v[38:39], v[30:31], v[30:31] op_sel:[0,1]
	v_pk_mov_b32 v[32:33], v[24:25], v[24:25] op_sel:[0,1]
	;; [unrolled: 1-line block ×4, first 2 shown]
	v_mov_b32_e32 v32, v87
.LBB52_51:
	s_or_b64 exec, exec, s[10:11]
	v_add_u32_e32 v94, 32, v56
	v_cmp_gt_i32_e64 s[10:11], s21, v94
	s_and_saveexec_b64 s[16:17], s[10:11]
	s_cbranch_execz .LBB52_56
; %bb.52:
	s_and_b64 vcc, exec, s[6:7]
	s_cbranch_vccnz .LBB52_54
; %bb.53:
	v_ashrrev_i32_e32 v87, 31, v88
	v_add_co_u32_e32 v88, vcc, v88, v56
	v_addc_co_u32_e32 v89, vcc, 0, v87, vcc
	v_lshlrev_b64 v[88:89], 1, v[88:89]
	v_mov_b32_e32 v87, s15
	v_add_co_u32_e32 v88, vcc, s14, v88
	v_addc_co_u32_e32 v89, vcc, v87, v89, vcc
	flat_load_ushort v87, v[88:89] offset:64
	s_waitcnt vmcnt(0) lgkmcnt(0)
	v_cvt_f32_f16_e32 v87, v87
	v_mul_f32_e32 v87, v62, v87
	s_branch .LBB52_55
.LBB52_54:
	v_mov_b32_e32 v87, 0
.LBB52_55:
	v_add_f32_e32 v8, v8, v87
	v_add_f32_e32 v87, 0x40051340, v8
	v_max_f32_e32 v32, v32, v32
	v_max_f32_e32 v32, v32, v87
.LBB52_56:
	s_or_b64 exec, exec, s[16:17]
	v_mbcnt_hi_u32_b32 v87, -1, v82
	v_and_b32_e32 v82, 0x60, v87
	v_add_u32_e32 v88, 32, v82
	v_xor_b32_e32 v90, 16, v87
	v_cmp_lt_i32_e32 vcc, v90, v88
	v_cndmask_b32_e32 v82, v87, v90, vcc
	v_lshlrev_b32_e32 v82, 2, v82
	ds_bpermute_b32 v89, v82, v32
	v_xor_b32_e32 v93, 8, v87
	v_cmp_lt_i32_e32 vcc, v93, v88
	v_cndmask_b32_e32 v91, v87, v93, vcc
	v_max_f32_e32 v32, v32, v32
	s_waitcnt lgkmcnt(0)
	v_max_f32_e32 v89, v89, v89
	v_lshlrev_b32_e32 v95, 2, v91
	v_max_f32_e32 v32, v32, v89
	ds_bpermute_b32 v89, v95, v32
	v_xor_b32_e32 v91, 4, v87
	v_cmp_lt_i32_e32 vcc, v91, v88
	v_cndmask_b32_e32 v92, v87, v91, vcc
	v_lshlrev_b32_e32 v96, 2, v92
	s_waitcnt lgkmcnt(0)
	v_max_f32_e32 v89, v89, v89
	v_max_f32_e32 v32, v32, v89
	ds_bpermute_b32 v89, v96, v32
	v_xor_b32_e32 v92, 2, v87
	v_cmp_lt_i32_e32 vcc, v92, v88
	v_cndmask_b32_e32 v97, v87, v92, vcc
	v_lshlrev_b32_e32 v97, 2, v97
	s_waitcnt lgkmcnt(0)
	v_max_f32_e32 v89, v89, v89
	;; [unrolled: 8-line block ×3, first 2 shown]
	v_max_f32_e32 v32, v32, v99
	ds_bpermute_b32 v99, v98, v32
	v_mul_hi_u32 v100, s36, v81
	s_waitcnt lgkmcnt(0)
	v_max_f32_e32 v99, v99, v99
	v_max_f32_e32 v32, v32, v99
	v_add_u32_e32 v99, v81, v100
	v_lshrrev_b32_e32 v99, s37, v99
	v_mul_lo_u32 v99, v99, s38
	v_sub_u32_e32 v81, v81, v99
	v_mul_lo_u32 v81, v81, s23
	v_add_u32_e32 v81, s18, v81
	s_and_saveexec_b64 s[16:17], s[12:13]
	s_cbranch_execz .LBB52_61
; %bb.57:
	s_and_b64 vcc, exec, s[6:7]
	s_cbranch_vccnz .LBB52_59
; %bb.58:
	v_add_u32_e32 v100, v81, v56
	v_ashrrev_i32_e32 v101, 31, v100
	v_lshlrev_b64 v[100:101], 1, v[100:101]
	v_mov_b32_e32 v99, s15
	v_add_co_u32_e32 v100, vcc, s14, v100
	v_addc_co_u32_e32 v101, vcc, v99, v101, vcc
	flat_load_ushort v99, v[100:101]
	s_waitcnt vmcnt(0) lgkmcnt(0)
	v_cvt_f32_f16_e32 v99, v99
	v_mul_f32_e32 v99, v62, v99
	s_branch .LBB52_60
.LBB52_59:
	v_mov_b32_e32 v99, 0
.LBB52_60:
	v_add_f32_e32 v1, v1, v99
	v_add_f32_e32 v99, 0x40051340, v1
	v_max_f32_e32 v33, v33, v33
	v_max_f32_e32 v33, v33, v99
.LBB52_61:
	s_or_b64 exec, exec, s[16:17]
	s_and_saveexec_b64 s[16:17], s[10:11]
	s_cbranch_execz .LBB52_66
; %bb.62:
	s_and_b64 vcc, exec, s[6:7]
	s_cbranch_vccnz .LBB52_64
; %bb.63:
	v_ashrrev_i32_e32 v99, 31, v81
	v_add_co_u32_e32 v100, vcc, v81, v56
	v_addc_co_u32_e32 v101, vcc, 0, v99, vcc
	v_lshlrev_b64 v[100:101], 1, v[100:101]
	v_mov_b32_e32 v81, s15
	v_add_co_u32_e32 v100, vcc, s14, v100
	v_addc_co_u32_e32 v101, vcc, v81, v101, vcc
	flat_load_ushort v81, v[100:101] offset:64
	s_waitcnt vmcnt(0) lgkmcnt(0)
	v_cvt_f32_f16_e32 v81, v81
	v_mul_f32_e32 v81, v62, v81
	s_branch .LBB52_65
.LBB52_64:
	v_mov_b32_e32 v81, 0
.LBB52_65:
	v_add_f32_e32 v9, v9, v81
	v_add_f32_e32 v81, 0x40051340, v9
	v_max_f32_e32 v33, v33, v33
	v_max_f32_e32 v33, v33, v81
.LBB52_66:
	s_or_b64 exec, exec, s[16:17]
	ds_bpermute_b32 v81, v82, v33
	v_max_f32_e32 v33, v33, v33
	v_mul_hi_u32 v99, s36, v78
	v_add_u32_e32 v99, v78, v99
	v_lshrrev_b32_e32 v99, s37, v99
	s_waitcnt lgkmcnt(0)
	v_max_f32_e32 v81, v81, v81
	v_max_f32_e32 v33, v33, v81
	ds_bpermute_b32 v81, v95, v33
	v_mul_lo_u32 v99, v99, s38
	v_sub_u32_e32 v78, v78, v99
	v_mul_lo_u32 v78, v78, s23
	v_add_u32_e32 v78, s18, v78
	s_waitcnt lgkmcnt(0)
	v_max_f32_e32 v81, v81, v81
	v_max_f32_e32 v33, v33, v81
	ds_bpermute_b32 v81, v96, v33
	s_waitcnt lgkmcnt(0)
	v_max_f32_e32 v81, v81, v81
	v_max_f32_e32 v33, v33, v81
	ds_bpermute_b32 v81, v97, v33
	;; [unrolled: 4-line block ×3, first 2 shown]
	s_waitcnt lgkmcnt(0)
	v_max_f32_e32 v81, v81, v81
	v_max_f32_e32 v33, v33, v81
	s_and_saveexec_b64 s[16:17], s[12:13]
	s_cbranch_execz .LBB52_71
; %bb.67:
	s_and_b64 vcc, exec, s[6:7]
	s_cbranch_vccnz .LBB52_69
; %bb.68:
	v_add_u32_e32 v100, v78, v56
	v_ashrrev_i32_e32 v101, 31, v100
	v_lshlrev_b64 v[100:101], 1, v[100:101]
	v_mov_b32_e32 v81, s15
	v_add_co_u32_e32 v100, vcc, s14, v100
	v_addc_co_u32_e32 v101, vcc, v81, v101, vcc
	flat_load_ushort v81, v[100:101]
	s_waitcnt vmcnt(0) lgkmcnt(0)
	v_cvt_f32_f16_e32 v81, v81
	v_mul_f32_e32 v81, v62, v81
	s_branch .LBB52_70
.LBB52_69:
	v_mov_b32_e32 v81, 0
.LBB52_70:
	v_add_f32_e32 v2, v2, v81
	v_add_f32_e32 v81, 0x40051340, v2
	v_max_f32_e32 v34, v34, v34
	v_max_f32_e32 v34, v34, v81
.LBB52_71:
	s_or_b64 exec, exec, s[16:17]
	s_and_saveexec_b64 s[16:17], s[10:11]
	s_cbranch_execz .LBB52_76
; %bb.72:
	s_and_b64 vcc, exec, s[6:7]
	s_cbranch_vccnz .LBB52_74
; %bb.73:
	v_ashrrev_i32_e32 v81, 31, v78
	v_add_co_u32_e32 v100, vcc, v78, v56
	v_addc_co_u32_e32 v101, vcc, 0, v81, vcc
	v_lshlrev_b64 v[100:101], 1, v[100:101]
	v_mov_b32_e32 v78, s15
	v_add_co_u32_e32 v100, vcc, s14, v100
	v_addc_co_u32_e32 v101, vcc, v78, v101, vcc
	flat_load_ushort v78, v[100:101] offset:64
	s_waitcnt vmcnt(0) lgkmcnt(0)
	v_cvt_f32_f16_e32 v78, v78
	v_mul_f32_e32 v78, v62, v78
	s_branch .LBB52_75
.LBB52_74:
	v_mov_b32_e32 v78, 0
.LBB52_75:
	v_add_f32_e32 v10, v10, v78
	v_add_f32_e32 v78, 0x40051340, v10
	v_max_f32_e32 v34, v34, v34
	v_max_f32_e32 v34, v34, v78
.LBB52_76:
	s_or_b64 exec, exec, s[16:17]
	ds_bpermute_b32 v78, v82, v34
	v_max_f32_e32 v34, v34, v34
	v_mul_hi_u32 v81, s36, v77
	v_add_u32_e32 v81, v77, v81
	v_lshrrev_b32_e32 v81, s37, v81
	s_waitcnt lgkmcnt(0)
	v_max_f32_e32 v78, v78, v78
	v_max_f32_e32 v34, v34, v78
	ds_bpermute_b32 v78, v95, v34
	v_mul_lo_u32 v81, v81, s38
	v_sub_u32_e32 v77, v77, v81
	v_mul_lo_u32 v77, v77, s23
	v_add_u32_e32 v77, s18, v77
	s_waitcnt lgkmcnt(0)
	v_max_f32_e32 v78, v78, v78
	v_max_f32_e32 v34, v34, v78
	ds_bpermute_b32 v78, v96, v34
	s_waitcnt lgkmcnt(0)
	v_max_f32_e32 v78, v78, v78
	v_max_f32_e32 v34, v34, v78
	ds_bpermute_b32 v78, v97, v34
	s_waitcnt lgkmcnt(0)
	v_max_f32_e32 v78, v78, v78
	v_max_f32_e32 v34, v34, v78
	ds_bpermute_b32 v78, v98, v34
	s_waitcnt lgkmcnt(0)
	v_max_f32_e32 v78, v78, v78
	v_max_f32_e32 v34, v34, v78
	s_and_saveexec_b64 s[16:17], s[12:13]
	s_cbranch_execz .LBB52_81
; %bb.77:
	s_and_b64 vcc, exec, s[6:7]
	s_cbranch_vccnz .LBB52_79
; %bb.78:
	v_add_u32_e32 v100, v77, v56
	v_ashrrev_i32_e32 v101, 31, v100
	v_lshlrev_b64 v[100:101], 1, v[100:101]
	v_mov_b32_e32 v78, s15
	v_add_co_u32_e32 v100, vcc, s14, v100
	v_addc_co_u32_e32 v101, vcc, v78, v101, vcc
	flat_load_ushort v78, v[100:101]
	s_waitcnt vmcnt(0) lgkmcnt(0)
	v_cvt_f32_f16_e32 v78, v78
	v_mul_f32_e32 v78, v62, v78
	s_branch .LBB52_80
.LBB52_79:
	v_mov_b32_e32 v78, 0
.LBB52_80:
	v_add_f32_e32 v3, v3, v78
	v_add_f32_e32 v78, 0x40051340, v3
	v_max_f32_e32 v35, v35, v35
	v_max_f32_e32 v35, v35, v78
.LBB52_81:
	s_or_b64 exec, exec, s[16:17]
	s_and_saveexec_b64 s[16:17], s[10:11]
	s_cbranch_execz .LBB52_86
; %bb.82:
	s_and_b64 vcc, exec, s[6:7]
	s_cbranch_vccnz .LBB52_84
; %bb.83:
	v_ashrrev_i32_e32 v78, 31, v77
	v_add_co_u32_e32 v100, vcc, v77, v56
	v_addc_co_u32_e32 v101, vcc, 0, v78, vcc
	v_lshlrev_b64 v[100:101], 1, v[100:101]
	v_mov_b32_e32 v77, s15
	v_add_co_u32_e32 v100, vcc, s14, v100
	v_addc_co_u32_e32 v101, vcc, v77, v101, vcc
	flat_load_ushort v77, v[100:101] offset:64
	s_waitcnt vmcnt(0) lgkmcnt(0)
	v_cvt_f32_f16_e32 v77, v77
	v_mul_f32_e32 v77, v62, v77
	s_branch .LBB52_85
.LBB52_84:
	v_mov_b32_e32 v77, 0
.LBB52_85:
	v_add_f32_e32 v11, v11, v77
	v_add_f32_e32 v77, 0x40051340, v11
	v_max_f32_e32 v35, v35, v35
	v_max_f32_e32 v35, v35, v77
.LBB52_86:
	s_or_b64 exec, exec, s[16:17]
	ds_bpermute_b32 v77, v82, v35
	v_max_f32_e32 v35, v35, v35
	v_mul_hi_u32 v78, s36, v76
	v_add_u32_e32 v78, v76, v78
	v_lshrrev_b32_e32 v78, s37, v78
	s_waitcnt lgkmcnt(0)
	v_max_f32_e32 v77, v77, v77
	v_max_f32_e32 v35, v35, v77
	ds_bpermute_b32 v77, v95, v35
	v_mul_lo_u32 v78, v78, s38
	v_sub_u32_e32 v76, v76, v78
	v_mul_lo_u32 v76, v76, s23
	v_add_u32_e32 v76, s18, v76
	s_waitcnt lgkmcnt(0)
	v_max_f32_e32 v77, v77, v77
	v_max_f32_e32 v35, v35, v77
	ds_bpermute_b32 v77, v96, v35
	s_waitcnt lgkmcnt(0)
	v_max_f32_e32 v77, v77, v77
	v_max_f32_e32 v35, v35, v77
	ds_bpermute_b32 v77, v97, v35
	;; [unrolled: 4-line block ×3, first 2 shown]
	s_waitcnt lgkmcnt(0)
	v_max_f32_e32 v77, v77, v77
	v_max_f32_e32 v35, v35, v77
	s_and_saveexec_b64 s[16:17], s[12:13]
	s_cbranch_execz .LBB52_91
; %bb.87:
	s_and_b64 vcc, exec, s[6:7]
	s_cbranch_vccnz .LBB52_89
; %bb.88:
	v_add_u32_e32 v100, v76, v56
	v_ashrrev_i32_e32 v101, 31, v100
	v_lshlrev_b64 v[100:101], 1, v[100:101]
	v_mov_b32_e32 v77, s15
	v_add_co_u32_e32 v100, vcc, s14, v100
	v_addc_co_u32_e32 v101, vcc, v77, v101, vcc
	flat_load_ushort v77, v[100:101]
	s_waitcnt vmcnt(0) lgkmcnt(0)
	v_cvt_f32_f16_e32 v77, v77
	v_mul_f32_e32 v77, v62, v77
	s_branch .LBB52_90
.LBB52_89:
	v_mov_b32_e32 v77, 0
.LBB52_90:
	v_add_f32_e32 v4, v4, v77
	v_add_f32_e32 v77, 0x40051340, v4
	v_max_f32_e32 v36, v36, v36
	v_max_f32_e32 v36, v36, v77
.LBB52_91:
	s_or_b64 exec, exec, s[16:17]
	s_and_saveexec_b64 s[16:17], s[10:11]
	s_cbranch_execz .LBB52_96
; %bb.92:
	s_and_b64 vcc, exec, s[6:7]
	s_cbranch_vccnz .LBB52_94
; %bb.93:
	v_ashrrev_i32_e32 v77, 31, v76
	v_add_co_u32_e32 v76, vcc, v76, v56
	v_addc_co_u32_e32 v77, vcc, 0, v77, vcc
	v_lshlrev_b64 v[76:77], 1, v[76:77]
	v_mov_b32_e32 v78, s15
	v_add_co_u32_e32 v76, vcc, s14, v76
	v_addc_co_u32_e32 v77, vcc, v78, v77, vcc
	flat_load_ushort v76, v[76:77] offset:64
	s_waitcnt vmcnt(0) lgkmcnt(0)
	v_cvt_f32_f16_e32 v76, v76
	v_mul_f32_e32 v76, v62, v76
	s_branch .LBB52_95
.LBB52_94:
	v_mov_b32_e32 v76, 0
.LBB52_95:
	v_add_f32_e32 v12, v12, v76
	v_add_f32_e32 v76, 0x40051340, v12
	v_max_f32_e32 v36, v36, v36
	v_max_f32_e32 v36, v36, v76
.LBB52_96:
	s_or_b64 exec, exec, s[16:17]
	ds_bpermute_b32 v76, v82, v36
	v_max_f32_e32 v36, v36, v36
	v_mul_hi_u32 v77, s36, v73
	v_add_u32_e32 v77, v73, v77
	v_lshrrev_b32_e32 v77, s37, v77
	s_waitcnt lgkmcnt(0)
	v_max_f32_e32 v76, v76, v76
	v_max_f32_e32 v36, v36, v76
	ds_bpermute_b32 v76, v95, v36
	v_mul_lo_u32 v77, v77, s38
	v_sub_u32_e32 v73, v73, v77
	v_mul_lo_u32 v73, v73, s23
	v_add_u32_e32 v73, s18, v73
	s_waitcnt lgkmcnt(0)
	v_max_f32_e32 v76, v76, v76
	v_max_f32_e32 v36, v36, v76
	ds_bpermute_b32 v76, v96, v36
	s_waitcnt lgkmcnt(0)
	v_max_f32_e32 v76, v76, v76
	v_max_f32_e32 v36, v36, v76
	ds_bpermute_b32 v76, v97, v36
	s_waitcnt lgkmcnt(0)
	v_max_f32_e32 v76, v76, v76
	v_max_f32_e32 v36, v36, v76
	ds_bpermute_b32 v76, v98, v36
	s_waitcnt lgkmcnt(0)
	v_max_f32_e32 v76, v76, v76
	v_max_f32_e32 v36, v36, v76
	s_and_saveexec_b64 s[16:17], s[12:13]
	s_cbranch_execz .LBB52_101
; %bb.97:
	s_and_b64 vcc, exec, s[6:7]
	s_cbranch_vccnz .LBB52_99
; %bb.98:
	v_add_u32_e32 v76, v73, v56
	v_ashrrev_i32_e32 v77, 31, v76
	v_lshlrev_b64 v[76:77], 1, v[76:77]
	v_mov_b32_e32 v78, s15
	v_add_co_u32_e32 v76, vcc, s14, v76
	v_addc_co_u32_e32 v77, vcc, v78, v77, vcc
	flat_load_ushort v76, v[76:77]
	s_waitcnt vmcnt(0) lgkmcnt(0)
	v_cvt_f32_f16_e32 v76, v76
	v_mul_f32_e32 v76, v62, v76
	s_branch .LBB52_100
.LBB52_99:
	v_mov_b32_e32 v76, 0
.LBB52_100:
	v_add_f32_e32 v5, v5, v76
	v_add_f32_e32 v76, 0x40051340, v5
	v_max_f32_e32 v37, v37, v37
	v_max_f32_e32 v37, v37, v76
.LBB52_101:
	s_or_b64 exec, exec, s[16:17]
	s_and_saveexec_b64 s[16:17], s[10:11]
	s_cbranch_execz .LBB52_106
; %bb.102:
	s_and_b64 vcc, exec, s[6:7]
	s_cbranch_vccnz .LBB52_104
; %bb.103:
	v_ashrrev_i32_e32 v77, 31, v73
	v_add_co_u32_e32 v76, vcc, v73, v56
	v_addc_co_u32_e32 v77, vcc, 0, v77, vcc
	v_lshlrev_b64 v[76:77], 1, v[76:77]
	v_mov_b32_e32 v73, s15
	v_add_co_u32_e32 v76, vcc, s14, v76
	v_addc_co_u32_e32 v77, vcc, v73, v77, vcc
	flat_load_ushort v73, v[76:77] offset:64
	s_waitcnt vmcnt(0) lgkmcnt(0)
	v_cvt_f32_f16_e32 v73, v73
	v_mul_f32_e32 v73, v62, v73
	s_branch .LBB52_105
.LBB52_104:
	v_mov_b32_e32 v73, 0
.LBB52_105:
	v_add_f32_e32 v13, v13, v73
	v_add_f32_e32 v73, 0x40051340, v13
	v_max_f32_e32 v37, v37, v37
	v_max_f32_e32 v37, v37, v73
.LBB52_106:
	s_or_b64 exec, exec, s[16:17]
	ds_bpermute_b32 v73, v82, v37
	v_max_f32_e32 v37, v37, v37
	v_mul_hi_u32 v76, s36, v70
	v_add_u32_e32 v76, v70, v76
	v_lshrrev_b32_e32 v76, s37, v76
	s_waitcnt lgkmcnt(0)
	v_max_f32_e32 v73, v73, v73
	v_max_f32_e32 v37, v37, v73
	ds_bpermute_b32 v73, v95, v37
	v_mul_lo_u32 v76, v76, s38
	v_sub_u32_e32 v70, v70, v76
	v_mul_lo_u32 v70, v70, s23
	v_add_u32_e32 v70, s18, v70
	s_waitcnt lgkmcnt(0)
	v_max_f32_e32 v73, v73, v73
	v_max_f32_e32 v37, v37, v73
	ds_bpermute_b32 v73, v96, v37
	s_waitcnt lgkmcnt(0)
	v_max_f32_e32 v73, v73, v73
	v_max_f32_e32 v37, v37, v73
	ds_bpermute_b32 v73, v97, v37
	;; [unrolled: 4-line block ×3, first 2 shown]
	s_waitcnt lgkmcnt(0)
	v_max_f32_e32 v73, v73, v73
	v_max_f32_e32 v37, v37, v73
	s_and_saveexec_b64 s[16:17], s[12:13]
	s_cbranch_execz .LBB52_111
; %bb.107:
	s_and_b64 vcc, exec, s[6:7]
	s_cbranch_vccnz .LBB52_109
; %bb.108:
	v_add_u32_e32 v76, v70, v56
	v_ashrrev_i32_e32 v77, 31, v76
	v_lshlrev_b64 v[76:77], 1, v[76:77]
	v_mov_b32_e32 v73, s15
	v_add_co_u32_e32 v76, vcc, s14, v76
	v_addc_co_u32_e32 v77, vcc, v73, v77, vcc
	flat_load_ushort v73, v[76:77]
	s_waitcnt vmcnt(0) lgkmcnt(0)
	v_cvt_f32_f16_e32 v73, v73
	v_mul_f32_e32 v73, v62, v73
	s_branch .LBB52_110
.LBB52_109:
	v_mov_b32_e32 v73, 0
.LBB52_110:
	v_add_f32_e32 v6, v6, v73
	v_add_f32_e32 v73, 0x40051340, v6
	v_max_f32_e32 v38, v38, v38
	v_max_f32_e32 v38, v38, v73
.LBB52_111:
	s_or_b64 exec, exec, s[16:17]
	s_and_saveexec_b64 s[16:17], s[10:11]
	s_cbranch_execz .LBB52_116
; %bb.112:
	s_and_b64 vcc, exec, s[6:7]
	s_cbranch_vccnz .LBB52_114
; %bb.113:
	v_ashrrev_i32_e32 v73, 31, v70
	v_add_co_u32_e32 v76, vcc, v70, v56
	v_addc_co_u32_e32 v77, vcc, 0, v73, vcc
	v_lshlrev_b64 v[76:77], 1, v[76:77]
	v_mov_b32_e32 v70, s15
	v_add_co_u32_e32 v76, vcc, s14, v76
	v_addc_co_u32_e32 v77, vcc, v70, v77, vcc
	flat_load_ushort v70, v[76:77] offset:64
	s_waitcnt vmcnt(0) lgkmcnt(0)
	v_cvt_f32_f16_e32 v70, v70
	v_mul_f32_e32 v70, v62, v70
	s_branch .LBB52_115
.LBB52_114:
	v_mov_b32_e32 v70, 0
.LBB52_115:
	v_add_f32_e32 v14, v14, v70
	v_add_f32_e32 v70, 0x40051340, v14
	v_max_f32_e32 v38, v38, v38
	v_max_f32_e32 v38, v38, v70
.LBB52_116:
	s_or_b64 exec, exec, s[16:17]
	ds_bpermute_b32 v70, v82, v38
	v_max_f32_e32 v38, v38, v38
	v_mul_hi_u32 v73, s36, v67
	v_add_u32_e32 v73, v67, v73
	v_lshrrev_b32_e32 v73, s37, v73
	s_waitcnt lgkmcnt(0)
	v_max_f32_e32 v70, v70, v70
	v_max_f32_e32 v38, v38, v70
	ds_bpermute_b32 v70, v95, v38
	v_mul_lo_u32 v73, v73, s38
	v_sub_u32_e32 v67, v67, v73
	v_mul_lo_u32 v67, v67, s23
	v_add_u32_e32 v67, s18, v67
	s_waitcnt lgkmcnt(0)
	v_max_f32_e32 v70, v70, v70
	v_max_f32_e32 v38, v38, v70
	ds_bpermute_b32 v70, v96, v38
	s_waitcnt lgkmcnt(0)
	v_max_f32_e32 v70, v70, v70
	v_max_f32_e32 v38, v38, v70
	ds_bpermute_b32 v70, v97, v38
	;; [unrolled: 4-line block ×3, first 2 shown]
	s_waitcnt lgkmcnt(0)
	v_max_f32_e32 v70, v70, v70
	v_max_f32_e32 v38, v38, v70
	s_and_saveexec_b64 s[16:17], s[12:13]
	s_cbranch_execz .LBB52_121
; %bb.117:
	s_and_b64 vcc, exec, s[6:7]
	s_cbranch_vccnz .LBB52_119
; %bb.118:
	v_add_u32_e32 v76, v67, v56
	v_ashrrev_i32_e32 v77, 31, v76
	v_lshlrev_b64 v[76:77], 1, v[76:77]
	v_mov_b32_e32 v70, s15
	v_add_co_u32_e32 v76, vcc, s14, v76
	v_addc_co_u32_e32 v77, vcc, v70, v77, vcc
	flat_load_ushort v70, v[76:77]
	s_waitcnt vmcnt(0) lgkmcnt(0)
	v_cvt_f32_f16_e32 v70, v70
	v_mul_f32_e32 v70, v62, v70
	s_branch .LBB52_120
.LBB52_119:
	v_mov_b32_e32 v70, 0
.LBB52_120:
	v_add_f32_e32 v7, v7, v70
	v_add_f32_e32 v70, 0x40051340, v7
	v_max_f32_e32 v39, v39, v39
	v_max_f32_e32 v39, v39, v70
.LBB52_121:
	s_or_b64 exec, exec, s[16:17]
	s_and_saveexec_b64 s[12:13], s[10:11]
	s_cbranch_execz .LBB52_126
; %bb.122:
	s_and_b64 vcc, exec, s[6:7]
	s_cbranch_vccnz .LBB52_124
; %bb.123:
	v_ashrrev_i32_e32 v70, 31, v67
	v_add_co_u32_e32 v76, vcc, v67, v56
	v_addc_co_u32_e32 v77, vcc, 0, v70, vcc
	v_lshlrev_b64 v[76:77], 1, v[76:77]
	v_mov_b32_e32 v67, s15
	v_add_co_u32_e32 v76, vcc, s14, v76
	v_addc_co_u32_e32 v77, vcc, v67, v77, vcc
	flat_load_ushort v67, v[76:77] offset:64
	s_waitcnt vmcnt(0) lgkmcnt(0)
	v_cvt_f32_f16_e32 v67, v67
	v_mul_f32_e32 v62, v62, v67
	s_branch .LBB52_125
.LBB52_124:
	v_mov_b32_e32 v62, 0
.LBB52_125:
	v_add_f32_e32 v15, v15, v62
	v_add_f32_e32 v62, 0x40051340, v15
	v_max_f32_e32 v39, v39, v39
	v_max_f32_e32 v39, v39, v62
.LBB52_126:
	s_or_b64 exec, exec, s[12:13]
	v_sub_f32_e32 v67, v9, v33
	ds_bpermute_b32 v9, v82, v39
	v_max_f32_e32 v39, v39, v39
	v_sub_f32_e32 v0, v0, v32
	s_mov_b32 s17, 0x3fb8aa3b
	v_mul_f32_e32 v62, 0x3fb8aa3b, v0
	s_waitcnt lgkmcnt(0)
	v_max_f32_e32 v9, v9, v9
	v_max_f32_e32 v9, v39, v9
	ds_bpermute_b32 v39, v95, v9
	v_fma_f32 v70, v0, s17, -v62
	v_rndne_f32_e32 v73, v62
	v_fmac_f32_e32 v70, 0x32a5705f, v0
	v_sub_f32_e32 v62, v62, v73
	s_waitcnt lgkmcnt(0)
	v_max_f32_e32 v39, v39, v39
	v_max_f32_e32 v9, v9, v39
	ds_bpermute_b32 v39, v96, v9
	v_add_f32_e32 v62, v62, v70
	v_cvt_i32_f32_e32 v73, v73
	v_exp_f32_e32 v62, v62
	v_sub_f32_e32 v8, v8, v32
	s_waitcnt lgkmcnt(0)
	v_max_f32_e32 v39, v39, v39
	v_max_f32_e32 v9, v9, v39
	ds_bpermute_b32 v39, v97, v9
	v_mul_f32_e32 v70, 0x3fb8aa3b, v8
	v_ldexp_f32 v62, v62, v73
	v_fma_f32 v73, v8, s17, -v70
	v_rndne_f32_e32 v76, v70
	s_waitcnt lgkmcnt(0)
	v_max_f32_e32 v39, v39, v39
	v_max_f32_e32 v9, v9, v39
	ds_bpermute_b32 v39, v98, v9
	v_fmac_f32_e32 v73, 0x32a5705f, v8
	v_sub_f32_e32 v70, v70, v76
	v_add_f32_e32 v70, v70, v73
	s_mov_b32 s16, 0xc2ce8ed0
	v_exp_f32_e32 v70, v70
	v_cvt_i32_f32_e32 v73, v76
	s_mov_b32 s23, 0x42b17218
	v_cmp_ngt_f32_e32 vcc, s16, v0
	s_waitcnt lgkmcnt(0)
	v_max_f32_e32 v39, v39, v39
	v_sub_f32_e32 v24, v24, v32
	v_cndmask_b32_e32 v62, 0, v62, vcc
	v_max_f32_e32 v39, v9, v39
	v_mov_b32_e32 v9, 0x7f800000
	v_cmp_nlt_f32_e32 vcc, s23, v0
	v_cndmask_b32_e32 v0, v9, v62, vcc
	v_cmp_gt_u32_e32 vcc, s21, v56
	v_mul_f32_e32 v62, 0x3fb8aa3b, v24
	v_cndmask_b32_e32 v76, 0, v0, vcc
	v_ldexp_f32 v0, v70, v73
	v_fma_f32 v70, v24, s17, -v62
	v_rndne_f32_e32 v73, v62
	v_fmac_f32_e32 v70, 0x32a5705f, v24
	v_sub_f32_e32 v62, v62, v73
	v_add_f32_e32 v62, v62, v70
	v_exp_f32_e32 v62, v62
	v_cvt_i32_f32_e32 v70, v73
	v_cmp_ngt_f32_e64 s[6:7], s16, v8
	v_cndmask_b32_e64 v0, 0, v0, s[6:7]
	v_cmp_nlt_f32_e64 s[6:7], s23, v8
	v_cndmask_b32_e64 v0, v9, v0, s[6:7]
	v_cmp_gt_u32_e64 s[6:7], s21, v94
	v_cndmask_b32_e64 v8, 0, v0, s[6:7]
	v_ldexp_f32 v0, v62, v70
	v_cmp_ngt_f32_e64 s[10:11], s16, v24
	v_cndmask_b32_e64 v62, 0, v0, s[10:11]
	v_cmp_nlt_f32_e64 s[10:11], s23, v24
	v_add_f32_e32 v0, v76, v8
	v_cndmask_b32_e64 v24, v9, v62, s[10:11]
	v_fmac_f32_e32 v0, v16, v24
	v_cvt_f16_f32_e32 v16, v24
	v_sub_f32_e32 v1, v1, v33
	v_cmp_ngt_f32_e64 s[10:11], s16, v67
	v_sub_f32_e32 v25, v25, v33
	v_pk_mul_f16 v62, v16, v85 op_sel_hi:[0,1]
	v_pk_mul_f16 v24, v16, v86 op_sel_hi:[0,1]
	v_mul_f32_e32 v16, 0x3fb8aa3b, v1
	v_fma_f32 v70, v1, s17, -v16
	v_rndne_f32_e32 v73, v16
	v_fmac_f32_e32 v70, 0x32a5705f, v1
	v_sub_f32_e32 v16, v16, v73
	v_add_f32_e32 v16, v16, v70
	v_exp_f32_e32 v16, v16
	v_cvt_i32_f32_e32 v70, v73
	v_cmp_ngt_f32_e64 s[14:15], s16, v1
	v_cmp_ngt_f32_e64 s[12:13], s16, v25
	v_sub_f32_e32 v2, v2, v34
	v_ldexp_f32 v16, v16, v70
	v_mul_f32_e32 v70, 0x3fb8aa3b, v67
	v_fma_f32 v73, v67, s17, -v70
	v_rndne_f32_e32 v77, v70
	v_fmac_f32_e32 v73, 0x32a5705f, v67
	v_sub_f32_e32 v70, v70, v77
	v_add_f32_e32 v70, v70, v73
	v_exp_f32_e32 v70, v70
	v_cvt_i32_f32_e32 v73, v77
	v_cndmask_b32_e64 v16, 0, v16, s[14:15]
	v_cmp_nlt_f32_e64 s[14:15], s23, v1
	v_cndmask_b32_e64 v1, v9, v16, s[14:15]
	v_ldexp_f32 v70, v70, v73
	v_cndmask_b32_e64 v70, 0, v70, s[10:11]
	v_cmp_nlt_f32_e64 s[10:11], s23, v67
	v_mul_f32_e32 v67, 0x3fb8aa3b, v25
	v_fma_f32 v73, v25, s17, -v67
	v_rndne_f32_e32 v77, v67
	v_fmac_f32_e32 v73, 0x32a5705f, v25
	v_sub_f32_e32 v67, v67, v77
	v_add_f32_e32 v67, v67, v73
	v_exp_f32_e32 v67, v67
	v_cvt_i32_f32_e32 v73, v77
	v_sub_f32_e32 v10, v10, v34
	v_sub_f32_e32 v3, v3, v35
	;; [unrolled: 1-line block ×3, first 2 shown]
	v_ldexp_f32 v67, v67, v73
	v_cvt_f16_f32_e32 v73, v76
	v_cvt_f16_f32_e32 v76, v8
	v_cndmask_b32_e32 v8, 0, v1, vcc
	v_cndmask_b32_e64 v1, v9, v70, s[10:11]
	v_cndmask_b32_e64 v67, 0, v67, s[12:13]
	v_cmp_nlt_f32_e64 s[12:13], s23, v25
	v_cndmask_b32_e64 v16, 0, v1, s[6:7]
	v_add_f32_e32 v1, v8, v16
	v_cvt_f16_f32_e32 v70, v8
	v_cndmask_b32_e64 v8, v9, v67, s[12:13]
	v_fmac_f32_e32 v1, v17, v8
	v_mul_f32_e32 v17, 0x3fb8aa3b, v2
	v_fma_f32 v25, v2, s17, -v17
	v_rndne_f32_e32 v67, v17
	v_fmac_f32_e32 v25, 0x32a5705f, v2
	v_sub_f32_e32 v17, v17, v67
	v_cvt_f16_f32_e32 v8, v8
	v_add_f32_e32 v17, v17, v25
	v_exp_f32_e32 v17, v17
	v_cvt_i32_f32_e32 v77, v67
	v_pk_mul_f16 v67, v8, v83 op_sel_hi:[0,1]
	v_pk_mul_f16 v25, v8, v84 op_sel_hi:[0,1]
	v_sub_f32_e32 v8, v26, v34
	v_mul_f32_e32 v26, 0x3fb8aa3b, v10
	v_ldexp_f32 v17, v17, v77
	v_fma_f32 v77, v10, s17, -v26
	v_rndne_f32_e32 v78, v26
	v_fmac_f32_e32 v77, 0x32a5705f, v10
	v_sub_f32_e32 v26, v26, v78
	v_add_f32_e32 v26, v26, v77
	v_exp_f32_e32 v26, v26
	v_cvt_i32_f32_e32 v77, v78
	v_cmp_ngt_f32_e64 s[10:11], s16, v2
	v_cndmask_b32_e64 v17, 0, v17, s[10:11]
	v_cmp_nlt_f32_e64 s[10:11], s23, v2
	v_cndmask_b32_e64 v2, v9, v17, s[10:11]
	v_ldexp_f32 v26, v26, v77
	v_cmp_ngt_f32_e64 s[10:11], s16, v10
	v_cndmask_b32_e64 v26, 0, v26, s[10:11]
	v_cmp_nlt_f32_e64 s[10:11], s23, v10
	v_cndmask_b32_e64 v10, v9, v26, s[10:11]
	v_mul_f32_e32 v26, 0x3fb8aa3b, v8
	v_fma_f32 v77, v8, s17, -v26
	v_rndne_f32_e32 v78, v26
	v_fmac_f32_e32 v77, 0x32a5705f, v8
	v_sub_f32_e32 v26, v26, v78
	v_add_f32_e32 v26, v26, v77
	v_exp_f32_e32 v26, v26
	v_cvt_i32_f32_e32 v77, v78
	v_cmp_ngt_f32_e64 s[10:11], s16, v8
	v_cndmask_b32_e32 v2, 0, v2, vcc
	v_cndmask_b32_e64 v10, 0, v10, s[6:7]
	v_ldexp_f32 v26, v26, v77
	v_cndmask_b32_e64 v26, 0, v26, s[10:11]
	v_cmp_nlt_f32_e64 s[10:11], s23, v8
	v_cvt_f16_f32_e32 v17, v2
	v_add_f32_e32 v2, v2, v10
	v_cndmask_b32_e64 v8, v9, v26, s[10:11]
	v_fmac_f32_e32 v2, v18, v8
	v_mul_f32_e32 v18, 0x3fb8aa3b, v3
	v_fma_f32 v26, v3, s17, -v18
	v_rndne_f32_e32 v77, v18
	v_fmac_f32_e32 v26, 0x32a5705f, v3
	v_sub_f32_e32 v18, v18, v77
	v_add_f32_e32 v18, v18, v26
	v_exp_f32_e32 v18, v18
	v_cvt_i32_f32_e32 v26, v77
	v_cvt_f16_f32_e32 v8, v8
	v_cmp_ngt_f32_e64 s[10:11], s16, v3
	v_sub_f32_e32 v4, v4, v36
	v_ldexp_f32 v18, v18, v26
	v_mul_f32_e32 v26, 0x3fb8aa3b, v11
	v_pk_mul_f16 v81, v8, v79 op_sel_hi:[0,1]
	v_pk_mul_f16 v80, v8, v80 op_sel_hi:[0,1]
	v_sub_f32_e32 v8, v27, v35
	v_fma_f32 v27, v11, s17, -v26
	v_rndne_f32_e32 v77, v26
	v_fmac_f32_e32 v27, 0x32a5705f, v11
	v_sub_f32_e32 v26, v26, v77
	v_add_f32_e32 v26, v26, v27
	v_exp_f32_e32 v26, v26
	v_cvt_i32_f32_e32 v27, v77
	v_cndmask_b32_e64 v18, 0, v18, s[10:11]
	v_cmp_nlt_f32_e64 s[10:11], s23, v3
	v_cndmask_b32_e64 v3, v9, v18, s[10:11]
	v_ldexp_f32 v26, v26, v27
	v_cmp_ngt_f32_e64 s[10:11], s16, v11
	v_cndmask_b32_e64 v26, 0, v26, s[10:11]
	v_cmp_nlt_f32_e64 s[10:11], s23, v11
	v_cndmask_b32_e64 v11, v9, v26, s[10:11]
	v_mul_f32_e32 v26, 0x3fb8aa3b, v8
	v_fma_f32 v27, v8, s17, -v26
	v_rndne_f32_e32 v77, v26
	v_fmac_f32_e32 v27, 0x32a5705f, v8
	v_sub_f32_e32 v26, v26, v77
	v_add_f32_e32 v26, v26, v27
	v_exp_f32_e32 v26, v26
	v_cvt_i32_f32_e32 v27, v77
	v_cmp_ngt_f32_e64 s[10:11], s16, v8
	v_cndmask_b32_e32 v3, 0, v3, vcc
	v_cndmask_b32_e64 v11, 0, v11, s[6:7]
	v_ldexp_f32 v26, v26, v27
	v_mul_f32_e32 v27, 0x3fb8aa3b, v4
	v_fma_f32 v77, v4, s17, -v27
	v_rndne_f32_e32 v78, v27
	v_fmac_f32_e32 v77, 0x32a5705f, v4
	v_sub_f32_e32 v27, v27, v78
	v_add_f32_e32 v27, v27, v77
	v_exp_f32_e32 v27, v27
	v_cvt_i32_f32_e32 v77, v78
	v_cndmask_b32_e64 v26, 0, v26, s[10:11]
	v_cmp_nlt_f32_e64 s[10:11], s23, v8
	v_cvt_f16_f32_e32 v18, v3
	v_add_f32_e32 v3, v3, v11
	v_cndmask_b32_e64 v26, v9, v26, s[10:11]
	v_sub_f32_e32 v12, v12, v36
	v_fmac_f32_e32 v3, v19, v26
	v_mul_f32_e32 v19, 0x3fb8aa3b, v12
	v_ldexp_f32 v8, v27, v77
	v_fma_f32 v27, v12, s17, -v19
	v_rndne_f32_e32 v77, v19
	v_fmac_f32_e32 v27, 0x32a5705f, v12
	v_sub_f32_e32 v19, v19, v77
	v_add_f32_e32 v19, v19, v27
	v_exp_f32_e32 v19, v19
	v_cvt_i32_f32_e32 v27, v77
	v_cmp_ngt_f32_e64 s[10:11], s16, v4
	v_cndmask_b32_e64 v8, 0, v8, s[10:11]
	v_cmp_nlt_f32_e64 s[10:11], s23, v4
	v_sub_f32_e32 v5, v5, v37
	v_cndmask_b32_e64 v4, v9, v8, s[10:11]
	v_ldexp_f32 v8, v19, v27
	v_mul_f32_e32 v19, 0x3fb8aa3b, v5
	v_fma_f32 v27, v5, s17, -v19
	v_rndne_f32_e32 v77, v19
	v_fmac_f32_e32 v27, 0x32a5705f, v5
	v_sub_f32_e32 v19, v19, v77
	v_add_f32_e32 v19, v19, v27
	v_exp_f32_e32 v19, v19
	v_cvt_i32_f32_e32 v27, v77
	v_cmp_ngt_f32_e64 s[10:11], s16, v12
	v_cndmask_b32_e64 v8, 0, v8, s[10:11]
	v_cmp_nlt_f32_e64 s[10:11], s23, v12
	v_cndmask_b32_e64 v8, v9, v8, s[10:11]
	v_sub_f32_e32 v13, v13, v37
	v_cndmask_b32_e64 v83, 0, v8, s[6:7]
	v_ldexp_f32 v8, v19, v27
	v_mul_f32_e32 v19, 0x3fb8aa3b, v13
	v_fma_f32 v27, v13, s17, -v19
	v_rndne_f32_e32 v77, v19
	v_fmac_f32_e32 v27, 0x32a5705f, v13
	v_sub_f32_e32 v19, v19, v77
	v_add_f32_e32 v19, v19, v27
	v_exp_f32_e32 v19, v19
	v_cvt_i32_f32_e32 v27, v77
	v_cmp_ngt_f32_e64 s[10:11], s16, v5
	v_cndmask_b32_e64 v8, 0, v8, s[10:11]
	v_cmp_nlt_f32_e64 s[10:11], s23, v5
	v_sub_f32_e32 v6, v6, v38
	v_cndmask_b32_e64 v5, v9, v8, s[10:11]
	v_ldexp_f32 v8, v19, v27
	v_mul_f32_e32 v19, 0x3fb8aa3b, v6
	v_fma_f32 v27, v6, s17, -v19
	v_rndne_f32_e32 v77, v19
	v_fmac_f32_e32 v27, 0x32a5705f, v6
	v_sub_f32_e32 v19, v19, v77
	v_add_f32_e32 v19, v19, v27
	v_exp_f32_e32 v19, v19
	v_cvt_i32_f32_e32 v27, v77
	v_cmp_ngt_f32_e64 s[10:11], s16, v13
	v_cndmask_b32_e64 v8, 0, v8, s[10:11]
	v_cmp_nlt_f32_e64 s[10:11], s23, v13
	v_cndmask_b32_e64 v8, v9, v8, s[10:11]
	v_sub_f32_e32 v14, v14, v38
	v_cndmask_b32_e64 v85, 0, v8, s[6:7]
	v_ldexp_f32 v8, v19, v27
	v_mul_f32_e32 v19, 0x3fb8aa3b, v14
	;; [unrolled: 29-line block ×3, first 2 shown]
	v_fma_f32 v27, v15, s17, -v19
	v_rndne_f32_e32 v77, v19
	v_fmac_f32_e32 v27, 0x32a5705f, v15
	v_sub_f32_e32 v19, v19, v77
	v_add_f32_e32 v19, v19, v27
	v_exp_f32_e32 v19, v19
	v_cvt_i32_f32_e32 v27, v77
	v_cmp_ngt_f32_e64 s[10:11], s16, v7
	v_cndmask_b32_e64 v8, 0, v8, s[10:11]
	v_cmp_nlt_f32_e64 s[10:11], s23, v7
	v_cndmask_b32_e64 v7, v9, v8, s[10:11]
	v_cndmask_b32_e32 v82, 0, v4, vcc
	v_cndmask_b32_e32 v84, 0, v5, vcc
	v_cndmask_b32_e32 v86, 0, v6, vcc
	v_cndmask_b32_e32 v96, 0, v7, vcc
	v_ldexp_f32 v8, v19, v27
	v_cmp_ngt_f32_e32 vcc, s16, v15
	v_cndmask_b32_e32 v8, 0, v8, vcc
	v_cmp_nlt_f32_e32 vcc, s23, v15
	v_cndmask_b32_e32 v8, v9, v8, vcc
	v_cvt_f16_f32_e32 v4, v82
	v_cvt_f16_f32_e32 v5, v84
	;; [unrolled: 1-line block ×4, first 2 shown]
	v_cndmask_b32_e64 v19, 0, v8, s[6:7]
	v_cvt_f16_f32_e32 v16, v16
	v_cvt_f16_f32_e32 v10, v10
	v_cvt_f16_f32_e32 v11, v11
	v_cvt_f16_f32_e32 v12, v83
	v_cvt_f16_f32_e32 v13, v85
	v_cvt_f16_f32_e32 v14, v95
	v_cvt_f16_f32_e32 v15, v19
	v_lshlrev_b32_e32 v8, 10, v59
	v_add_u32_e32 v27, 0x4000, v8
	v_lshl_add_u32 v77, v56, 4, v27
	v_pack_b32_f16 v7, v6, v7
	v_pack_b32_f16 v6, v4, v5
	;; [unrolled: 1-line block ×4, first 2 shown]
	s_barrier
	ds_write_b128 v77, v[4:7]
	v_lshl_add_u32 v17, v94, 4, v27
	v_pack_b32_f16 v7, v14, v15
	v_pack_b32_f16 v6, v12, v13
	;; [unrolled: 1-line block ×4, first 2 shown]
	v_lshl_add_u32 v11, v59, 1, v61
	ds_write_b128 v17, v[4:7]
	v_mul_lo_u32 v4, s8, v11
	v_ashrrev_i32_e32 v5, 31, v4
	v_lshlrev_b64 v[4:5], 2, v[4:5]
	v_mov_b32_e32 v6, s20
	v_add_co_u32_e32 v4, vcc, s19, v4
	v_addc_co_u32_e32 v5, vcc, v6, v5, vcc
	v_lshlrev_b32_e32 v10, 2, v60
	v_add_co_u32_e32 v12, vcc, v4, v10
	s_mul_hi_i32 s11, s18, s8
	s_mul_i32 s10, s18, s8
	v_addc_co_u32_e32 v13, vcc, 0, v5, vcc
	s_lshl_b64 s[10:11], s[10:11], 2
	v_mov_b32_e32 v4, s11
	v_add_co_u32_e32 v6, vcc, s10, v12
	s_mov_b64 s[6:7], src_private_base
	v_addc_co_u32_e32 v4, vcc, v13, v4, vcc
	v_mov_b32_e32 v14, 0
	v_mov_b32_e32 v15, s7
	v_cmp_gt_i32_e32 vcc, s21, v11
	v_mov_b32_e32 v17, 0
	buffer_store_dword v14, off, s[0:3], 0
	buffer_store_dword v14, off, s[0:3], 0 offset:8
	buffer_store_dword v14, off, s[0:3], 0 offset:4
	;; [unrolled: 1-line block ×3, first 2 shown]
	v_cndmask_b32_e32 v5, v15, v4, vcc
	v_cndmask_b32_e32 v4, v17, v6, vcc
	flat_load_dwordx4 v[76:79], v[4:5]
	v_sub_f32_e32 v5, v28, v36
	v_mul_f32_e32 v6, 0x3fb8aa3b, v5
	v_fma_f32 v7, v5, s17, -v6
	v_rndne_f32_e32 v16, v6
	v_fmac_f32_e32 v7, 0x32a5705f, v5
	v_sub_f32_e32 v6, v6, v16
	v_add_f32_e32 v6, v6, v7
	v_exp_f32_e32 v6, v6
	v_cvt_i32_f32_e32 v7, v16
	v_cmp_ngt_f32_e32 vcc, s16, v5
	v_cvt_f16_f32_e32 v4, v26
	s_or_b32 s6, s18, 16
	v_ldexp_f32 v6, v6, v7
	v_cndmask_b32_e32 v6, 0, v6, vcc
	v_cmp_nlt_f32_e32 vcc, s23, v5
	v_cndmask_b32_e32 v5, v9, v6, vcc
	v_sub_f32_e32 v6, v29, v37
	v_mul_f32_e32 v7, 0x3fb8aa3b, v6
	v_fma_f32 v16, v6, s17, -v7
	v_rndne_f32_e32 v18, v7
	v_fmac_f32_e32 v16, 0x32a5705f, v6
	v_sub_f32_e32 v7, v7, v18
	v_add_f32_e32 v7, v7, v16
	v_exp_f32_e32 v7, v7
	v_cvt_i32_f32_e32 v16, v18
	v_pk_mul_f16 v59, v4, v71 op_sel_hi:[0,1]
	v_pk_mul_f16 v60, v4, v72 op_sel_hi:[0,1]
	v_add_f32_e32 v4, v82, v83
	v_ldexp_f32 v7, v7, v16
	v_sub_f32_e32 v16, v30, v38
	v_mul_f32_e32 v18, 0x3fb8aa3b, v16
	v_fmac_f32_e32 v4, v20, v5
	v_fma_f32 v20, v16, s17, -v18
	v_rndne_f32_e32 v26, v18
	v_fmac_f32_e32 v20, 0x32a5705f, v16
	v_sub_f32_e32 v18, v18, v26
	v_cvt_f16_f32_e32 v5, v5
	v_cmp_ngt_f32_e32 vcc, s16, v6
	v_add_f32_e32 v18, v18, v20
	v_cndmask_b32_e32 v7, 0, v7, vcc
	v_cmp_nlt_f32_e32 vcc, s23, v6
	v_exp_f32_e32 v18, v18
	v_cvt_i32_f32_e32 v20, v26
	v_cndmask_b32_e32 v6, v9, v7, vcc
	v_cvt_f16_f32_e32 v7, v6
	v_pk_mul_f16 v61, v5, v65 op_sel_hi:[0,1]
	v_pk_mul_f16 v65, v5, v66 op_sel_hi:[0,1]
	v_add_f32_e32 v5, v84, v85
	v_fmac_f32_e32 v5, v21, v6
	v_ldexp_f32 v6, v18, v20
	v_cmp_ngt_f32_e32 vcc, s16, v16
	v_cndmask_b32_e32 v6, 0, v6, vcc
	v_cmp_nlt_f32_e32 vcc, s23, v16
	v_sub_f32_e32 v18, v31, v39
	v_pk_mul_f16 v30, v7, v64 op_sel_hi:[0,1]
	v_pk_mul_f16 v63, v7, v63 op_sel_hi:[0,1]
	v_cndmask_b32_e32 v7, v9, v6, vcc
	v_mul_f32_e32 v6, 0x3fb8aa3b, v18
	v_fma_f32 v20, v18, s17, -v6
	v_rndne_f32_e32 v21, v6
	v_fmac_f32_e32 v20, 0x32a5705f, v18
	v_sub_f32_e32 v6, v6, v21
	v_add_f32_e32 v6, v6, v20
	v_exp_f32_e32 v20, v6
	v_cvt_i32_f32_e32 v21, v21
	v_cvt_f16_f32_e32 v16, v7
	v_add_f32_e32 v6, v86, v95
	v_fmac_f32_e32 v6, v22, v7
	v_ldexp_f32 v7, v20, v21
	v_cmp_ngt_f32_e32 vcc, s16, v18
	v_cndmask_b32_e32 v7, 0, v7, vcc
	v_cmp_nlt_f32_e32 vcc, s23, v18
	v_cndmask_b32_e32 v9, v9, v7, vcc
	v_pk_mul_f16 v22, v16, v74 op_sel_hi:[0,1]
	v_cvt_f16_f32_e32 v31, v9
	v_pk_mul_f16 v64, v16, v75 op_sel_hi:[0,1]
	v_lshl_or_b32 v16, v11, 8, v10
	v_add_u32_e32 v10, 0x6000, v58
	v_add_f32_e32 v7, v96, v19
	s_waitcnt vmcnt(0) lgkmcnt(0)
	ds_write_b128 v16, v[76:79] offset:24576
	s_waitcnt lgkmcnt(0)
	s_barrier
	ds_read2_b64 v[18:21], v10 offset1:32
	ds_read_b128 v[26:29], v8 offset:16384
	v_fmac_f32_e32 v7, v23, v9
	v_pk_mul_f16 v9, v31, v69 op_sel_hi:[0,1]
	v_pk_mul_f16 v23, v31, v68 op_sel_hi:[0,1]
	ds_read_b128 v[68:71], v8 offset:16400
	ds_read_b128 v[72:75], v8 offset:16416
	;; [unrolled: 1-line block ×3, first 2 shown]
	s_waitcnt lgkmcnt(3)
	v_pk_fma_f16 v31, v18, v26, v62 op_sel_hi:[1,0,1]
	v_pk_fma_f16 v62, v18, v26, v67 op_sel:[0,1,0]
	v_pk_fma_f16 v66, v18, v27, v81 op_sel_hi:[1,0,1]
	v_pk_fma_f16 v59, v18, v27, v59 op_sel:[0,1,0]
	;; [unrolled: 2-line block ×8, first 2 shown]
	s_waitcnt lgkmcnt(2)
	v_pk_fma_f16 v29, v20, v68, v31 op_sel_hi:[1,0,1]
	v_pk_fma_f16 v31, v20, v68, v62 op_sel:[0,1,0]
	v_pk_fma_f16 v62, v20, v69, v66 op_sel_hi:[1,0,1]
	v_pk_fma_f16 v59, v20, v69, v59 op_sel:[0,1,0]
	;; [unrolled: 2-line block ×4, first 2 shown]
	v_pk_fma_f16 v20, v21, v68, v24 op_sel:[0,1,0]
	v_pk_fma_f16 v64, v21, v69, v25 op_sel_hi:[1,0,1]
	ds_read2_b64 v[22:25], v10 offset0:64 offset1:96
	v_pk_fma_f16 v18, v21, v68, v18 op_sel_hi:[1,0,1]
	v_pk_fma_f16 v26, v21, v69, v26 op_sel:[0,1,0]
	v_pk_fma_f16 v27, v21, v70, v27 op_sel_hi:[1,0,1]
	v_pk_fma_f16 v28, v21, v70, v28 op_sel:[0,1,0]
	;; [unrolled: 2-line block ×3, first 2 shown]
	s_waitcnt lgkmcnt(0)
	v_pk_fma_f16 v21, v22, v72, v29 op_sel_hi:[1,0,1]
	v_pk_fma_f16 v29, v22, v72, v31 op_sel:[0,1,0]
	v_pk_fma_f16 v18, v23, v72, v18 op_sel_hi:[1,0,1]
	v_pk_fma_f16 v20, v23, v72, v20 op_sel:[0,1,0]
	v_pk_fma_f16 v26, v23, v73, v26 op_sel:[0,1,0]
	v_pk_fma_f16 v27, v23, v74, v27 op_sel_hi:[1,0,1]
	v_pk_fma_f16 v31, v22, v73, v62 op_sel_hi:[1,0,1]
	v_pk_fma_f16 v59, v22, v73, v59 op_sel:[0,1,0]
	v_pk_fma_f16 v61, v22, v74, v61 op_sel_hi:[1,0,1]
	v_pk_fma_f16 v30, v22, v74, v30 op_sel:[0,1,0]
	;; [unrolled: 2-line block ×7, first 2 shown]
	v_pk_fma_f16 v69, v25, v77, v26 op_sel:[0,1,0]
	v_pk_fma_f16 v70, v25, v78, v27 op_sel_hi:[1,0,1]
	ds_read2_b64 v[18:21], v10 offset0:128 offset1:160
	ds_read_b128 v[26:29], v8 offset:16448
	v_pk_fma_f16 v31, v24, v77, v31 op_sel_hi:[1,0,1]
	v_pk_fma_f16 v59, v24, v77, v59 op_sel:[0,1,0]
	v_pk_fma_f16 v61, v24, v78, v61 op_sel_hi:[1,0,1]
	v_pk_fma_f16 v30, v24, v78, v30 op_sel:[0,1,0]
	v_pk_fma_f16 v62, v24, v79, v62 op_sel_hi:[1,0,1]
	v_pk_fma_f16 v9, v24, v79, v9 op_sel:[0,1,0]
	v_pk_fma_f16 v68, v25, v77, v22 op_sel_hi:[1,0,1]
	v_pk_fma_f16 v63, v25, v78, v63 op_sel:[0,1,0]
	v_pk_fma_f16 v60, v25, v79, v60 op_sel_hi:[1,0,1]
	v_pk_fma_f16 v71, v25, v79, v23 op_sel:[0,1,0]
	ds_read_b128 v[22:25], v8 offset:16464
	s_waitcnt lgkmcnt(1)
	v_pk_fma_f16 v64, v18, v26, v64 op_sel_hi:[1,0,1]
	v_pk_fma_f16 v65, v18, v26, v65 op_sel:[0,1,0]
	v_pk_fma_f16 v31, v18, v27, v31 op_sel_hi:[1,0,1]
	v_pk_fma_f16 v59, v18, v27, v59 op_sel:[0,1,0]
	;; [unrolled: 2-line block ×8, first 2 shown]
	s_waitcnt lgkmcnt(0)
	v_pk_fma_f16 v64, v20, v22, v64 op_sel_hi:[1,0,1]
	v_pk_fma_f16 v65, v20, v22, v65 op_sel:[0,1,0]
	v_pk_fma_f16 v31, v20, v23, v31 op_sel_hi:[1,0,1]
	v_pk_fma_f16 v59, v20, v23, v59 op_sel:[0,1,0]
	v_pk_fma_f16 v70, v20, v24, v61 op_sel_hi:[1,0,1]
	v_pk_fma_f16 v71, v20, v25, v62 op_sel_hi:[1,0,1]
	;; [unrolled: 1-line block ×3, first 2 shown]
	v_pk_fma_f16 v22, v21, v22, v26 op_sel:[0,1,0]
	v_pk_fma_f16 v66, v21, v23, v66 op_sel_hi:[1,0,1]
	v_pk_fma_f16 v23, v21, v23, v27 op_sel:[0,1,0]
	ds_read2_b64 v[26:29], v10 offset0:192 offset1:224
	ds_read_b128 v[60:63], v8 offset:16480
	v_pk_fma_f16 v30, v20, v24, v30 op_sel:[0,1,0]
	v_pk_fma_f16 v9, v20, v25, v9 op_sel:[0,1,0]
	v_pk_fma_f16 v67, v21, v24, v67 op_sel_hi:[1,0,1]
	v_pk_fma_f16 v24, v21, v24, v68 op_sel:[0,1,0]
	v_pk_fma_f16 v68, v21, v25, v69 op_sel_hi:[1,0,1]
	v_pk_fma_f16 v25, v21, v25, v19 op_sel:[0,1,0]
	ds_read_b128 v[18:21], v8 offset:16496
	s_waitcnt lgkmcnt(1)
	v_pk_fma_f16 v64, v26, v60, v64 op_sel_hi:[1,0,1]
	v_pk_fma_f16 v65, v26, v60, v65 op_sel:[0,1,0]
	v_pk_fma_f16 v31, v26, v61, v31 op_sel_hi:[1,0,1]
	v_pk_fma_f16 v59, v26, v61, v59 op_sel:[0,1,0]
	;; [unrolled: 2-line block ×8, first 2 shown]
	s_waitcnt lgkmcnt(0)
	v_pk_fma_f16 v63, v28, v18, v64 op_sel_hi:[1,0,1]
	v_pk_fma_f16 v64, v28, v18, v65 op_sel:[0,1,0]
	v_pk_fma_f16 v31, v28, v19, v31 op_sel_hi:[1,0,1]
	v_pk_fma_f16 v65, v28, v19, v59 op_sel:[0,1,0]
	;; [unrolled: 2-line block ×4, first 2 shown]
	v_add_u32_e32 v9, 0x6800, v58
	v_pk_fma_f16 v69, v29, v18, v22 op_sel:[0,1,0]
	v_pk_fma_f16 v70, v29, v19, v60 op_sel_hi:[1,0,1]
	v_pk_fma_f16 v71, v29, v19, v23 op_sel:[0,1,0]
	v_pk_fma_f16 v72, v29, v20, v61 op_sel_hi:[1,0,1]
	ds_read2_b64 v[22:25], v9 offset1:32
	ds_read_b128 v[58:61], v8 offset:16512
	v_pk_fma_f16 v26, v29, v18, v26 op_sel_hi:[1,0,1]
	v_pk_fma_f16 v62, v29, v20, v62 op_sel:[0,1,0]
	v_pk_fma_f16 v66, v29, v21, v66 op_sel_hi:[1,0,1]
	v_pk_fma_f16 v27, v29, v21, v27 op_sel:[0,1,0]
	ds_read_b128 v[18:21], v8 offset:16528
	s_waitcnt lgkmcnt(1)
	v_pk_fma_f16 v29, v22, v58, v63 op_sel_hi:[1,0,1]
	v_pk_fma_f16 v63, v22, v58, v64 op_sel:[0,1,0]
	v_pk_fma_f16 v31, v22, v59, v31 op_sel_hi:[1,0,1]
	v_pk_fma_f16 v64, v22, v59, v65 op_sel:[0,1,0]
	;; [unrolled: 2-line block ×8, first 2 shown]
	s_waitcnt lgkmcnt(0)
	v_pk_fma_f16 v69, v24, v18, v29 op_sel_hi:[1,0,1]
	v_pk_fma_f16 v63, v24, v18, v63 op_sel:[0,1,0]
	v_pk_fma_f16 v31, v24, v19, v31 op_sel_hi:[1,0,1]
	v_pk_fma_f16 v64, v24, v19, v64 op_sel:[0,1,0]
	;; [unrolled: 2-line block ×6, first 2 shown]
	ds_read2_b64 v[26:29], v9 offset0:64 offset1:96
	ds_read_b128 v[58:61], v8 offset:16544
	s_mul_hi_i32 s7, s6, s8
	s_mul_i32 s6, s6, s8
	s_lshl_b64 s[6:7], s[6:7], 2
	v_add_co_u32_e32 v78, vcc, s6, v12
	s_waitcnt lgkmcnt(0)
	v_pk_fma_f16 v82, v26, v58, v69 op_sel_hi:[1,0,1]
	v_pk_fma_f16 v83, v26, v58, v63 op_sel:[0,1,0]
	v_pk_fma_f16 v31, v26, v59, v31 op_sel_hi:[1,0,1]
	v_pk_fma_f16 v84, v26, v59, v64 op_sel:[0,1,0]
	;; [unrolled: 2-line block ×4, first 2 shown]
	v_mov_b32_e32 v26, s7
	s_add_i32 s10, s21, -16
	v_addc_co_u32_e32 v26, vcc, v13, v26, vcc
	v_pk_fma_f16 v68, v25, v20, v68 op_sel_hi:[1,0,1]
	v_pk_fma_f16 v62, v25, v20, v62 op_sel:[0,1,0]
	v_pk_fma_f16 v66, v25, v21, v66 op_sel_hi:[1,0,1]
	v_pk_fma_f16 v23, v25, v21, v23 op_sel:[0,1,0]
	v_cmp_gt_i32_e32 vcc, s10, v11
	ds_read_b128 v[18:21], v8 offset:16560
	v_pk_fma_f16 v95, v27, v58, v24 op_sel_hi:[1,0,1]
	v_pk_fma_f16 v96, v27, v58, v70 op_sel:[0,1,0]
	v_pk_fma_f16 v97, v27, v59, v71 op_sel_hi:[1,0,1]
	v_pk_fma_f16 v98, v27, v59, v72 op_sel:[0,1,0]
	;; [unrolled: 2-line block ×4, first 2 shown]
	ds_read2_b64 v[22:25], v9 offset0:128 offset1:160
	ds_read_b128 v[58:61], v8 offset:16576
	ds_read_b128 v[62:65], v8 offset:16592
	ds_read2_b64 v[66:69], v9 offset0:192 offset1:224
	ds_read_b128 v[70:73], v8 offset:16608
	ds_read_b128 v[74:77], v8 offset:16624
	s_waitcnt lgkmcnt(0)
	s_barrier
	buffer_store_dword v14, off, s[0:3], 0
	buffer_store_dword v14, off, s[0:3], 0 offset:8
	buffer_store_dword v14, off, s[0:3], 0 offset:4
	;; [unrolled: 1-line block ×3, first 2 shown]
	v_cndmask_b32_e32 v27, v15, v26, vcc
	v_cndmask_b32_e32 v26, v17, v78, vcc
	flat_load_dwordx4 v[78:81], v[26:27]
	v_pk_fma_f16 v26, v28, v18, v82 op_sel_hi:[1,0,1]
	v_pk_fma_f16 v27, v28, v18, v83 op_sel:[0,1,0]
	v_pk_fma_f16 v31, v28, v19, v31 op_sel_hi:[1,0,1]
	v_pk_fma_f16 v82, v28, v19, v84 op_sel:[0,1,0]
	v_pk_fma_f16 v83, v28, v20, v85 op_sel_hi:[1,0,1]
	v_pk_fma_f16 v30, v28, v20, v30 op_sel:[0,1,0]
	v_pk_fma_f16 v84, v28, v21, v86 op_sel_hi:[1,0,1]
	v_pk_fma_f16 v28, v28, v21, v94 op_sel:[0,1,0]
	v_pk_fma_f16 v85, v29, v18, v95 op_sel_hi:[1,0,1]
	v_pk_fma_f16 v18, v29, v18, v96 op_sel:[0,1,0]
	v_pk_fma_f16 v86, v29, v19, v97 op_sel_hi:[1,0,1]
	v_pk_fma_f16 v19, v29, v19, v98 op_sel:[0,1,0]
	v_pk_fma_f16 v94, v29, v20, v99 op_sel_hi:[1,0,1]
	v_pk_fma_f16 v20, v29, v20, v100 op_sel:[0,1,0]
	v_pk_fma_f16 v95, v29, v21, v101 op_sel_hi:[1,0,1]
	v_pk_fma_f16 v21, v29, v21, v102 op_sel:[0,1,0]
	v_pk_fma_f16 v26, v22, v58, v26 op_sel_hi:[1,0,1]
	v_pk_fma_f16 v27, v22, v58, v27 op_sel:[0,1,0]
	v_pk_fma_f16 v29, v22, v59, v31 op_sel_hi:[1,0,1]
	v_pk_fma_f16 v31, v22, v59, v82 op_sel:[0,1,0]
	v_pk_fma_f16 v82, v22, v60, v83 op_sel_hi:[1,0,1]
	v_pk_fma_f16 v30, v22, v60, v30 op_sel:[0,1,0]
	v_pk_fma_f16 v83, v22, v61, v84 op_sel_hi:[1,0,1]
	v_pk_fma_f16 v22, v22, v61, v28 op_sel:[0,1,0]
	v_pk_fma_f16 v28, v23, v58, v85 op_sel_hi:[1,0,1]
	v_pk_fma_f16 v18, v23, v58, v18 op_sel:[0,1,0]
	v_pk_fma_f16 v58, v23, v59, v86 op_sel_hi:[1,0,1]
	v_pk_fma_f16 v19, v23, v59, v19 op_sel:[0,1,0]
	v_pk_fma_f16 v59, v23, v60, v94 op_sel_hi:[1,0,1]
	v_pk_fma_f16 v20, v23, v60, v20 op_sel:[0,1,0]
	v_pk_fma_f16 v60, v23, v61, v95 op_sel_hi:[1,0,1]
	v_pk_fma_f16 v21, v23, v61, v21 op_sel:[0,1,0]
	v_pk_fma_f16 v23, v24, v62, v26 op_sel_hi:[1,0,1]
	v_pk_fma_f16 v26, v24, v62, v27 op_sel:[0,1,0]
	v_pk_fma_f16 v27, v24, v63, v29 op_sel_hi:[1,0,1]
	v_pk_fma_f16 v29, v24, v63, v31 op_sel:[0,1,0]
	v_pk_fma_f16 v31, v24, v64, v82 op_sel_hi:[1,0,1]
	v_pk_fma_f16 v30, v24, v64, v30 op_sel:[0,1,0]
	v_pk_fma_f16 v61, v24, v65, v83 op_sel_hi:[1,0,1]
	v_pk_fma_f16 v22, v24, v65, v22 op_sel:[0,1,0]
	v_pk_fma_f16 v24, v25, v62, v28 op_sel_hi:[1,0,1]
	v_pk_fma_f16 v18, v25, v62, v18 op_sel:[0,1,0]
	v_pk_fma_f16 v28, v25, v63, v58 op_sel_hi:[1,0,1]
	v_pk_fma_f16 v19, v25, v63, v19 op_sel:[0,1,0]
	v_pk_fma_f16 v58, v25, v64, v59 op_sel_hi:[1,0,1]
	v_pk_fma_f16 v20, v25, v64, v20 op_sel:[0,1,0]
	v_pk_fma_f16 v59, v25, v65, v60 op_sel_hi:[1,0,1]
	v_pk_fma_f16 v21, v25, v65, v21 op_sel:[0,1,0]
	v_pk_fma_f16 v23, v66, v70, v23 op_sel_hi:[1,0,1]
	v_pk_fma_f16 v25, v66, v70, v26 op_sel:[0,1,0]
	v_pk_fma_f16 v26, v66, v71, v27 op_sel_hi:[1,0,1]
	v_pk_fma_f16 v27, v66, v71, v29 op_sel:[0,1,0]
	v_pk_fma_f16 v29, v66, v72, v31 op_sel_hi:[1,0,1]
	v_pk_fma_f16 v30, v66, v72, v30 op_sel:[0,1,0]
	v_pk_fma_f16 v31, v66, v73, v61 op_sel_hi:[1,0,1]
	v_pk_fma_f16 v22, v66, v73, v22 op_sel:[0,1,0]
	v_pk_fma_f16 v24, v67, v70, v24 op_sel_hi:[1,0,1]
	v_pk_fma_f16 v18, v67, v70, v18 op_sel:[0,1,0]
	v_pk_fma_f16 v28, v67, v71, v28 op_sel_hi:[1,0,1]
	v_pk_fma_f16 v19, v67, v71, v19 op_sel:[0,1,0]
	v_pk_fma_f16 v58, v67, v72, v58 op_sel_hi:[1,0,1]
	v_pk_fma_f16 v20, v67, v72, v20 op_sel:[0,1,0]
	v_pk_fma_f16 v59, v67, v73, v59 op_sel_hi:[1,0,1]
	v_pk_fma_f16 v60, v67, v73, v21 op_sel:[0,1,0]
	v_pk_fma_f16 v66, v68, v74, v23 op_sel_hi:[1,0,1]
	v_pk_fma_f16 v67, v68, v74, v25 op_sel:[0,1,0]
	v_pk_fma_f16 v70, v68, v75, v26 op_sel_hi:[1,0,1]
	v_pk_fma_f16 v71, v68, v75, v27 op_sel:[0,1,0]
	v_pk_fma_f16 v72, v68, v76, v29 op_sel_hi:[1,0,1]
	v_pk_fma_f16 v30, v68, v76, v30 op_sel:[0,1,0]
	v_pk_fma_f16 v31, v68, v77, v31 op_sel_hi:[1,0,1]
	v_pk_fma_f16 v68, v68, v77, v22 op_sel:[0,1,0]
	v_pk_fma_f16 v73, v69, v74, v24 op_sel_hi:[1,0,1]
	v_pk_fma_f16 v74, v69, v74, v18 op_sel:[0,1,0]
	v_pk_fma_f16 v82, v69, v75, v28 op_sel_hi:[1,0,1]
	v_pk_fma_f16 v75, v69, v75, v19 op_sel:[0,1,0]
	v_pk_fma_f16 v83, v69, v76, v58 op_sel_hi:[1,0,1]
	v_pk_fma_f16 v76, v69, v76, v20 op_sel:[0,1,0]
	v_pk_fma_f16 v84, v69, v77, v59 op_sel_hi:[1,0,1]
	s_waitcnt vmcnt(0) lgkmcnt(0)
	ds_write_b128 v16, v[78:81] offset:24576
	s_waitcnt lgkmcnt(0)
	s_barrier
	ds_read2_b64 v[18:21], v10 offset1:32
	ds_read_b128 v[22:25], v8 offset:16640
	v_pk_fma_f16 v69, v69, v77, v60 op_sel:[0,1,0]
	ds_read_b128 v[26:29], v8 offset:16656
	ds_read_b128 v[58:61], v8 offset:16672
	;; [unrolled: 1-line block ×3, first 2 shown]
	s_or_b32 s6, s18, 32
	s_mul_hi_i32 s7, s6, s8
	s_waitcnt lgkmcnt(3)
	v_pk_fma_f16 v66, v18, v22, v66 op_sel_hi:[1,0,1]
	v_pk_fma_f16 v67, v18, v22, v67 op_sel:[0,1,0]
	v_pk_fma_f16 v70, v18, v23, v70 op_sel_hi:[1,0,1]
	v_pk_fma_f16 v71, v18, v23, v71 op_sel:[0,1,0]
	;; [unrolled: 2-line block ×8, first 2 shown]
	s_waitcnt lgkmcnt(2)
	v_pk_fma_f16 v66, v20, v26, v66 op_sel_hi:[1,0,1]
	v_pk_fma_f16 v67, v20, v26, v67 op_sel:[0,1,0]
	v_pk_fma_f16 v69, v20, v27, v70 op_sel_hi:[1,0,1]
	v_pk_fma_f16 v70, v20, v27, v71 op_sel:[0,1,0]
	;; [unrolled: 2-line block ×6, first 2 shown]
	ds_read2_b64 v[22:25], v10 offset0:64 offset1:96
	v_pk_fma_f16 v72, v21, v28, v74 op_sel_hi:[1,0,1]
	v_pk_fma_f16 v28, v21, v28, v75 op_sel:[0,1,0]
	v_pk_fma_f16 v73, v21, v29, v76 op_sel_hi:[1,0,1]
	v_pk_fma_f16 v19, v21, v29, v19 op_sel:[0,1,0]
	s_waitcnt lgkmcnt(0)
	v_pk_fma_f16 v21, v22, v58, v66 op_sel_hi:[1,0,1]
	v_pk_fma_f16 v29, v22, v58, v67 op_sel:[0,1,0]
	v_pk_fma_f16 v66, v22, v59, v69 op_sel_hi:[1,0,1]
	v_pk_fma_f16 v67, v22, v59, v70 op_sel:[0,1,0]
	;; [unrolled: 2-line block ×10, first 2 shown]
	v_pk_fma_f16 v70, v24, v65, v18 op_sel:[0,1,0]
	v_pk_fma_f16 v71, v25, v62, v20 op_sel_hi:[1,0,1]
	v_pk_fma_f16 v72, v25, v63, v26 op_sel_hi:[1,0,1]
	v_pk_fma_f16 v63, v25, v63, v27 op_sel:[0,1,0]
	ds_read2_b64 v[18:21], v10 offset0:128 offset1:160
	ds_read_b128 v[26:29], v8 offset:16704
	v_pk_fma_f16 v69, v24, v64, v69 op_sel_hi:[1,0,1]
	v_pk_fma_f16 v30, v24, v64, v30 op_sel:[0,1,0]
	v_pk_fma_f16 v31, v24, v65, v31 op_sel_hi:[1,0,1]
	v_pk_fma_f16 v62, v25, v62, v22 op_sel:[0,1,0]
	;; [unrolled: 2-line block ×4, first 2 shown]
	ds_read_b128 v[22:25], v8 offset:16720
	s_waitcnt lgkmcnt(1)
	v_pk_fma_f16 v61, v18, v26, v61 op_sel_hi:[1,0,1]
	v_pk_fma_f16 v65, v18, v26, v68 op_sel:[0,1,0]
	v_pk_fma_f16 v66, v18, v27, v66 op_sel_hi:[1,0,1]
	v_pk_fma_f16 v67, v18, v27, v67 op_sel:[0,1,0]
	v_pk_fma_f16 v68, v18, v28, v69 op_sel_hi:[1,0,1]
	v_pk_fma_f16 v69, v19, v26, v71 op_sel_hi:[1,0,1]
	v_pk_fma_f16 v26, v19, v26, v62 op_sel:[0,1,0]
	v_pk_fma_f16 v62, v19, v27, v72 op_sel_hi:[1,0,1]
	v_pk_fma_f16 v27, v19, v27, v63 op_sel:[0,1,0]
	;; [unrolled: 2-line block ×4, first 2 shown]
	v_pk_fma_f16 v63, v19, v28, v59 op_sel:[0,1,0]
	v_pk_fma_f16 v70, v19, v29, v60 op_sel_hi:[1,0,1]
	v_pk_fma_f16 v19, v19, v29, v64 op_sel:[0,1,0]
	s_waitcnt lgkmcnt(0)
	v_pk_fma_f16 v64, v20, v22, v61 op_sel_hi:[1,0,1]
	v_pk_fma_f16 v65, v20, v22, v65 op_sel:[0,1,0]
	v_pk_fma_f16 v66, v20, v23, v66 op_sel_hi:[1,0,1]
	v_pk_fma_f16 v67, v20, v23, v67 op_sel:[0,1,0]
	;; [unrolled: 2-line block ×4, first 2 shown]
	v_pk_fma_f16 v72, v21, v24, v58 op_sel_hi:[1,0,1]
	ds_read2_b64 v[26:29], v10 offset0:192 offset1:224
	ds_read_b128 v[58:61], v8 offset:16736
	v_pk_fma_f16 v68, v20, v24, v68 op_sel_hi:[1,0,1]
	v_pk_fma_f16 v30, v20, v24, v30 op_sel:[0,1,0]
	v_pk_fma_f16 v31, v20, v25, v31 op_sel_hi:[1,0,1]
	v_pk_fma_f16 v71, v20, v25, v18 op_sel:[0,1,0]
	v_pk_fma_f16 v24, v21, v24, v63 op_sel:[0,1,0]
	v_pk_fma_f16 v63, v21, v25, v70 op_sel_hi:[1,0,1]
	v_pk_fma_f16 v25, v21, v25, v19 op_sel:[0,1,0]
	ds_read_b128 v[18:21], v8 offset:16752
	s_waitcnt lgkmcnt(1)
	v_pk_fma_f16 v64, v26, v58, v64 op_sel_hi:[1,0,1]
	v_pk_fma_f16 v65, v26, v58, v65 op_sel:[0,1,0]
	v_pk_fma_f16 v66, v26, v59, v66 op_sel_hi:[1,0,1]
	v_pk_fma_f16 v67, v26, v59, v67 op_sel:[0,1,0]
	;; [unrolled: 2-line block ×8, first 2 shown]
	s_waitcnt lgkmcnt(0)
	v_pk_fma_f16 v64, v28, v18, v64 op_sel_hi:[1,0,1]
	v_pk_fma_f16 v65, v28, v18, v65 op_sel:[0,1,0]
	v_pk_fma_f16 v66, v28, v19, v66 op_sel_hi:[1,0,1]
	v_pk_fma_f16 v67, v28, v19, v67 op_sel:[0,1,0]
	;; [unrolled: 2-line block ×6, first 2 shown]
	v_pk_fma_f16 v72, v29, v20, v59 op_sel_hi:[1,0,1]
	ds_read2_b64 v[22:25], v9 offset1:32
	ds_read_b128 v[58:61], v8 offset:16768
	v_pk_fma_f16 v62, v29, v20, v62 op_sel:[0,1,0]
	v_pk_fma_f16 v63, v29, v21, v63 op_sel_hi:[1,0,1]
	v_pk_fma_f16 v27, v29, v21, v27 op_sel:[0,1,0]
	ds_read_b128 v[18:21], v8 offset:16784
	s_waitcnt lgkmcnt(1)
	v_pk_fma_f16 v29, v22, v58, v64 op_sel_hi:[1,0,1]
	v_pk_fma_f16 v64, v22, v58, v65 op_sel:[0,1,0]
	v_pk_fma_f16 v65, v22, v59, v66 op_sel_hi:[1,0,1]
	v_pk_fma_f16 v66, v22, v59, v67 op_sel:[0,1,0]
	;; [unrolled: 2-line block ×8, first 2 shown]
	s_waitcnt lgkmcnt(0)
	v_pk_fma_f16 v69, v24, v18, v29 op_sel_hi:[1,0,1]
	v_pk_fma_f16 v64, v24, v18, v64 op_sel:[0,1,0]
	v_pk_fma_f16 v65, v24, v19, v65 op_sel_hi:[1,0,1]
	v_pk_fma_f16 v66, v24, v19, v66 op_sel:[0,1,0]
	;; [unrolled: 2-line block ×6, first 2 shown]
	ds_read2_b64 v[26:29], v9 offset0:64 offset1:96
	ds_read_b128 v[58:61], v8 offset:16800
	s_mul_i32 s6, s6, s8
	s_lshl_b64 s[6:7], s[6:7], 2
	v_add_co_u32_e32 v78, vcc, s6, v12
	s_waitcnt lgkmcnt(0)
	v_pk_fma_f16 v82, v26, v58, v69 op_sel_hi:[1,0,1]
	v_pk_fma_f16 v83, v26, v58, v64 op_sel:[0,1,0]
	v_pk_fma_f16 v84, v26, v59, v65 op_sel_hi:[1,0,1]
	v_pk_fma_f16 v85, v26, v59, v66 op_sel:[0,1,0]
	;; [unrolled: 2-line block ×4, first 2 shown]
	v_mov_b32_e32 v26, s7
	s_sub_i32 s10, s21, 32
	v_addc_co_u32_e32 v26, vcc, v13, v26, vcc
	v_pk_fma_f16 v68, v25, v20, v68 op_sel_hi:[1,0,1]
	v_pk_fma_f16 v62, v25, v20, v62 op_sel:[0,1,0]
	v_pk_fma_f16 v63, v25, v21, v63 op_sel_hi:[1,0,1]
	v_pk_fma_f16 v23, v25, v21, v23 op_sel:[0,1,0]
	v_cmp_gt_i32_e32 vcc, s10, v11
	ds_read_b128 v[18:21], v8 offset:16816
	v_pk_fma_f16 v95, v27, v58, v24 op_sel_hi:[1,0,1]
	v_pk_fma_f16 v96, v27, v58, v70 op_sel:[0,1,0]
	v_pk_fma_f16 v97, v27, v59, v71 op_sel_hi:[1,0,1]
	v_pk_fma_f16 v98, v27, v59, v72 op_sel:[0,1,0]
	;; [unrolled: 2-line block ×4, first 2 shown]
	ds_read2_b64 v[22:25], v9 offset0:128 offset1:160
	ds_read_b128 v[58:61], v8 offset:16832
	ds_read_b128 v[62:65], v8 offset:16848
	ds_read2_b64 v[66:69], v9 offset0:192 offset1:224
	ds_read_b128 v[70:73], v8 offset:16864
	ds_read_b128 v[74:77], v8 offset:16880
	s_waitcnt lgkmcnt(0)
	s_barrier
	buffer_store_dword v14, off, s[0:3], 0
	buffer_store_dword v14, off, s[0:3], 0 offset:8
	buffer_store_dword v14, off, s[0:3], 0 offset:4
	;; [unrolled: 1-line block ×3, first 2 shown]
	v_cndmask_b32_e32 v27, v15, v26, vcc
	v_cndmask_b32_e32 v26, v17, v78, vcc
	flat_load_dwordx4 v[78:81], v[26:27]
	v_pk_fma_f16 v26, v28, v18, v82 op_sel_hi:[1,0,1]
	v_pk_fma_f16 v27, v28, v18, v83 op_sel:[0,1,0]
	v_pk_fma_f16 v82, v28, v19, v84 op_sel_hi:[1,0,1]
	v_pk_fma_f16 v83, v28, v19, v85 op_sel:[0,1,0]
	;; [unrolled: 2-line block ×39, first 2 shown]
	v_pk_fma_f16 v84, v69, v77, v59 op_sel_hi:[1,0,1]
	s_waitcnt vmcnt(0) lgkmcnt(0)
	ds_write_b128 v16, v[78:81] offset:24576
	s_waitcnt lgkmcnt(0)
	s_barrier
	ds_read2_b64 v[18:21], v10 offset1:32
	ds_read_b128 v[22:25], v8 offset:16896
	v_pk_fma_f16 v69, v69, v77, v60 op_sel:[0,1,0]
	ds_read_b128 v[26:29], v8 offset:16912
	ds_read_b128 v[58:61], v8 offset:16928
	;; [unrolled: 1-line block ×3, first 2 shown]
	s_or_b32 s6, s18, 48
	s_mul_hi_i32 s7, s6, s8
	s_waitcnt lgkmcnt(3)
	v_pk_fma_f16 v66, v18, v22, v66 op_sel_hi:[1,0,1]
	v_pk_fma_f16 v67, v18, v22, v67 op_sel:[0,1,0]
	v_pk_fma_f16 v70, v18, v23, v70 op_sel_hi:[1,0,1]
	v_pk_fma_f16 v71, v18, v23, v71 op_sel:[0,1,0]
	;; [unrolled: 2-line block ×8, first 2 shown]
	s_waitcnt lgkmcnt(2)
	v_pk_fma_f16 v66, v20, v26, v66 op_sel_hi:[1,0,1]
	v_pk_fma_f16 v67, v20, v26, v67 op_sel:[0,1,0]
	v_pk_fma_f16 v69, v20, v27, v70 op_sel_hi:[1,0,1]
	v_pk_fma_f16 v70, v20, v27, v71 op_sel:[0,1,0]
	;; [unrolled: 2-line block ×6, first 2 shown]
	ds_read2_b64 v[22:25], v10 offset0:64 offset1:96
	v_pk_fma_f16 v72, v21, v28, v74 op_sel_hi:[1,0,1]
	v_pk_fma_f16 v28, v21, v28, v75 op_sel:[0,1,0]
	v_pk_fma_f16 v73, v21, v29, v76 op_sel_hi:[1,0,1]
	v_pk_fma_f16 v19, v21, v29, v19 op_sel:[0,1,0]
	s_waitcnt lgkmcnt(0)
	v_pk_fma_f16 v21, v22, v58, v66 op_sel_hi:[1,0,1]
	v_pk_fma_f16 v29, v22, v58, v67 op_sel:[0,1,0]
	v_pk_fma_f16 v66, v22, v59, v69 op_sel_hi:[1,0,1]
	v_pk_fma_f16 v67, v22, v59, v70 op_sel:[0,1,0]
	;; [unrolled: 2-line block ×10, first 2 shown]
	v_pk_fma_f16 v70, v24, v65, v18 op_sel:[0,1,0]
	v_pk_fma_f16 v71, v25, v62, v20 op_sel_hi:[1,0,1]
	v_pk_fma_f16 v72, v25, v63, v26 op_sel_hi:[1,0,1]
	v_pk_fma_f16 v63, v25, v63, v27 op_sel:[0,1,0]
	ds_read2_b64 v[18:21], v10 offset0:128 offset1:160
	ds_read_b128 v[26:29], v8 offset:16960
	v_pk_fma_f16 v69, v24, v64, v69 op_sel_hi:[1,0,1]
	v_pk_fma_f16 v30, v24, v64, v30 op_sel:[0,1,0]
	v_pk_fma_f16 v31, v24, v65, v31 op_sel_hi:[1,0,1]
	v_pk_fma_f16 v62, v25, v62, v22 op_sel:[0,1,0]
	;; [unrolled: 2-line block ×4, first 2 shown]
	ds_read_b128 v[22:25], v8 offset:16976
	s_waitcnt lgkmcnt(1)
	v_pk_fma_f16 v61, v18, v26, v61 op_sel_hi:[1,0,1]
	v_pk_fma_f16 v65, v18, v26, v68 op_sel:[0,1,0]
	v_pk_fma_f16 v66, v18, v27, v66 op_sel_hi:[1,0,1]
	v_pk_fma_f16 v67, v18, v27, v67 op_sel:[0,1,0]
	v_pk_fma_f16 v68, v18, v28, v69 op_sel_hi:[1,0,1]
	v_pk_fma_f16 v69, v19, v26, v71 op_sel_hi:[1,0,1]
	v_pk_fma_f16 v26, v19, v26, v62 op_sel:[0,1,0]
	v_pk_fma_f16 v62, v19, v27, v72 op_sel_hi:[1,0,1]
	v_pk_fma_f16 v27, v19, v27, v63 op_sel:[0,1,0]
	;; [unrolled: 2-line block ×4, first 2 shown]
	v_pk_fma_f16 v63, v19, v28, v59 op_sel:[0,1,0]
	v_pk_fma_f16 v70, v19, v29, v60 op_sel_hi:[1,0,1]
	v_pk_fma_f16 v19, v19, v29, v64 op_sel:[0,1,0]
	s_waitcnt lgkmcnt(0)
	v_pk_fma_f16 v64, v20, v22, v61 op_sel_hi:[1,0,1]
	v_pk_fma_f16 v65, v20, v22, v65 op_sel:[0,1,0]
	v_pk_fma_f16 v66, v20, v23, v66 op_sel_hi:[1,0,1]
	v_pk_fma_f16 v67, v20, v23, v67 op_sel:[0,1,0]
	;; [unrolled: 2-line block ×4, first 2 shown]
	v_pk_fma_f16 v72, v21, v24, v58 op_sel_hi:[1,0,1]
	ds_read2_b64 v[26:29], v10 offset0:192 offset1:224
	ds_read_b128 v[58:61], v8 offset:16992
	v_pk_fma_f16 v68, v20, v24, v68 op_sel_hi:[1,0,1]
	v_pk_fma_f16 v30, v20, v24, v30 op_sel:[0,1,0]
	v_pk_fma_f16 v31, v20, v25, v31 op_sel_hi:[1,0,1]
	v_pk_fma_f16 v71, v20, v25, v18 op_sel:[0,1,0]
	v_pk_fma_f16 v24, v21, v24, v63 op_sel:[0,1,0]
	v_pk_fma_f16 v63, v21, v25, v70 op_sel_hi:[1,0,1]
	v_pk_fma_f16 v25, v21, v25, v19 op_sel:[0,1,0]
	ds_read_b128 v[18:21], v8 offset:17008
	s_waitcnt lgkmcnt(1)
	v_pk_fma_f16 v64, v26, v58, v64 op_sel_hi:[1,0,1]
	v_pk_fma_f16 v65, v26, v58, v65 op_sel:[0,1,0]
	v_pk_fma_f16 v66, v26, v59, v66 op_sel_hi:[1,0,1]
	v_pk_fma_f16 v67, v26, v59, v67 op_sel:[0,1,0]
	;; [unrolled: 2-line block ×8, first 2 shown]
	s_waitcnt lgkmcnt(0)
	v_pk_fma_f16 v64, v28, v18, v64 op_sel_hi:[1,0,1]
	v_pk_fma_f16 v65, v28, v18, v65 op_sel:[0,1,0]
	v_pk_fma_f16 v66, v28, v19, v66 op_sel_hi:[1,0,1]
	v_pk_fma_f16 v67, v28, v19, v67 op_sel:[0,1,0]
	v_pk_fma_f16 v68, v28, v20, v68 op_sel_hi:[1,0,1]
	v_pk_fma_f16 v30, v28, v20, v30 op_sel:[0,1,0]
	v_pk_fma_f16 v31, v28, v21, v31 op_sel_hi:[1,0,1]
	v_pk_fma_f16 v26, v28, v21, v26 op_sel:[0,1,0]
	v_pk_fma_f16 v28, v29, v18, v69 op_sel_hi:[1,0,1]
	v_pk_fma_f16 v69, v29, v18, v22 op_sel:[0,1,0]
	v_pk_fma_f16 v70, v29, v19, v58 op_sel_hi:[1,0,1]
	v_pk_fma_f16 v71, v29, v19, v23 op_sel:[0,1,0]
	v_pk_fma_f16 v72, v29, v20, v59 op_sel_hi:[1,0,1]
	ds_read2_b64 v[22:25], v9 offset1:32
	ds_read_b128 v[58:61], v8 offset:17024
	v_pk_fma_f16 v62, v29, v20, v62 op_sel:[0,1,0]
	v_pk_fma_f16 v63, v29, v21, v63 op_sel_hi:[1,0,1]
	v_pk_fma_f16 v27, v29, v21, v27 op_sel:[0,1,0]
	ds_read_b128 v[18:21], v8 offset:17040
	s_waitcnt lgkmcnt(1)
	v_pk_fma_f16 v29, v22, v58, v64 op_sel_hi:[1,0,1]
	v_pk_fma_f16 v64, v22, v58, v65 op_sel:[0,1,0]
	v_pk_fma_f16 v65, v22, v59, v66 op_sel_hi:[1,0,1]
	v_pk_fma_f16 v66, v22, v59, v67 op_sel:[0,1,0]
	;; [unrolled: 2-line block ×8, first 2 shown]
	s_waitcnt lgkmcnt(0)
	v_pk_fma_f16 v69, v24, v18, v29 op_sel_hi:[1,0,1]
	v_pk_fma_f16 v64, v24, v18, v64 op_sel:[0,1,0]
	v_pk_fma_f16 v65, v24, v19, v65 op_sel_hi:[1,0,1]
	v_pk_fma_f16 v66, v24, v19, v66 op_sel:[0,1,0]
	;; [unrolled: 2-line block ×6, first 2 shown]
	ds_read2_b64 v[26:29], v9 offset0:64 offset1:96
	ds_read_b128 v[58:61], v8 offset:17056
	s_mul_i32 s6, s6, s8
	v_pk_fma_f16 v68, v25, v20, v68 op_sel_hi:[1,0,1]
	v_pk_fma_f16 v62, v25, v20, v62 op_sel:[0,1,0]
	v_pk_fma_f16 v63, v25, v21, v63 op_sel_hi:[1,0,1]
	v_pk_fma_f16 v23, v25, v21, v23 op_sel:[0,1,0]
	s_lshl_b64 s[6:7], s[6:7], 2
	ds_read_b128 v[18:21], v8 offset:17072
	s_waitcnt lgkmcnt(1)
	v_pk_fma_f16 v78, v26, v58, v69 op_sel_hi:[1,0,1]
	v_pk_fma_f16 v79, v26, v58, v64 op_sel:[0,1,0]
	v_pk_fma_f16 v80, v26, v59, v65 op_sel_hi:[1,0,1]
	v_pk_fma_f16 v81, v26, v59, v66 op_sel:[0,1,0]
	;; [unrolled: 2-line block ×8, first 2 shown]
	ds_read2_b64 v[22:25], v9 offset0:128 offset1:160
	ds_read_b128 v[58:61], v8 offset:17088
	ds_read_b128 v[62:65], v8 offset:17104
	ds_read2_b64 v[66:69], v9 offset0:192 offset1:224
	ds_read_b128 v[70:73], v8 offset:17120
	ds_read_b128 v[74:77], v8 offset:17136
	s_waitcnt lgkmcnt(0)
	s_barrier
	buffer_store_dword v14, off, s[0:3], 0
	buffer_store_dword v14, off, s[0:3], 0 offset:8
	buffer_store_dword v14, off, s[0:3], 0 offset:4
	;; [unrolled: 1-line block ×3, first 2 shown]
	v_mov_b32_e32 v14, s7
	v_add_co_u32_e32 v12, vcc, s6, v12
	s_sub_i32 s8, s21, 48
	v_addc_co_u32_e32 v13, vcc, v13, v14, vcc
	v_cmp_gt_i32_e32 vcc, s8, v11
	v_cndmask_b32_e32 v13, v15, v13, vcc
	v_cndmask_b32_e32 v12, v17, v12, vcc
	flat_load_dwordx4 v[12:15], v[12:13]
	v_pk_fma_f16 v11, v28, v18, v78 op_sel_hi:[1,0,1]
	v_pk_fma_f16 v17, v28, v18, v79 op_sel:[0,1,0]
	v_pk_fma_f16 v78, v28, v19, v80 op_sel_hi:[1,0,1]
	v_pk_fma_f16 v79, v28, v19, v81 op_sel:[0,1,0]
	v_pk_fma_f16 v80, v28, v20, v82 op_sel_hi:[1,0,1]
	v_pk_fma_f16 v30, v28, v20, v30 op_sel:[0,1,0]
	v_pk_fma_f16 v31, v28, v21, v31 op_sel_hi:[1,0,1]
	v_pk_fma_f16 v26, v28, v21, v26 op_sel:[0,1,0]
	v_pk_fma_f16 v28, v29, v18, v83 op_sel_hi:[1,0,1]
	v_pk_fma_f16 v18, v29, v18, v84 op_sel:[0,1,0]
	v_pk_fma_f16 v81, v29, v19, v85 op_sel_hi:[1,0,1]
	v_pk_fma_f16 v19, v29, v19, v86 op_sel:[0,1,0]
	v_pk_fma_f16 v82, v29, v20, v94 op_sel_hi:[1,0,1]
	v_pk_fma_f16 v20, v29, v20, v95 op_sel:[0,1,0]
	v_pk_fma_f16 v83, v29, v21, v96 op_sel_hi:[1,0,1]
	v_pk_fma_f16 v21, v29, v21, v27 op_sel:[0,1,0]
	v_pk_fma_f16 v11, v22, v58, v11 op_sel_hi:[1,0,1]
	v_pk_fma_f16 v17, v22, v58, v17 op_sel:[0,1,0]
	v_pk_fma_f16 v27, v22, v59, v78 op_sel_hi:[1,0,1]
	v_pk_fma_f16 v29, v22, v59, v79 op_sel:[0,1,0]
	v_pk_fma_f16 v78, v22, v60, v80 op_sel_hi:[1,0,1]
	v_pk_fma_f16 v30, v22, v60, v30 op_sel:[0,1,0]
	v_pk_fma_f16 v31, v22, v61, v31 op_sel_hi:[1,0,1]
	v_pk_fma_f16 v22, v22, v61, v26 op_sel:[0,1,0]
	v_pk_fma_f16 v18, v23, v58, v18 op_sel:[0,1,0]
	v_pk_fma_f16 v19, v23, v59, v19 op_sel:[0,1,0]
	v_pk_fma_f16 v26, v23, v58, v28 op_sel_hi:[1,0,1]
	v_pk_fma_f16 v28, v23, v59, v81 op_sel_hi:[1,0,1]
	;; [unrolled: 1-line block ×3, first 2 shown]
	v_pk_fma_f16 v20, v23, v60, v20 op_sel:[0,1,0]
	v_pk_fma_f16 v59, v23, v61, v83 op_sel_hi:[1,0,1]
	v_pk_fma_f16 v21, v23, v61, v21 op_sel:[0,1,0]
	v_pk_fma_f16 v11, v24, v62, v11 op_sel_hi:[1,0,1]
	;; [unrolled: 2-line block ×5, first 2 shown]
	v_pk_fma_f16 v22, v24, v65, v22 op_sel:[0,1,0]
	v_pk_fma_f16 v18, v25, v62, v18 op_sel:[0,1,0]
	;; [unrolled: 1-line block ×3, first 2 shown]
	v_pk_fma_f16 v24, v25, v62, v26 op_sel_hi:[1,0,1]
	v_pk_fma_f16 v26, v25, v63, v28 op_sel_hi:[1,0,1]
	;; [unrolled: 1-line block ×3, first 2 shown]
	v_pk_fma_f16 v20, v25, v64, v20 op_sel:[0,1,0]
	v_pk_fma_f16 v58, v25, v65, v59 op_sel_hi:[1,0,1]
	v_pk_fma_f16 v21, v25, v65, v21 op_sel:[0,1,0]
	v_pk_fma_f16 v11, v66, v70, v11 op_sel_hi:[1,0,1]
	;; [unrolled: 2-line block ×5, first 2 shown]
	v_pk_fma_f16 v22, v66, v73, v22 op_sel:[0,1,0]
	v_pk_fma_f16 v18, v67, v70, v18 op_sel:[0,1,0]
	;; [unrolled: 1-line block ×3, first 2 shown]
	v_pk_fma_f16 v31, v67, v73, v58 op_sel_hi:[1,0,1]
	v_pk_fma_f16 v11, v68, v74, v11 op_sel_hi:[1,0,1]
	v_pk_fma_f16 v58, v68, v74, v17 op_sel:[0,1,0]
	v_pk_fma_f16 v59, v68, v75, v23 op_sel_hi:[1,0,1]
	v_pk_fma_f16 v60, v68, v75, v25 op_sel:[0,1,0]
	;; [unrolled: 2-line block ×4, first 2 shown]
	v_pk_fma_f16 v66, v69, v74, v18 op_sel:[0,1,0]
	v_pk_fma_f16 v68, v69, v75, v19 op_sel:[0,1,0]
	v_pk_fma_f16 v24, v67, v70, v24 op_sel_hi:[1,0,1]
	v_pk_fma_f16 v26, v67, v71, v26 op_sel_hi:[1,0,1]
	;; [unrolled: 1-line block ×3, first 2 shown]
	v_pk_fma_f16 v20, v67, v72, v20 op_sel:[0,1,0]
	v_pk_fma_f16 v21, v67, v73, v21 op_sel:[0,1,0]
	v_pk_fma_f16 v65, v69, v74, v24 op_sel_hi:[1,0,1]
	v_pk_fma_f16 v67, v69, v75, v26 op_sel_hi:[1,0,1]
	;; [unrolled: 1-line block ×3, first 2 shown]
	v_pk_fma_f16 v71, v69, v76, v20 op_sel:[0,1,0]
	v_pk_fma_f16 v72, v69, v77, v31 op_sel_hi:[1,0,1]
	s_waitcnt vmcnt(0) lgkmcnt(0)
	ds_write_b128 v16, v[12:15] offset:24576
	s_waitcnt lgkmcnt(0)
	s_barrier
	ds_read2_b64 v[12:15], v10 offset1:32
	ds_read_b128 v[16:19], v8 offset:17152
	v_pk_fma_f16 v69, v69, v77, v21 op_sel:[0,1,0]
	ds_read_b128 v[20:23], v8 offset:17168
	ds_read_b128 v[24:27], v8 offset:17184
	;; [unrolled: 1-line block ×3, first 2 shown]
	s_waitcnt lgkmcnt(3)
	v_pk_fma_f16 v11, v12, v16, v11 op_sel_hi:[1,0,1]
	v_pk_fma_f16 v58, v12, v16, v58 op_sel:[0,1,0]
	v_pk_fma_f16 v59, v12, v17, v59 op_sel_hi:[1,0,1]
	v_pk_fma_f16 v60, v12, v17, v60 op_sel:[0,1,0]
	;; [unrolled: 2-line block ×8, first 2 shown]
	s_waitcnt lgkmcnt(2)
	v_pk_fma_f16 v11, v14, v20, v11 op_sel_hi:[1,0,1]
	v_pk_fma_f16 v58, v14, v20, v58 op_sel:[0,1,0]
	v_pk_fma_f16 v59, v14, v21, v59 op_sel_hi:[1,0,1]
	v_pk_fma_f16 v60, v14, v21, v60 op_sel:[0,1,0]
	;; [unrolled: 2-line block ×6, first 2 shown]
	ds_read2_b64 v[16:19], v10 offset0:64 offset1:96
	v_pk_fma_f16 v65, v15, v22, v66 op_sel_hi:[1,0,1]
	v_pk_fma_f16 v22, v15, v22, v67 op_sel:[0,1,0]
	v_pk_fma_f16 v66, v15, v23, v68 op_sel_hi:[1,0,1]
	v_pk_fma_f16 v13, v15, v23, v13 op_sel:[0,1,0]
	s_waitcnt lgkmcnt(0)
	v_pk_fma_f16 v11, v16, v24, v11 op_sel_hi:[1,0,1]
	v_pk_fma_f16 v15, v16, v24, v58 op_sel:[0,1,0]
	v_pk_fma_f16 v23, v16, v25, v59 op_sel_hi:[1,0,1]
	v_pk_fma_f16 v58, v16, v25, v60 op_sel:[0,1,0]
	v_pk_fma_f16 v59, v16, v26, v61 op_sel_hi:[1,0,1]
	v_pk_fma_f16 v60, v16, v26, v62 op_sel:[0,1,0]
	v_pk_fma_f16 v61, v16, v27, v63 op_sel_hi:[1,0,1]
	v_pk_fma_f16 v12, v16, v27, v12 op_sel:[0,1,0]
	v_pk_fma_f16 v14, v17, v24, v14 op_sel_hi:[1,0,1]
	v_pk_fma_f16 v16, v17, v24, v20 op_sel:[0,1,0]
	v_pk_fma_f16 v20, v17, v25, v64 op_sel_hi:[1,0,1]
	v_pk_fma_f16 v21, v17, v25, v21 op_sel:[0,1,0]
	v_pk_fma_f16 v24, v17, v26, v65 op_sel_hi:[1,0,1]
	v_pk_fma_f16 v25, v17, v26, v22 op_sel:[0,1,0]
	v_pk_fma_f16 v26, v17, v27, v66 op_sel_hi:[1,0,1]
	v_pk_fma_f16 v17, v17, v27, v13 op_sel:[0,1,0]
	v_pk_fma_f16 v27, v18, v28, v15 op_sel:[0,1,0]
	v_pk_fma_f16 v62, v18, v29, v23 op_sel_hi:[1,0,1]
	v_pk_fma_f16 v58, v18, v29, v58 op_sel:[0,1,0]
	v_pk_fma_f16 v63, v18, v31, v12 op_sel:[0,1,0]
	v_pk_fma_f16 v64, v19, v28, v14 op_sel_hi:[1,0,1]
	v_pk_fma_f16 v65, v19, v29, v20 op_sel_hi:[1,0,1]
	v_pk_fma_f16 v29, v19, v29, v21 op_sel:[0,1,0]
	ds_read2_b64 v[12:15], v10 offset0:128 offset1:160
	ds_read_b128 v[20:23], v8 offset:17216
	v_pk_fma_f16 v11, v18, v28, v11 op_sel_hi:[1,0,1]
	v_pk_fma_f16 v59, v18, v30, v59 op_sel_hi:[1,0,1]
	v_pk_fma_f16 v60, v18, v30, v60 op_sel:[0,1,0]
	v_pk_fma_f16 v61, v18, v31, v61 op_sel_hi:[1,0,1]
	v_pk_fma_f16 v28, v19, v28, v16 op_sel:[0,1,0]
	;; [unrolled: 2-line block ×4, first 2 shown]
	ds_read_b128 v[16:19], v8 offset:17232
	s_waitcnt lgkmcnt(1)
	v_pk_fma_f16 v11, v12, v20, v11 op_sel_hi:[1,0,1]
	v_pk_fma_f16 v27, v12, v20, v27 op_sel:[0,1,0]
	v_pk_fma_f16 v31, v12, v21, v62 op_sel_hi:[1,0,1]
	v_pk_fma_f16 v58, v12, v21, v58 op_sel:[0,1,0]
	;; [unrolled: 2-line block ×8, first 2 shown]
	s_waitcnt lgkmcnt(0)
	v_pk_fma_f16 v30, v14, v16, v11 op_sel_hi:[1,0,1]
	v_pk_fma_f16 v63, v14, v19, v12 op_sel:[0,1,0]
	v_pk_fma_f16 v64, v15, v16, v20 op_sel:[0,1,0]
	;; [unrolled: 1-line block ×3, first 2 shown]
	ds_read2_b64 v[10:13], v10 offset0:192 offset1:224
	ds_read_b128 v[20:23], v8 offset:17248
	v_pk_fma_f16 v27, v14, v16, v27 op_sel:[0,1,0]
	v_pk_fma_f16 v31, v14, v17, v31 op_sel_hi:[1,0,1]
	v_pk_fma_f16 v58, v14, v17, v58 op_sel:[0,1,0]
	v_pk_fma_f16 v59, v14, v18, v59 op_sel_hi:[1,0,1]
	v_pk_fma_f16 v60, v14, v18, v60 op_sel:[0,1,0]
	v_pk_fma_f16 v61, v14, v19, v61 op_sel_hi:[1,0,1]
	v_pk_fma_f16 v62, v15, v16, v62 op_sel_hi:[1,0,1]
	v_pk_fma_f16 v28, v15, v17, v28 op_sel_hi:[1,0,1]
	;; [unrolled: 1-line block ×3, first 2 shown]
	v_pk_fma_f16 v18, v15, v18, v25 op_sel:[0,1,0]
	v_pk_fma_f16 v25, v15, v19, v26 op_sel_hi:[1,0,1]
	v_pk_fma_f16 v19, v15, v19, v29 op_sel:[0,1,0]
	ds_read_b128 v[14:17], v8 offset:17264
	s_waitcnt lgkmcnt(1)
	v_pk_fma_f16 v26, v10, v20, v30 op_sel_hi:[1,0,1]
	v_pk_fma_f16 v27, v10, v20, v27 op_sel:[0,1,0]
	v_pk_fma_f16 v29, v10, v21, v31 op_sel_hi:[1,0,1]
	v_pk_fma_f16 v30, v10, v21, v58 op_sel:[0,1,0]
	v_pk_fma_f16 v58, v10, v22, v60 op_sel:[0,1,0]
	v_pk_fma_f16 v60, v11, v20, v62 op_sel_hi:[1,0,1]
	v_pk_fma_f16 v20, v11, v20, v64 op_sel:[0,1,0]
	v_pk_fma_f16 v28, v11, v21, v28 op_sel_hi:[1,0,1]
	v_pk_fma_f16 v21, v11, v21, v65 op_sel:[0,1,0]
	v_pk_fma_f16 v24, v11, v22, v24 op_sel_hi:[1,0,1]
	v_pk_fma_f16 v31, v10, v22, v59 op_sel_hi:[1,0,1]
	v_pk_fma_f16 v59, v10, v23, v61 op_sel_hi:[1,0,1]
	v_pk_fma_f16 v10, v10, v23, v63 op_sel:[0,1,0]
	v_pk_fma_f16 v61, v11, v22, v18 op_sel:[0,1,0]
	v_pk_fma_f16 v62, v11, v23, v25 op_sel_hi:[1,0,1]
	v_pk_fma_f16 v11, v11, v23, v19 op_sel:[0,1,0]
	s_waitcnt lgkmcnt(0)
	v_pk_fma_f16 v26, v12, v14, v26 op_sel_hi:[1,0,1]
	v_pk_fma_f16 v27, v12, v14, v27 op_sel:[0,1,0]
	v_pk_fma_f16 v29, v12, v15, v29 op_sel_hi:[1,0,1]
	v_pk_fma_f16 v30, v12, v15, v30 op_sel:[0,1,0]
	;; [unrolled: 2-line block ×4, first 2 shown]
	v_pk_fma_f16 v64, v13, v16, v24 op_sel_hi:[1,0,1]
	ds_read2_b64 v[18:21], v9 offset1:32
	ds_read_b128 v[22:25], v8 offset:17280
	v_pk_fma_f16 v31, v12, v16, v31 op_sel_hi:[1,0,1]
	v_pk_fma_f16 v58, v12, v16, v58 op_sel:[0,1,0]
	v_pk_fma_f16 v59, v12, v17, v59 op_sel_hi:[1,0,1]
	v_pk_fma_f16 v63, v12, v17, v10 op_sel:[0,1,0]
	v_pk_fma_f16 v16, v13, v16, v61 op_sel:[0,1,0]
	v_pk_fma_f16 v61, v13, v17, v62 op_sel_hi:[1,0,1]
	v_pk_fma_f16 v17, v13, v17, v11 op_sel:[0,1,0]
	ds_read_b128 v[10:13], v8 offset:17296
	s_waitcnt lgkmcnt(1)
	v_pk_fma_f16 v26, v18, v22, v26 op_sel_hi:[1,0,1]
	v_pk_fma_f16 v27, v18, v22, v27 op_sel:[0,1,0]
	v_pk_fma_f16 v29, v18, v23, v29 op_sel_hi:[1,0,1]
	v_pk_fma_f16 v30, v18, v23, v30 op_sel:[0,1,0]
	v_pk_fma_f16 v31, v18, v24, v31 op_sel_hi:[1,0,1]
	v_pk_fma_f16 v58, v18, v24, v58 op_sel:[0,1,0]
	v_pk_fma_f16 v59, v18, v25, v59 op_sel_hi:[1,0,1]
	v_pk_fma_f16 v18, v18, v25, v63 op_sel:[0,1,0]
	v_pk_fma_f16 v60, v19, v22, v60 op_sel_hi:[1,0,1]
	v_pk_fma_f16 v14, v19, v22, v14 op_sel:[0,1,0]
	v_pk_fma_f16 v22, v19, v23, v28 op_sel_hi:[1,0,1]
	v_pk_fma_f16 v15, v19, v23, v15 op_sel:[0,1,0]
	v_pk_fma_f16 v23, v19, v24, v64 op_sel_hi:[1,0,1]
	v_pk_fma_f16 v28, v19, v24, v16 op_sel:[0,1,0]
	v_pk_fma_f16 v61, v19, v25, v61 op_sel_hi:[1,0,1]
	v_pk_fma_f16 v19, v19, v25, v17 op_sel:[0,1,0]
	s_waitcnt lgkmcnt(0)
	v_pk_fma_f16 v26, v20, v10, v26 op_sel_hi:[1,0,1]
	v_pk_fma_f16 v27, v20, v10, v27 op_sel:[0,1,0]
	v_pk_fma_f16 v29, v20, v11, v29 op_sel_hi:[1,0,1]
	v_pk_fma_f16 v30, v20, v11, v30 op_sel:[0,1,0]
	;; [unrolled: 2-line block ×6, first 2 shown]
	v_pk_fma_f16 v64, v21, v12, v23 op_sel_hi:[1,0,1]
	ds_read2_b64 v[14:17], v9 offset0:64 offset1:96
	ds_read_b128 v[22:25], v8 offset:17312
	v_pk_fma_f16 v28, v21, v12, v28 op_sel:[0,1,0]
	v_pk_fma_f16 v61, v21, v13, v61 op_sel_hi:[1,0,1]
	v_pk_fma_f16 v19, v21, v13, v19 op_sel:[0,1,0]
	ds_read_b128 v[10:13], v8 offset:17328
	s_waitcnt lgkmcnt(1)
	v_pk_fma_f16 v21, v14, v22, v26 op_sel_hi:[1,0,1]
	v_pk_fma_f16 v26, v14, v22, v27 op_sel:[0,1,0]
	v_pk_fma_f16 v27, v14, v23, v29 op_sel_hi:[1,0,1]
	v_pk_fma_f16 v29, v14, v23, v30 op_sel:[0,1,0]
	;; [unrolled: 2-line block ×8, first 2 shown]
	s_waitcnt lgkmcnt(0)
	v_pk_fma_f16 v61, v16, v10, v21 op_sel_hi:[1,0,1]
	v_pk_fma_f16 v26, v16, v10, v26 op_sel:[0,1,0]
	v_pk_fma_f16 v27, v16, v11, v27 op_sel_hi:[1,0,1]
	v_pk_fma_f16 v29, v16, v11, v29 op_sel:[0,1,0]
	;; [unrolled: 2-line block ×6, first 2 shown]
	ds_read2_b64 v[18:21], v9 offset0:128 offset1:160
	ds_read_b128 v[22:25], v8 offset:17344
	v_pk_fma_f16 v59, v17, v12, v59 op_sel_hi:[1,0,1]
	v_pk_fma_f16 v28, v17, v12, v28 op_sel:[0,1,0]
	v_pk_fma_f16 v60, v17, v13, v60 op_sel_hi:[1,0,1]
	v_pk_fma_f16 v15, v17, v13, v15 op_sel:[0,1,0]
	ds_read_b128 v[10:13], v8 offset:17360
	s_waitcnt lgkmcnt(1)
	v_pk_fma_f16 v17, v18, v22, v61 op_sel_hi:[1,0,1]
	v_pk_fma_f16 v26, v18, v22, v26 op_sel:[0,1,0]
	v_pk_fma_f16 v27, v18, v23, v27 op_sel_hi:[1,0,1]
	v_pk_fma_f16 v29, v18, v23, v29 op_sel:[0,1,0]
	;; [unrolled: 2-line block ×8, first 2 shown]
	s_waitcnt lgkmcnt(0)
	v_pk_fma_f16 v61, v20, v10, v17 op_sel_hi:[1,0,1]
	v_pk_fma_f16 v26, v20, v10, v26 op_sel:[0,1,0]
	v_pk_fma_f16 v27, v20, v11, v27 op_sel_hi:[1,0,1]
	v_pk_fma_f16 v29, v20, v11, v29 op_sel:[0,1,0]
	;; [unrolled: 2-line block ×4, first 2 shown]
	v_pk_fma_f16 v62, v21, v10, v16 op_sel_hi:[1,0,1]
	v_pk_fma_f16 v63, v21, v11, v22 op_sel_hi:[1,0,1]
	v_pk_fma_f16 v64, v21, v11, v23 op_sel:[0,1,0]
	ds_read2_b64 v[14:17], v9 offset0:192 offset1:224
	ds_read_b128 v[22:25], v8 offset:17376
	v_pk_fma_f16 v18, v21, v10, v18 op_sel:[0,1,0]
	ds_read_b128 v[8:11], v8 offset:17392
	v_pk_fma_f16 v59, v21, v12, v59 op_sel_hi:[1,0,1]
	v_pk_fma_f16 v12, v21, v12, v28 op_sel:[0,1,0]
	v_pk_fma_f16 v28, v21, v13, v60 op_sel_hi:[1,0,1]
	v_pk_fma_f16 v13, v21, v13, v19 op_sel:[0,1,0]
	s_waitcnt lgkmcnt(1)
	v_pk_fma_f16 v19, v14, v22, v61 op_sel_hi:[1,0,1]
	v_pk_fma_f16 v21, v14, v22, v26 op_sel:[0,1,0]
	v_pk_fma_f16 v26, v14, v23, v27 op_sel_hi:[1,0,1]
	v_pk_fma_f16 v27, v14, v23, v29 op_sel:[0,1,0]
	;; [unrolled: 2-line block ×8, first 2 shown]
	s_waitcnt lgkmcnt(0)
	v_pk_fma_f16 v85, v16, v8, v19 op_sel_hi:[1,0,1]
	v_pk_fma_f16 v83, v16, v8, v21 op_sel:[0,1,0]
	v_pk_fma_f16 v79, v16, v9, v26 op_sel_hi:[1,0,1]
	v_pk_fma_f16 v71, v16, v9, v27 op_sel:[0,1,0]
	v_pk_fma_f16 v65, v16, v10, v29 op_sel_hi:[1,0,1]
	v_pk_fma_f16 v64, v16, v10, v30 op_sel:[0,1,0]
	v_pk_fma_f16 v74, v16, v11, v31 op_sel_hi:[1,0,1]
	v_pk_fma_f16 v69, v16, v11, v14 op_sel:[0,1,0]
	v_pk_fma_f16 v86, v17, v8, v20 op_sel_hi:[1,0,1]
	v_pk_fma_f16 v84, v17, v8, v18 op_sel:[0,1,0]
	v_pk_fma_f16 v80, v17, v9, v22 op_sel_hi:[1,0,1]
	v_pk_fma_f16 v72, v17, v9, v23 op_sel:[0,1,0]
	v_pk_fma_f16 v66, v17, v10, v58 op_sel_hi:[1,0,1]
	v_pk_fma_f16 v63, v17, v10, v12 op_sel:[0,1,0]
	v_pk_fma_f16 v75, v17, v11, v24 op_sel_hi:[1,0,1]
	v_pk_fma_f16 v68, v17, v11, v13 op_sel:[0,1,0]
	v_pk_mov_b32 v[24:25], v[32:33], v[32:33] op_sel:[0,1]
	v_pk_mov_b32 v[22:23], v[6:7], v[6:7] op_sel:[0,1]
	;; [unrolled: 1-line block ×8, first 2 shown]
	s_barrier
.LBB52_127:
	v_cmp_lt_i32_e32 vcc, v90, v88
	v_cndmask_b32_e32 v0, v87, v90, vcc
	v_lshlrev_b32_e32 v9, 2, v0
	ds_bpermute_b32 v4, v9, v18
	ds_bpermute_b32 v5, v9, v19
	;; [unrolled: 1-line block ×4, first 2 shown]
	v_cmp_lt_i32_e32 vcc, v93, v88
	v_cndmask_b32_e32 v2, v87, v93, vcc
	v_cmp_lt_i32_e32 vcc, v91, v88
	v_lshlrev_b32_e32 v15, 2, v2
	v_cndmask_b32_e32 v2, v87, v91, vcc
	v_cmp_lt_i32_e32 vcc, v92, v88
	v_cndmask_b32_e32 v6, v87, v92, vcc
	s_waitcnt lgkmcnt(2)
	v_pk_add_f32 v[4:5], v[18:19], v[4:5]
	s_waitcnt lgkmcnt(0)
	v_pk_add_f32 v[0:1], v[16:17], v[0:1]
	v_lshlrev_b32_e32 v17, 2, v6
	ds_bpermute_b32 v6, v15, v4
	ds_bpermute_b32 v7, v15, v5
	v_lshlrev_b32_e32 v32, 2, v2
	ds_bpermute_b32 v10, v9, v22
	ds_bpermute_b32 v11, v9, v23
	v_cmp_lt_i32_e32 vcc, v89, v88
	s_waitcnt lgkmcnt(2)
	v_pk_add_f32 v[4:5], v[4:5], v[6:7]
	ds_bpermute_b32 v6, v32, v4
	ds_bpermute_b32 v7, v32, v5
	s_waitcnt lgkmcnt(2)
	v_pk_add_f32 v[10:11], v[22:23], v[10:11]
	ds_bpermute_b32 v2, v15, v0
	ds_bpermute_b32 v3, v15, v1
	v_cndmask_b32_e32 v8, v87, v89, vcc
	s_waitcnt lgkmcnt(2)
	v_pk_add_f32 v[4:5], v[4:5], v[6:7]
	ds_bpermute_b32 v6, v9, v20
	ds_bpermute_b32 v7, v9, v21
	ds_bpermute_b32 v14, v15, v10
	v_lshlrev_b32_e32 v33, 2, v8
	ds_bpermute_b32 v8, v17, v4
	ds_bpermute_b32 v9, v17, v5
	s_waitcnt lgkmcnt(3)
	v_pk_add_f32 v[6:7], v[20:21], v[6:7]
	ds_bpermute_b32 v12, v15, v6
	ds_bpermute_b32 v13, v15, v7
	ds_bpermute_b32 v15, v15, v11
	v_pk_add_f32 v[0:1], v[0:1], v[2:3]
	ds_bpermute_b32 v2, v32, v0
	ds_bpermute_b32 v3, v32, v1
	s_waitcnt lgkmcnt(3)
	v_pk_add_f32 v[6:7], v[6:7], v[12:13]
	s_waitcnt lgkmcnt(2)
	v_pk_add_f32 v[10:11], v[10:11], v[14:15]
	v_pk_add_f32 v[4:5], v[4:5], v[8:9]
	ds_bpermute_b32 v8, v32, v6
	ds_bpermute_b32 v9, v32, v7
	;; [unrolled: 1-line block ×4, first 2 shown]
	s_waitcnt lgkmcnt(4)
	v_pk_add_f32 v[0:1], v[0:1], v[2:3]
	ds_bpermute_b32 v2, v17, v0
	s_waitcnt lgkmcnt(3)
	v_pk_add_f32 v[6:7], v[6:7], v[8:9]
	ds_bpermute_b32 v3, v17, v1
	;; [unrolled: 3-line block ×3, first 2 shown]
	ds_bpermute_b32 v9, v17, v7
	ds_bpermute_b32 v12, v17, v10
	;; [unrolled: 1-line block ×3, first 2 shown]
	s_waitcnt lgkmcnt(4)
	v_pk_add_f32 v[0:1], v[0:1], v[2:3]
	ds_bpermute_b32 v2, v33, v0
	s_waitcnt lgkmcnt(3)
	v_pk_add_f32 v[6:7], v[6:7], v[8:9]
	ds_bpermute_b32 v3, v33, v1
	;; [unrolled: 3-line block ×3, first 2 shown]
	ds_bpermute_b32 v17, v33, v5
	ds_bpermute_b32 v8, v33, v6
	;; [unrolled: 1-line block ×5, first 2 shown]
	s_cmp_eq_u64 s[24:25], 0
	s_cselect_b64 s[6:7], -1, 0
	s_cmp_lg_u32 s9, 0
	s_cselect_b64 s[10:11], -1, 0
	s_or_b64 s[6:7], s[10:11], s[6:7]
	s_waitcnt lgkmcnt(6)
	v_pk_add_f32 v[14:15], v[0:1], v[2:3]
	s_waitcnt lgkmcnt(4)
	v_pk_add_f32 v[12:13], v[4:5], v[16:17]
	;; [unrolled: 2-line block ×4, first 2 shown]
	s_and_b64 vcc, exec, s[6:7]
	s_cbranch_vccnz .LBB52_129
; %bb.128:
	s_lshl_b64 s[6:7], s[34:35], 2
	s_add_u32 s6, s24, s6
	s_addc_u32 s7, s25, s7
	v_mov_b32_e32 v0, 0
	global_load_dword v16, v0, s[6:7]
	v_max_f32_e32 v0, v25, v25
	v_max_f32_e32 v2, v24, v24
	v_max_f32_e32 v4, v26, v26
	v_max_f32_e32 v3, v27, v27
	s_mov_b32 s8, 0x3fb8aa3b
	s_mov_b32 s7, 0xc2ce8ed0
	;; [unrolled: 1-line block ×3, first 2 shown]
	v_mov_b32_e32 v20, 0x7f800000
	s_waitcnt vmcnt(0)
	v_max_f32_e32 v17, v16, v16
	v_max_f32_e32 v1, v0, v17
	;; [unrolled: 1-line block ×4, first 2 shown]
	v_pk_add_f32 v[4:5], v[24:25], v[0:1] neg_lo:[0,1] neg_hi:[0,1]
	v_max_f32_e32 v3, v3, v17
	v_mul_f32_e32 v21, 0x3fb8aa3b, v5
	v_pk_add_f32 v[6:7], v[16:17], v[0:1] op_sel_hi:[0,1] neg_lo:[0,1] neg_hi:[0,1]
	v_pk_add_f32 v[18:19], v[26:27], v[2:3] neg_lo:[0,1] neg_hi:[0,1]
	v_mul_f32_e32 v22, 0x3fb8aa3b, v4
	v_fma_f32 v27, v5, s8, -v21
	v_rndne_f32_e32 v32, v21
	v_mul_f32_e32 v23, 0x3fb8aa3b, v7
	v_fma_f32 v33, v4, s8, -v22
	v_rndne_f32_e32 v34, v22
	v_fmac_f32_e32 v27, 0x32a5705f, v5
	v_sub_f32_e32 v21, v21, v32
	v_mul_f32_e32 v24, 0x3fb8aa3b, v6
	v_fma_f32 v35, v7, s8, -v23
	v_rndne_f32_e32 v36, v23
	v_fmac_f32_e32 v33, 0x32a5705f, v4
	v_sub_f32_e32 v22, v22, v34
	v_add_f32_e32 v21, v21, v27
	v_mul_f32_e32 v25, 0x3fb8aa3b, v19
	v_fma_f32 v37, v6, s8, -v24
	v_rndne_f32_e32 v38, v24
	v_cvt_i32_f32_e32 v32, v32
	v_fmac_f32_e32 v35, 0x32a5705f, v7
	v_sub_f32_e32 v23, v23, v36
	v_add_f32_e32 v22, v22, v33
	v_exp_f32_e32 v21, v21
	v_mul_f32_e32 v26, 0x3fb8aa3b, v18
	v_fma_f32 v39, v19, s8, -v25
	v_rndne_f32_e32 v58, v25
	v_cvt_i32_f32_e32 v34, v34
	v_fmac_f32_e32 v37, 0x32a5705f, v6
	v_sub_f32_e32 v24, v24, v38
	v_add_f32_e32 v23, v23, v35
	v_exp_f32_e32 v22, v22
	v_fma_f32 v59, v18, s8, -v26
	v_rndne_f32_e32 v60, v26
	v_cvt_i32_f32_e32 v36, v36
	v_fmac_f32_e32 v39, 0x32a5705f, v19
	v_sub_f32_e32 v25, v25, v58
	v_add_f32_e32 v24, v24, v37
	v_exp_f32_e32 v23, v23
	v_cvt_i32_f32_e32 v38, v38
	v_fmac_f32_e32 v59, 0x32a5705f, v18
	v_sub_f32_e32 v26, v26, v60
	v_add_f32_e32 v25, v25, v39
	v_exp_f32_e32 v24, v24
	v_cvt_i32_f32_e32 v58, v58
	v_add_f32_e32 v26, v26, v59
	v_exp_f32_e32 v25, v25
	v_ldexp_f32 v21, v21, v32
	v_cmp_ngt_f32_e32 vcc, s7, v5
	v_cvt_i32_f32_e32 v60, v60
	v_exp_f32_e32 v26, v26
	v_ldexp_f32 v22, v22, v34
	v_cndmask_b32_e32 v21, 0, v21, vcc
	v_cmp_ngt_f32_e32 vcc, s7, v4
	v_ldexp_f32 v23, v23, v36
	v_cndmask_b32_e32 v22, 0, v22, vcc
	v_cmp_ngt_f32_e32 vcc, s7, v7
	;; [unrolled: 3-line block ×5, first 2 shown]
	v_cndmask_b32_e32 v26, 0, v26, vcc
	v_cmp_nlt_f32_e32 vcc, s6, v5
	v_cndmask_b32_e32 v5, v20, v21, vcc
	v_cmp_nlt_f32_e32 vcc, s6, v4
	;; [unrolled: 2-line block ×3, first 2 shown]
	v_cndmask_b32_e32 v7, v20, v23, vcc
	v_cvt_f16_f32_e32 v21, v4
	v_cmp_nlt_f32_e32 vcc, s6, v6
	v_cvt_f16_f32_e32 v22, v5
	v_cndmask_b32_e32 v6, v20, v24, vcc
	v_pk_fma_f32 v[14:15], v[14:15], v[4:5], v[6:7]
	v_pk_add_f32 v[6:7], v[16:17], v[2:3] op_sel_hi:[0,1] neg_lo:[0,1] neg_hi:[0,1]
	v_mul_f32_e32 v5, 0x3fb8aa3b, v7
	v_pk_mul_f16 v85, v21, v85 op_sel_hi:[0,1]
	v_pk_mul_f16 v86, v21, v86 op_sel_hi:[0,1]
	;; [unrolled: 1-line block ×4, first 2 shown]
	v_fma_f32 v21, v7, s8, -v5
	v_rndne_f32_e32 v22, v5
	v_cmp_nlt_f32_e32 vcc, s6, v18
	v_fmac_f32_e32 v21, 0x32a5705f, v7
	v_sub_f32_e32 v5, v5, v22
	v_cndmask_b32_e32 v4, v20, v26, vcc
	v_add_f32_e32 v5, v5, v21
	v_cvt_f16_f32_e32 v18, v4
	v_exp_f32_e32 v21, v5
	v_cvt_i32_f32_e32 v22, v22
	v_cmp_nlt_f32_e32 vcc, s6, v19
	v_mul_f32_e32 v19, 0x3fb8aa3b, v6
	v_pk_mul_f16 v79, v18, v79 op_sel_hi:[0,1]
	v_pk_mul_f16 v80, v18, v80 op_sel_hi:[0,1]
	v_ldexp_f32 v18, v21, v22
	v_fma_f32 v21, v6, s8, -v19
	v_rndne_f32_e32 v22, v19
	v_fmac_f32_e32 v21, 0x32a5705f, v6
	v_sub_f32_e32 v19, v19, v22
	v_add_f32_e32 v19, v19, v21
	v_exp_f32_e32 v19, v19
	v_cvt_i32_f32_e32 v21, v22
	v_cndmask_b32_e32 v5, v20, v25, vcc
	v_cmp_ngt_f32_e32 vcc, s7, v7
	v_cndmask_b32_e32 v18, 0, v18, vcc
	v_cmp_nlt_f32_e32 vcc, s6, v7
	v_cndmask_b32_e32 v7, v20, v18, vcc
	v_ldexp_f32 v18, v19, v21
	v_cmp_ngt_f32_e32 vcc, s7, v6
	v_cndmask_b32_e32 v18, 0, v18, vcc
	v_cmp_nlt_f32_e32 vcc, s6, v6
	v_cndmask_b32_e32 v6, v20, v18, vcc
	v_pk_fma_f32 v[12:13], v[12:13], v[4:5], v[6:7]
	v_max_f32_e32 v4, v29, v29
	v_cvt_f16_f32_e32 v19, v5
	v_max_f32_e32 v5, v4, v17
	v_max_f32_e32 v4, v28, v28
	;; [unrolled: 1-line block ×3, first 2 shown]
	v_pk_add_f32 v[6:7], v[28:29], v[4:5] neg_lo:[0,1] neg_hi:[0,1]
	v_mul_f32_e32 v18, 0x3fb8aa3b, v7
	v_pk_mul_f16 v71, v19, v71 op_sel_hi:[0,1]
	v_pk_mul_f16 v72, v19, v72 op_sel_hi:[0,1]
	v_fma_f32 v19, v7, s8, -v18
	v_rndne_f32_e32 v21, v18
	v_fmac_f32_e32 v19, 0x32a5705f, v7
	v_sub_f32_e32 v18, v18, v21
	v_add_f32_e32 v18, v18, v19
	v_cvt_i32_f32_e32 v19, v21
	v_mul_f32_e32 v21, 0x3fb8aa3b, v6
	v_fma_f32 v22, v6, s8, -v21
	v_rndne_f32_e32 v23, v21
	v_fmac_f32_e32 v22, 0x32a5705f, v6
	v_sub_f32_e32 v21, v21, v23
	v_exp_f32_e32 v18, v18
	v_add_f32_e32 v21, v21, v22
	v_exp_f32_e32 v21, v21
	v_cvt_i32_f32_e32 v22, v23
	v_ldexp_f32 v18, v18, v19
	v_cmp_ngt_f32_e32 vcc, s7, v7
	v_cndmask_b32_e32 v23, 0, v18, vcc
	v_ldexp_f32 v18, v21, v22
	v_cmp_ngt_f32_e32 vcc, s7, v6
	v_cndmask_b32_e32 v18, 0, v18, vcc
	v_cmp_nlt_f32_e32 vcc, s6, v6
	v_cndmask_b32_e32 v6, v20, v18, vcc
	v_pk_add_f32 v[18:19], v[16:17], v[4:5] op_sel_hi:[0,1] neg_lo:[0,1] neg_hi:[0,1]
	v_mul_f32_e32 v22, 0x3fb8aa3b, v19
	v_fma_f32 v24, v19, s8, -v22
	v_rndne_f32_e32 v25, v22
	v_fmac_f32_e32 v24, 0x32a5705f, v19
	v_sub_f32_e32 v22, v22, v25
	v_add_f32_e32 v22, v22, v24
	v_cvt_f16_f32_e32 v21, v6
	v_exp_f32_e32 v22, v22
	v_cvt_i32_f32_e32 v24, v25
	v_cmp_nlt_f32_e32 vcc, s6, v7
	v_pk_mul_f16 v65, v21, v65 op_sel_hi:[0,1]
	v_pk_mul_f16 v66, v21, v66 op_sel_hi:[0,1]
	v_ldexp_f32 v21, v22, v24
	v_mul_f32_e32 v22, 0x3fb8aa3b, v18
	v_cndmask_b32_e32 v7, v20, v23, vcc
	v_fma_f32 v23, v18, s8, -v22
	v_rndne_f32_e32 v24, v22
	v_fmac_f32_e32 v23, 0x32a5705f, v18
	v_sub_f32_e32 v22, v22, v24
	v_add_f32_e32 v22, v22, v23
	v_exp_f32_e32 v22, v22
	v_cvt_i32_f32_e32 v23, v24
	v_cmp_ngt_f32_e32 vcc, s7, v19
	v_cndmask_b32_e32 v21, 0, v21, vcc
	v_cmp_nlt_f32_e32 vcc, s6, v19
	v_cndmask_b32_e32 v19, v20, v21, vcc
	v_ldexp_f32 v21, v22, v23
	v_cmp_ngt_f32_e32 vcc, s7, v18
	v_cndmask_b32_e32 v21, 0, v21, vcc
	v_cmp_nlt_f32_e32 vcc, s6, v18
	v_cndmask_b32_e32 v18, v20, v21, vcc
	v_pk_fma_f32 v[10:11], v[10:11], v[6:7], v[18:19]
	v_max_f32_e32 v6, v31, v31
	v_cvt_f16_f32_e32 v22, v7
	v_max_f32_e32 v7, v6, v17
	v_max_f32_e32 v6, v30, v30
	;; [unrolled: 1-line block ×3, first 2 shown]
	v_pk_add_f32 v[18:19], v[30:31], v[6:7] neg_lo:[0,1] neg_hi:[0,1]
	v_mul_f32_e32 v17, 0x3fb8aa3b, v19
	v_pk_mul_f16 v64, v22, v64 op_sel_hi:[0,1]
	v_pk_mul_f16 v63, v22, v63 op_sel_hi:[0,1]
	v_fma_f32 v21, v19, s8, -v17
	v_rndne_f32_e32 v22, v17
	v_fmac_f32_e32 v21, 0x32a5705f, v19
	v_sub_f32_e32 v17, v17, v22
	v_add_f32_e32 v17, v17, v21
	v_cvt_i32_f32_e32 v21, v22
	v_mul_f32_e32 v22, 0x3fb8aa3b, v18
	v_fma_f32 v23, v18, s8, -v22
	v_rndne_f32_e32 v24, v22
	v_fmac_f32_e32 v23, 0x32a5705f, v18
	v_sub_f32_e32 v22, v22, v24
	v_exp_f32_e32 v17, v17
	v_add_f32_e32 v22, v22, v23
	v_exp_f32_e32 v22, v22
	v_cvt_i32_f32_e32 v23, v24
	v_ldexp_f32 v17, v17, v21
	v_cmp_ngt_f32_e32 vcc, s7, v19
	v_cndmask_b32_e32 v21, 0, v17, vcc
	v_ldexp_f32 v17, v22, v23
	v_cmp_ngt_f32_e32 vcc, s7, v18
	v_cndmask_b32_e32 v17, 0, v17, vcc
	v_cmp_nlt_f32_e32 vcc, s6, v18
	v_cndmask_b32_e32 v18, v20, v17, vcc
	v_pk_add_f32 v[16:17], v[16:17], v[6:7] op_sel_hi:[0,1] neg_lo:[0,1] neg_hi:[0,1]
	v_mul_f32_e32 v23, 0x3fb8aa3b, v17
	v_fma_f32 v24, v17, s8, -v23
	v_rndne_f32_e32 v25, v23
	v_fmac_f32_e32 v24, 0x32a5705f, v17
	v_sub_f32_e32 v23, v23, v25
	v_cvt_f16_f32_e32 v22, v18
	v_add_f32_e32 v23, v23, v24
	v_exp_f32_e32 v23, v23
	v_cvt_i32_f32_e32 v24, v25
	v_cmp_nlt_f32_e32 vcc, s6, v19
	v_pk_mul_f16 v74, v22, v74 op_sel_hi:[0,1]
	v_pk_mul_f16 v75, v22, v75 op_sel_hi:[0,1]
	v_mul_f32_e32 v22, 0x3fb8aa3b, v16
	v_cndmask_b32_e32 v19, v20, v21, vcc
	v_ldexp_f32 v21, v23, v24
	v_fma_f32 v23, v16, s8, -v22
	v_rndne_f32_e32 v24, v22
	v_fmac_f32_e32 v23, 0x32a5705f, v16
	v_sub_f32_e32 v22, v22, v24
	v_add_f32_e32 v22, v22, v23
	v_exp_f32_e32 v22, v22
	v_cvt_i32_f32_e32 v23, v24
	v_cmp_ngt_f32_e32 vcc, s7, v17
	v_cndmask_b32_e32 v21, 0, v21, vcc
	v_cmp_nlt_f32_e32 vcc, s6, v17
	v_cndmask_b32_e32 v17, v20, v21, vcc
	v_ldexp_f32 v21, v22, v23
	v_cvt_f16_f32_e32 v22, v19
	v_cmp_ngt_f32_e32 vcc, s7, v16
	v_cndmask_b32_e32 v21, 0, v21, vcc
	v_cmp_nlt_f32_e32 vcc, s6, v16
	v_cndmask_b32_e32 v16, v20, v21, vcc
	v_pk_mov_b32 v[30:31], v[6:7], v[6:7] op_sel:[0,1]
	v_pk_fma_f32 v[8:9], v[8:9], v[18:19], v[16:17]
	v_pk_mul_f16 v69, v22, v69 op_sel_hi:[0,1]
	v_pk_mul_f16 v68, v22, v68 op_sel_hi:[0,1]
	v_pk_mov_b32 v[28:29], v[4:5], v[4:5] op_sel:[0,1]
	v_pk_mov_b32 v[26:27], v[2:3], v[2:3] op_sel:[0,1]
	;; [unrolled: 1-line block ×3, first 2 shown]
.LBB52_129:
	v_cmp_gt_i32_e32 vcc, s38, v57
	s_and_saveexec_b64 s[6:7], vcc
	s_cbranch_execz .LBB52_169
; %bb.130:
	s_load_dword s8, s[4:5], 0xd4
	v_mov_b32_e32 v0, 1.0
	s_waitcnt lgkmcnt(0)
	s_cmp_lg_u32 s8, 1
	s_cselect_b64 s[6:7], -1, 0
	s_cmp_eq_u32 s8, 1
	s_cselect_b64 s[10:11], -1, 0
	s_and_b64 vcc, exec, s[6:7]
	s_cbranch_vccnz .LBB52_132
; %bb.131:
	v_div_scale_f32 v0, s[4:5], v14, v14, 1.0
	v_rcp_f32_e32 v1, v0
	v_div_scale_f32 v2, vcc, 1.0, v14, 1.0
	v_fma_f32 v3, -v0, v1, 1.0
	v_fmac_f32_e32 v1, v3, v1
	v_mul_f32_e32 v3, v2, v1
	v_fma_f32 v4, -v0, v3, v2
	v_fmac_f32_e32 v3, v4, v1
	v_fma_f32 v0, -v0, v3, v2
	v_div_fmas_f32 v0, v0, v1, v3
	v_div_fixup_f32 v0, v0, v14, 1.0
.LBB52_132:
	s_mul_i32 s12, s33, s38
	s_add_i32 s12, s12, s22
	v_add_u32_e32 v1, s12, v55
	v_mul_lo_u32 v1, v1, s39
	v_add_u32_e32 v1, s34, v1
	v_mul_lo_u32 v1, s8, v1
	v_add_u32_e32 v2, s9, v1
	v_cvt_f32_f16_sdwa v7, v85 dst_sel:DWORD dst_unused:UNUSED_PAD src0_sel:WORD_1
	v_cvt_f32_f16_e32 v6, v85
	v_cvt_f32_f16_sdwa v17, v86 dst_sel:DWORD dst_unused:UNUSED_PAD src0_sel:WORD_1
	v_cvt_f32_f16_e32 v16, v86
	v_lshl_add_u32 v4, v2, 7, v45
	v_mov_b32_e32 v5, 0
	v_lshlrev_b64 v[4:5], 2, v[4:5]
	v_cmp_eq_u32_e32 vcc, 0, v56
	v_mov_b32_e32 v1, s29
	v_add_co_u32_e64 v18, s[4:5], s28, v4
	v_addc_co_u32_e64 v19, s[4:5], v1, v5, s[4:5]
	v_pk_mul_f32 v[4:5], v[0:1], v[6:7] op_sel_hi:[0,1]
	v_pk_mul_f32 v[6:7], v[0:1], v[16:17] op_sel_hi:[0,1]
	s_and_b64 s[6:7], vcc, s[6:7]
	global_store_dwordx4 v[18:19], v[4:7], off
	s_and_saveexec_b64 s[4:5], s[6:7]
	s_cbranch_execz .LBB52_134
; %bb.133:
	v_ashrrev_i32_e32 v3, 31, v2
	v_lshlrev_b64 v[0:1], 3, v[2:3]
	v_mov_b32_e32 v2, s31
	v_add_co_u32_e32 v0, vcc, s30, v0
	v_addc_co_u32_e32 v1, vcc, v2, v1, vcc
	v_mov_b32_e32 v2, v24
	v_mov_b32_e32 v3, v14
	global_store_dwordx2 v[0:1], v[2:3], off
.LBB52_134:
	s_or_b64 exec, exec, s[4:5]
	v_cmp_gt_i32_e32 vcc, s38, v54
	s_and_b64 exec, exec, vcc
	s_cbranch_execz .LBB52_169
; %bb.135:
	v_cndmask_b32_e64 v0, 0, 1, s[10:11]
	v_cmp_ne_u32_e64 s[4:5], 1, v0
	s_andn2_b64 vcc, exec, s[10:11]
	v_mov_b32_e32 v2, 1.0
	s_cbranch_vccnz .LBB52_137
; %bb.136:
	v_div_scale_f32 v0, s[10:11], v15, v15, 1.0
	v_rcp_f32_e32 v1, v0
	v_div_scale_f32 v2, vcc, 1.0, v15, 1.0
	v_fma_f32 v3, -v0, v1, 1.0
	v_fmac_f32_e32 v1, v3, v1
	v_mul_f32_e32 v3, v2, v1
	v_fma_f32 v4, -v0, v3, v2
	v_fmac_f32_e32 v3, v4, v1
	v_fma_f32 v0, -v0, v3, v2
	v_div_fmas_f32 v0, v0, v1, v3
	v_div_fixup_f32 v2, v0, v15, 1.0
.LBB52_137:
	v_add_u32_e32 v0, s12, v53
	v_mul_lo_u32 v0, v0, s39
	v_add_u32_e32 v0, s34, v0
	v_mul_lo_u32 v0, s8, v0
	v_add_u32_e32 v0, s9, v0
	v_cvt_f32_f16_sdwa v7, v83 dst_sel:DWORD dst_unused:UNUSED_PAD src0_sel:WORD_1
	v_cvt_f32_f16_e32 v6, v83
	v_cvt_f32_f16_sdwa v17, v84 dst_sel:DWORD dst_unused:UNUSED_PAD src0_sel:WORD_1
	v_cvt_f32_f16_e32 v16, v84
	v_lshl_add_u32 v4, v0, 7, v45
	v_mov_b32_e32 v5, 0
	v_lshlrev_b64 v[4:5], 2, v[4:5]
	v_mov_b32_e32 v1, s29
	v_add_co_u32_e32 v18, vcc, s28, v4
	v_addc_co_u32_e32 v19, vcc, v1, v5, vcc
	v_pk_mul_f32 v[4:5], v[2:3], v[6:7] op_sel_hi:[0,1]
	v_pk_mul_f32 v[6:7], v[2:3], v[16:17] op_sel_hi:[0,1]
	global_store_dwordx4 v[18:19], v[4:7], off
	s_and_saveexec_b64 s[10:11], s[6:7]
	s_cbranch_execz .LBB52_139
; %bb.138:
	v_ashrrev_i32_e32 v1, 31, v0
	v_lshlrev_b64 v[0:1], 3, v[0:1]
	v_mov_b32_e32 v2, s31
	v_add_co_u32_e32 v0, vcc, s30, v0
	v_addc_co_u32_e32 v1, vcc, v2, v1, vcc
	v_mov_b32_e32 v14, v25
	global_store_dwordx2 v[0:1], v[14:15], off
.LBB52_139:
	s_or_b64 exec, exec, s[10:11]
	v_cmp_gt_i32_e32 vcc, s38, v52
	s_and_b64 exec, exec, vcc
	s_cbranch_execz .LBB52_169
; %bb.140:
	s_and_b64 vcc, exec, s[4:5]
	v_mov_b32_e32 v2, 1.0
	s_cbranch_vccnz .LBB52_142
; %bb.141:
	v_div_scale_f32 v0, s[10:11], v12, v12, 1.0
	v_rcp_f32_e32 v1, v0
	v_div_scale_f32 v2, vcc, 1.0, v12, 1.0
	v_fma_f32 v3, -v0, v1, 1.0
	v_fmac_f32_e32 v1, v3, v1
	v_mul_f32_e32 v3, v2, v1
	v_fma_f32 v4, -v0, v3, v2
	v_fmac_f32_e32 v3, v4, v1
	v_fma_f32 v0, -v0, v3, v2
	v_div_fmas_f32 v0, v0, v1, v3
	v_div_fixup_f32 v2, v0, v12, 1.0
.LBB52_142:
	v_add_u32_e32 v0, s12, v51
	v_mul_lo_u32 v0, v0, s39
	v_add_u32_e32 v0, s34, v0
	v_mul_lo_u32 v0, s8, v0
	v_add_u32_e32 v0, s9, v0
	v_cvt_f32_f16_sdwa v7, v79 dst_sel:DWORD dst_unused:UNUSED_PAD src0_sel:WORD_1
	v_cvt_f32_f16_e32 v6, v79
	v_cvt_f32_f16_sdwa v15, v80 dst_sel:DWORD dst_unused:UNUSED_PAD src0_sel:WORD_1
	v_cvt_f32_f16_e32 v14, v80
	v_lshl_add_u32 v4, v0, 7, v45
	v_mov_b32_e32 v5, 0
	v_lshlrev_b64 v[4:5], 2, v[4:5]
	v_mov_b32_e32 v1, s29
	v_add_co_u32_e32 v16, vcc, s28, v4
	v_addc_co_u32_e32 v17, vcc, v1, v5, vcc
	v_pk_mul_f32 v[4:5], v[2:3], v[6:7] op_sel_hi:[0,1]
	v_pk_mul_f32 v[6:7], v[2:3], v[14:15] op_sel_hi:[0,1]
	global_store_dwordx4 v[16:17], v[4:7], off
	s_and_saveexec_b64 s[10:11], s[6:7]
	s_cbranch_execz .LBB52_144
; %bb.143:
	v_ashrrev_i32_e32 v1, 31, v0
	v_lshlrev_b64 v[0:1], 3, v[0:1]
	v_mov_b32_e32 v2, s31
	v_add_co_u32_e32 v0, vcc, s30, v0
	v_addc_co_u32_e32 v1, vcc, v2, v1, vcc
	v_mov_b32_e32 v2, v26
	v_mov_b32_e32 v3, v12
	global_store_dwordx2 v[0:1], v[2:3], off
.LBB52_144:
	s_or_b64 exec, exec, s[10:11]
	v_cmp_gt_i32_e32 vcc, s38, v50
	s_and_b64 exec, exec, vcc
	s_cbranch_execz .LBB52_169
; %bb.145:
	s_and_b64 vcc, exec, s[4:5]
	v_mov_b32_e32 v2, 1.0
	s_cbranch_vccnz .LBB52_147
; %bb.146:
	v_div_scale_f32 v0, s[10:11], v13, v13, 1.0
	v_rcp_f32_e32 v1, v0
	v_div_scale_f32 v2, vcc, 1.0, v13, 1.0
	v_fma_f32 v3, -v0, v1, 1.0
	v_fmac_f32_e32 v1, v3, v1
	v_mul_f32_e32 v3, v2, v1
	v_fma_f32 v4, -v0, v3, v2
	v_fmac_f32_e32 v3, v4, v1
	v_fma_f32 v0, -v0, v3, v2
	v_div_fmas_f32 v0, v0, v1, v3
	v_div_fixup_f32 v2, v0, v13, 1.0
.LBB52_147:
	v_add_u32_e32 v0, s12, v49
	v_mul_lo_u32 v0, v0, s39
	v_add_u32_e32 v0, s34, v0
	v_mul_lo_u32 v0, s8, v0
	v_add_u32_e32 v0, s9, v0
	v_cvt_f32_f16_sdwa v7, v71 dst_sel:DWORD dst_unused:UNUSED_PAD src0_sel:WORD_1
	v_cvt_f32_f16_e32 v6, v71
	v_cvt_f32_f16_sdwa v15, v72 dst_sel:DWORD dst_unused:UNUSED_PAD src0_sel:WORD_1
	v_cvt_f32_f16_e32 v14, v72
	v_lshl_add_u32 v4, v0, 7, v45
	v_mov_b32_e32 v5, 0
	v_lshlrev_b64 v[4:5], 2, v[4:5]
	v_mov_b32_e32 v1, s29
	v_add_co_u32_e32 v16, vcc, s28, v4
	v_addc_co_u32_e32 v17, vcc, v1, v5, vcc
	v_pk_mul_f32 v[4:5], v[2:3], v[6:7] op_sel_hi:[0,1]
	v_pk_mul_f32 v[6:7], v[2:3], v[14:15] op_sel_hi:[0,1]
	global_store_dwordx4 v[16:17], v[4:7], off
	s_and_saveexec_b64 s[10:11], s[6:7]
	s_cbranch_execz .LBB52_149
; %bb.148:
	v_ashrrev_i32_e32 v1, 31, v0
	v_lshlrev_b64 v[0:1], 3, v[0:1]
	v_mov_b32_e32 v2, s31
	v_add_co_u32_e32 v0, vcc, s30, v0
	v_addc_co_u32_e32 v1, vcc, v2, v1, vcc
	v_mov_b32_e32 v12, v27
	global_store_dwordx2 v[0:1], v[12:13], off
.LBB52_149:
	s_or_b64 exec, exec, s[10:11]
	v_cmp_gt_i32_e32 vcc, s38, v48
	s_and_b64 exec, exec, vcc
	s_cbranch_execz .LBB52_169
; %bb.150:
	s_and_b64 vcc, exec, s[4:5]
	v_mov_b32_e32 v2, 1.0
	s_cbranch_vccnz .LBB52_152
; %bb.151:
	v_div_scale_f32 v0, s[10:11], v10, v10, 1.0
	v_rcp_f32_e32 v1, v0
	v_div_scale_f32 v2, vcc, 1.0, v10, 1.0
	v_fma_f32 v3, -v0, v1, 1.0
	v_fmac_f32_e32 v1, v3, v1
	v_mul_f32_e32 v3, v2, v1
	v_fma_f32 v4, -v0, v3, v2
	v_fmac_f32_e32 v3, v4, v1
	v_fma_f32 v0, -v0, v3, v2
	v_div_fmas_f32 v0, v0, v1, v3
	v_div_fixup_f32 v2, v0, v10, 1.0
.LBB52_152:
	v_add_u32_e32 v0, s12, v47
	v_mul_lo_u32 v0, v0, s39
	v_add_u32_e32 v0, s34, v0
	v_mul_lo_u32 v0, s8, v0
	v_add_u32_e32 v0, s9, v0
	v_cvt_f32_f16_sdwa v7, v65 dst_sel:DWORD dst_unused:UNUSED_PAD src0_sel:WORD_1
	v_cvt_f32_f16_e32 v6, v65
	v_cvt_f32_f16_sdwa v13, v66 dst_sel:DWORD dst_unused:UNUSED_PAD src0_sel:WORD_1
	v_cvt_f32_f16_e32 v12, v66
	v_lshl_add_u32 v4, v0, 7, v45
	v_mov_b32_e32 v5, 0
	v_lshlrev_b64 v[4:5], 2, v[4:5]
	v_mov_b32_e32 v1, s29
	v_add_co_u32_e32 v14, vcc, s28, v4
	v_addc_co_u32_e32 v15, vcc, v1, v5, vcc
	v_pk_mul_f32 v[4:5], v[2:3], v[6:7] op_sel_hi:[0,1]
	v_pk_mul_f32 v[6:7], v[2:3], v[12:13] op_sel_hi:[0,1]
	global_store_dwordx4 v[14:15], v[4:7], off
	s_and_saveexec_b64 s[10:11], s[6:7]
	s_cbranch_execz .LBB52_154
; %bb.153:
	v_ashrrev_i32_e32 v1, 31, v0
	v_lshlrev_b64 v[0:1], 3, v[0:1]
	v_mov_b32_e32 v2, s31
	v_add_co_u32_e32 v0, vcc, s30, v0
	v_addc_co_u32_e32 v1, vcc, v2, v1, vcc
	v_mov_b32_e32 v2, v28
	v_mov_b32_e32 v3, v10
	global_store_dwordx2 v[0:1], v[2:3], off
.LBB52_154:
	s_or_b64 exec, exec, s[10:11]
	v_cmp_gt_i32_e32 vcc, s38, v46
	s_and_b64 exec, exec, vcc
	s_cbranch_execz .LBB52_169
; %bb.155:
	s_and_b64 vcc, exec, s[4:5]
	v_mov_b32_e32 v2, 1.0
	s_cbranch_vccnz .LBB52_157
; %bb.156:
	v_div_scale_f32 v0, s[10:11], v11, v11, 1.0
	v_rcp_f32_e32 v1, v0
	v_div_scale_f32 v2, vcc, 1.0, v11, 1.0
	v_fma_f32 v3, -v0, v1, 1.0
	v_fmac_f32_e32 v1, v3, v1
	v_mul_f32_e32 v3, v2, v1
	v_fma_f32 v4, -v0, v3, v2
	v_fmac_f32_e32 v3, v4, v1
	v_fma_f32 v0, -v0, v3, v2
	v_div_fmas_f32 v0, v0, v1, v3
	v_div_fixup_f32 v2, v0, v11, 1.0
.LBB52_157:
	v_add_u32_e32 v0, s12, v44
	v_mul_lo_u32 v0, v0, s39
	v_add_u32_e32 v0, s34, v0
	v_mul_lo_u32 v0, s8, v0
	v_add_u32_e32 v0, s9, v0
	v_cvt_f32_f16_sdwa v7, v64 dst_sel:DWORD dst_unused:UNUSED_PAD src0_sel:WORD_1
	v_cvt_f32_f16_e32 v6, v64
	v_cvt_f32_f16_sdwa v13, v63 dst_sel:DWORD dst_unused:UNUSED_PAD src0_sel:WORD_1
	v_cvt_f32_f16_e32 v12, v63
	v_lshl_add_u32 v4, v0, 7, v45
	v_mov_b32_e32 v5, 0
	v_lshlrev_b64 v[4:5], 2, v[4:5]
	v_mov_b32_e32 v1, s29
	v_add_co_u32_e32 v14, vcc, s28, v4
	v_addc_co_u32_e32 v15, vcc, v1, v5, vcc
	v_pk_mul_f32 v[4:5], v[2:3], v[6:7] op_sel_hi:[0,1]
	v_pk_mul_f32 v[6:7], v[2:3], v[12:13] op_sel_hi:[0,1]
	global_store_dwordx4 v[14:15], v[4:7], off
	s_and_saveexec_b64 s[10:11], s[6:7]
	s_cbranch_execz .LBB52_159
; %bb.158:
	v_ashrrev_i32_e32 v1, 31, v0
	v_lshlrev_b64 v[0:1], 3, v[0:1]
	v_mov_b32_e32 v2, s31
	v_add_co_u32_e32 v0, vcc, s30, v0
	v_addc_co_u32_e32 v1, vcc, v2, v1, vcc
	v_mov_b32_e32 v10, v29
	global_store_dwordx2 v[0:1], v[10:11], off
.LBB52_159:
	s_or_b64 exec, exec, s[10:11]
	v_cmp_gt_i32_e32 vcc, s38, v43
	s_and_b64 exec, exec, vcc
	s_cbranch_execz .LBB52_169
; %bb.160:
	s_and_b64 vcc, exec, s[4:5]
	v_mov_b32_e32 v2, 1.0
	s_cbranch_vccnz .LBB52_162
; %bb.161:
	v_div_scale_f32 v0, s[10:11], v8, v8, 1.0
	v_rcp_f32_e32 v1, v0
	v_div_scale_f32 v2, vcc, 1.0, v8, 1.0
	v_fma_f32 v3, -v0, v1, 1.0
	v_fmac_f32_e32 v1, v3, v1
	v_mul_f32_e32 v3, v2, v1
	v_fma_f32 v4, -v0, v3, v2
	v_fmac_f32_e32 v3, v4, v1
	v_fma_f32 v0, -v0, v3, v2
	v_div_fmas_f32 v0, v0, v1, v3
	v_div_fixup_f32 v2, v0, v8, 1.0
.LBB52_162:
	v_add_u32_e32 v0, s12, v42
	v_mul_lo_u32 v0, v0, s39
	v_add_u32_e32 v0, s34, v0
	v_mul_lo_u32 v0, s8, v0
	v_add_u32_e32 v0, s9, v0
	v_cvt_f32_f16_sdwa v7, v74 dst_sel:DWORD dst_unused:UNUSED_PAD src0_sel:WORD_1
	v_cvt_f32_f16_e32 v6, v74
	v_cvt_f32_f16_sdwa v11, v75 dst_sel:DWORD dst_unused:UNUSED_PAD src0_sel:WORD_1
	v_cvt_f32_f16_e32 v10, v75
	v_lshl_add_u32 v4, v0, 7, v45
	v_mov_b32_e32 v5, 0
	v_lshlrev_b64 v[4:5], 2, v[4:5]
	v_mov_b32_e32 v1, s29
	v_add_co_u32_e32 v12, vcc, s28, v4
	v_addc_co_u32_e32 v13, vcc, v1, v5, vcc
	v_pk_mul_f32 v[4:5], v[2:3], v[6:7] op_sel_hi:[0,1]
	v_pk_mul_f32 v[6:7], v[2:3], v[10:11] op_sel_hi:[0,1]
	global_store_dwordx4 v[12:13], v[4:7], off
	s_and_saveexec_b64 s[10:11], s[6:7]
	s_cbranch_execz .LBB52_164
; %bb.163:
	v_ashrrev_i32_e32 v1, 31, v0
	v_lshlrev_b64 v[0:1], 3, v[0:1]
	v_mov_b32_e32 v2, s31
	v_add_co_u32_e32 v0, vcc, s30, v0
	v_addc_co_u32_e32 v1, vcc, v2, v1, vcc
	v_mov_b32_e32 v2, v30
	v_mov_b32_e32 v3, v8
	global_store_dwordx2 v[0:1], v[2:3], off
.LBB52_164:
	s_or_b64 exec, exec, s[10:11]
	v_cmp_gt_i32_e32 vcc, s38, v41
	s_and_b64 exec, exec, vcc
	s_cbranch_execz .LBB52_169
; %bb.165:
	s_and_b64 vcc, exec, s[4:5]
	v_mov_b32_e32 v2, 1.0
	s_cbranch_vccnz .LBB52_167
; %bb.166:
	v_div_scale_f32 v0, s[4:5], v9, v9, 1.0
	v_rcp_f32_e32 v1, v0
	v_div_scale_f32 v2, vcc, 1.0, v9, 1.0
	v_fma_f32 v3, -v0, v1, 1.0
	v_fmac_f32_e32 v1, v3, v1
	v_mul_f32_e32 v3, v2, v1
	v_fma_f32 v4, -v0, v3, v2
	v_fmac_f32_e32 v3, v4, v1
	v_fma_f32 v0, -v0, v3, v2
	v_div_fmas_f32 v0, v0, v1, v3
	v_div_fixup_f32 v2, v0, v9, 1.0
.LBB52_167:
	v_add_u32_e32 v0, s12, v40
	v_mul_lo_u32 v0, v0, s39
	v_add_u32_e32 v0, s34, v0
	v_mul_lo_u32 v0, s8, v0
	v_add_u32_e32 v0, s9, v0
	v_cvt_f32_f16_sdwa v7, v69 dst_sel:DWORD dst_unused:UNUSED_PAD src0_sel:WORD_1
	v_cvt_f32_f16_e32 v6, v69
	v_cvt_f32_f16_sdwa v11, v68 dst_sel:DWORD dst_unused:UNUSED_PAD src0_sel:WORD_1
	v_cvt_f32_f16_e32 v10, v68
	v_lshl_add_u32 v4, v0, 7, v45
	v_mov_b32_e32 v5, 0
	v_lshlrev_b64 v[4:5], 2, v[4:5]
	v_mov_b32_e32 v1, s29
	v_add_co_u32_e32 v12, vcc, s28, v4
	v_addc_co_u32_e32 v13, vcc, v1, v5, vcc
	v_pk_mul_f32 v[4:5], v[2:3], v[6:7] op_sel_hi:[0,1]
	v_pk_mul_f32 v[6:7], v[2:3], v[10:11] op_sel_hi:[0,1]
	global_store_dwordx4 v[12:13], v[4:7], off
	s_and_b64 exec, exec, s[6:7]
	s_cbranch_execz .LBB52_169
; %bb.168:
	v_ashrrev_i32_e32 v1, 31, v0
	v_lshlrev_b64 v[0:1], 3, v[0:1]
	v_mov_b32_e32 v2, s31
	v_add_co_u32_e32 v0, vcc, s30, v0
	v_addc_co_u32_e32 v1, vcc, v2, v1, vcc
	v_mov_b32_e32 v8, v31
	global_store_dwordx2 v[0:1], v[8:9], off
.LBB52_169:
	s_endpgm
	.section	.rodata,"a",@progbits
	.p2align	6, 0x0
	.amdhsa_kernel _ZL15flash_attn_tileILi128ELi128ELi64ELi1ELb0EEvPKcS1_S1_S1_S1_PKiPfP15HIP_vector_typeIfLj2EEffffjfiS5_IjLj3EEiiiiiiiiiiiliiliiiiil
		.amdhsa_group_segment_fixed_size 29696
		.amdhsa_private_segment_fixed_size 32
		.amdhsa_kernarg_size 464
		.amdhsa_user_sgpr_count 8
		.amdhsa_user_sgpr_private_segment_buffer 1
		.amdhsa_user_sgpr_dispatch_ptr 0
		.amdhsa_user_sgpr_queue_ptr 0
		.amdhsa_user_sgpr_kernarg_segment_ptr 1
		.amdhsa_user_sgpr_dispatch_id 0
		.amdhsa_user_sgpr_flat_scratch_init 1
		.amdhsa_user_sgpr_kernarg_preload_length 0
		.amdhsa_user_sgpr_kernarg_preload_offset 0
		.amdhsa_user_sgpr_private_segment_size 0
		.amdhsa_uses_dynamic_stack 0
		.amdhsa_system_sgpr_private_segment_wavefront_offset 1
		.amdhsa_system_sgpr_workgroup_id_x 1
		.amdhsa_system_sgpr_workgroup_id_y 1
		.amdhsa_system_sgpr_workgroup_id_z 1
		.amdhsa_system_sgpr_workgroup_info 0
		.amdhsa_system_vgpr_workitem_id 1
		.amdhsa_next_free_vgpr 144
		.amdhsa_next_free_sgpr 56
		.amdhsa_accum_offset 144
		.amdhsa_reserve_vcc 1
		.amdhsa_reserve_flat_scratch 1
		.amdhsa_float_round_mode_32 0
		.amdhsa_float_round_mode_16_64 0
		.amdhsa_float_denorm_mode_32 3
		.amdhsa_float_denorm_mode_16_64 3
		.amdhsa_dx10_clamp 1
		.amdhsa_ieee_mode 1
		.amdhsa_fp16_overflow 0
		.amdhsa_tg_split 0
		.amdhsa_exception_fp_ieee_invalid_op 0
		.amdhsa_exception_fp_denorm_src 0
		.amdhsa_exception_fp_ieee_div_zero 0
		.amdhsa_exception_fp_ieee_overflow 0
		.amdhsa_exception_fp_ieee_underflow 0
		.amdhsa_exception_fp_ieee_inexact 0
		.amdhsa_exception_int_div_zero 0
	.end_amdhsa_kernel
	.section	.text._ZL15flash_attn_tileILi128ELi128ELi64ELi1ELb0EEvPKcS1_S1_S1_S1_PKiPfP15HIP_vector_typeIfLj2EEffffjfiS5_IjLj3EEiiiiiiiiiiiliiliiiiil,"axG",@progbits,_ZL15flash_attn_tileILi128ELi128ELi64ELi1ELb0EEvPKcS1_S1_S1_S1_PKiPfP15HIP_vector_typeIfLj2EEffffjfiS5_IjLj3EEiiiiiiiiiiiliiliiiiil,comdat
.Lfunc_end52:
	.size	_ZL15flash_attn_tileILi128ELi128ELi64ELi1ELb0EEvPKcS1_S1_S1_S1_PKiPfP15HIP_vector_typeIfLj2EEffffjfiS5_IjLj3EEiiiiiiiiiiiliiliiiiil, .Lfunc_end52-_ZL15flash_attn_tileILi128ELi128ELi64ELi1ELb0EEvPKcS1_S1_S1_S1_PKiPfP15HIP_vector_typeIfLj2EEffffjfiS5_IjLj3EEiiiiiiiiiiiliiliiiiil
                                        ; -- End function
	.section	.AMDGPU.csdata,"",@progbits
; Kernel info:
; codeLenInByte = 57896
; NumSgprs: 62
; NumVgprs: 144
; NumAgprs: 0
; TotalNumVgprs: 144
; ScratchSize: 32
; MemoryBound: 0
; FloatMode: 240
; IeeeMode: 1
; LDSByteSize: 29696 bytes/workgroup (compile time only)
; SGPRBlocks: 7
; VGPRBlocks: 17
; NumSGPRsForWavesPerEU: 62
; NumVGPRsForWavesPerEU: 144
; AccumOffset: 144
; Occupancy: 2
; WaveLimiterHint : 0
; COMPUTE_PGM_RSRC2:SCRATCH_EN: 1
; COMPUTE_PGM_RSRC2:USER_SGPR: 8
; COMPUTE_PGM_RSRC2:TRAP_HANDLER: 0
; COMPUTE_PGM_RSRC2:TGID_X_EN: 1
; COMPUTE_PGM_RSRC2:TGID_Y_EN: 1
; COMPUTE_PGM_RSRC2:TGID_Z_EN: 1
; COMPUTE_PGM_RSRC2:TIDIG_COMP_CNT: 1
; COMPUTE_PGM_RSRC3_GFX90A:ACCUM_OFFSET: 35
; COMPUTE_PGM_RSRC3_GFX90A:TG_SPLIT: 0
	.section	.text._ZL25flash_attn_mask_to_KV_maxILi64EEvPK7__half2Piiii,"axG",@progbits,_ZL25flash_attn_mask_to_KV_maxILi64EEvPK7__half2Piiii,comdat
	.globl	_ZL25flash_attn_mask_to_KV_maxILi64EEvPK7__half2Piiii ; -- Begin function _ZL25flash_attn_mask_to_KV_maxILi64EEvPK7__half2Piiii
	.p2align	8
	.type	_ZL25flash_attn_mask_to_KV_maxILi64EEvPK7__half2Piiii,@function
_ZL25flash_attn_mask_to_KV_maxILi64EEvPK7__half2Piiii: ; @_ZL25flash_attn_mask_to_KV_maxILi64EEvPK7__half2Piiii
; %bb.0:
	s_load_dwordx4 s[8:11], s[4:5], 0x0
	v_cmp_gt_u32_e32 vcc, 32, v0
	s_and_saveexec_b64 s[0:1], vcc
	s_cbranch_execz .LBB53_2
; %bb.1:
	v_lshlrev_b32_e32 v1, 2, v0
	v_mov_b32_e32 v2, 1
	ds_write_b32 v1, v2
.LBB53_2:
	s_or_b64 exec, exec, s[0:1]
	s_load_dwordx4 s[12:15], s[4:5], 0x10
	s_load_dword s33, s[4:5], 0x20
	v_and_b32_e32 v2, 31, v0
	v_lshlrev_b32_e32 v6, 2, v2
	v_lshrrev_b32_e32 v1, 3, v0
	s_waitcnt lgkmcnt(0)
	s_mul_i32 s1, s6, s13
	s_mul_i32 s0, s7, s14
	s_lshl_b32 s1, s1, 6
	s_add_i32 s0, s0, s1
	s_ashr_i32 s1, s0, 31
	s_lshl_b64 s[0:1], s[0:1], 2
	s_add_u32 s94, s8, s0
	s_addc_u32 s95, s9, s1
	v_cmp_eq_u32_e64 s[0:1], 0, v2
	v_mbcnt_lo_u32_b32 v2, -1, 0
	s_lshl_b32 s12, s12, 8
	s_mov_b64 s[4:5], 0
	v_mov_b32_e32 v3, 0
	s_movk_i32 s92, 0x204
	s_movk_i32 s93, 0x7fff
	;; [unrolled: 1-line block ×3, first 2 shown]
	v_mbcnt_hi_u32_b32 v7, -1, v2
	s_barrier
	s_waitcnt lgkmcnt(0)
                                        ; implicit-def: $sgpr2_sgpr3
	s_branch .LBB53_5
.LBB53_3:                               ;   in Loop: Header=BB53_5 Depth=1
	s_or_b64 exec, exec, s[8:9]
	s_waitcnt lgkmcnt(0)
	s_barrier
	ds_read_b32 v10, v6
	s_waitcnt lgkmcnt(0)
	s_barrier
	ds_bpermute_b32 v2, v2, v10
	v_cmp_ne_u32_e32 vcc, 0, v10
	s_waitcnt lgkmcnt(0)
	v_cmp_ne_u32_e64 s[2:3], 0, v2
	s_and_b64 s[2:3], vcc, s[2:3]
	v_cndmask_b32_e64 v2, 0, 1, s[2:3]
	ds_bpermute_b32 v2, v4, v2
	s_waitcnt lgkmcnt(0)
	v_cmp_ne_u32_e32 vcc, 0, v2
	s_and_b64 s[2:3], vcc, s[2:3]
	v_cndmask_b32_e64 v2, 0, 1, s[2:3]
	ds_bpermute_b32 v2, v5, v2
	s_waitcnt lgkmcnt(0)
	v_cmp_ne_u32_e32 vcc, 0, v2
	;; [unrolled: 5-line block ×3, first 2 shown]
	s_and_b64 s[2:3], vcc, s[2:3]
	v_cndmask_b32_e64 v2, 0, 1, s[2:3]
	ds_bpermute_b32 v2, v9, v2
	s_xor_b64 s[2:3], s[2:3], -1
	s_waitcnt lgkmcnt(0)
	v_cmp_eq_u32_e32 vcc, 0, v2
	s_or_b64 s[2:3], vcc, s[2:3]
.LBB53_4:                               ;   in Loop: Header=BB53_5 Depth=1
	s_and_b64 s[8:9], exec, s[2:3]
	s_or_b64 s[4:5], s[8:9], s[4:5]
	v_mov_b32_e32 v2, s12
	s_mov_b32 s12, s91
	s_andn2_b64 exec, exec, s[4:5]
	s_cbranch_execz .LBB53_260
.LBB53_5:                               ; =>This Inner Loop Header: Depth=1
	s_add_i32 s91, s12, 0xffffff00
	s_or_b64 s[2:3], s[2:3], exec
	s_cmp_lt_i32 s91, 0
	s_cbranch_scc1 .LBB53_4
; %bb.6:                                ;   in Loop: Header=BB53_5 Depth=1
	s_lshr_b32 s2, s91, 1
	v_add_u32_e32 v2, s2, v0
	v_lshlrev_b64 v[4:5], 2, v[2:3]
	v_mov_b32_e32 v8, s95
	v_add_co_u32_e32 v4, vcc, s94, v4
	v_addc_co_u32_e32 v5, vcc, v8, v5, vcc
	global_load_dword v4, v[4:5], off
	s_mov_b64 s[8:9], 0
	s_waitcnt vmcnt(0)
	v_cmp_class_f16_e64 s[2:3], v4, s92
	v_and_b32_sdwa v4, s93, v4 dst_sel:DWORD dst_unused:UNUSED_PAD src0_sel:DWORD src1_sel:WORD_1
	v_cmp_eq_f16_e32 vcc, s90, v4
	s_and_b64 s[14:15], s[2:3], vcc
	s_and_saveexec_b64 s[2:3], s[14:15]
	s_cbranch_execz .LBB53_258
; %bb.7:                                ;   in Loop: Header=BB53_5 Depth=1
	v_add_u32_e32 v4, s13, v2
	v_ashrrev_i32_e32 v5, 31, v4
	v_lshlrev_b64 v[8:9], 2, v[4:5]
	v_mov_b32_e32 v2, s95
	v_add_co_u32_e32 v8, vcc, s94, v8
	v_addc_co_u32_e32 v9, vcc, v2, v9, vcc
	global_load_dword v2, v[8:9], off
	s_mov_b64 s[14:15], 0
	s_waitcnt vmcnt(0)
	v_cmp_class_f16_e64 s[16:17], v2, s92
	s_and_saveexec_b64 s[8:9], s[16:17]
	s_cbranch_execz .LBB53_257
; %bb.8:                                ;   in Loop: Header=BB53_5 Depth=1
	v_cmp_class_f16_sdwa s[18:19], v2, s92 src0_sel:WORD_1 src1_sel:DWORD
	s_mov_b64 s[16:17], 0
	s_and_saveexec_b64 s[14:15], s[18:19]
	s_cbranch_execz .LBB53_256
; %bb.9:                                ;   in Loop: Header=BB53_5 Depth=1
	v_add_u32_e32 v4, s13, v4
	v_ashrrev_i32_e32 v5, 31, v4
	v_lshlrev_b64 v[8:9], 2, v[4:5]
	v_mov_b32_e32 v2, s95
	v_add_co_u32_e32 v8, vcc, s94, v8
	v_addc_co_u32_e32 v9, vcc, v2, v9, vcc
	global_load_dword v2, v[8:9], off
	s_mov_b64 s[18:19], 0
	s_waitcnt vmcnt(0)
	v_cmp_class_f16_e64 s[20:21], v2, s92
	s_and_saveexec_b64 s[16:17], s[20:21]
	s_cbranch_execz .LBB53_255
; %bb.10:                               ;   in Loop: Header=BB53_5 Depth=1
	v_cmp_class_f16_sdwa s[22:23], v2, s92 src0_sel:WORD_1 src1_sel:DWORD
	s_mov_b64 s[20:21], 0
	s_and_saveexec_b64 s[18:19], s[22:23]
	s_cbranch_execz .LBB53_254
; %bb.11:                               ;   in Loop: Header=BB53_5 Depth=1
	v_add_u32_e32 v4, s13, v4
	v_ashrrev_i32_e32 v5, 31, v4
	v_lshlrev_b64 v[8:9], 2, v[4:5]
	v_mov_b32_e32 v2, s95
	v_add_co_u32_e32 v8, vcc, s94, v8
	v_addc_co_u32_e32 v9, vcc, v2, v9, vcc
	global_load_dword v2, v[8:9], off
	s_mov_b64 s[22:23], 0
	s_waitcnt vmcnt(0)
	v_cmp_class_f16_e64 s[24:25], v2, s92
	s_and_saveexec_b64 s[20:21], s[24:25]
	s_cbranch_execz .LBB53_253
; %bb.12:                               ;   in Loop: Header=BB53_5 Depth=1
	v_cmp_class_f16_sdwa s[26:27], v2, s92 src0_sel:WORD_1 src1_sel:DWORD
	s_mov_b64 s[24:25], 0
	s_and_saveexec_b64 s[22:23], s[26:27]
	s_cbranch_execz .LBB53_252
; %bb.13:                               ;   in Loop: Header=BB53_5 Depth=1
	;; [unrolled: 18-line block ×17, first 2 shown]
	v_add_u32_e32 v4, s13, v4
	v_ashrrev_i32_e32 v5, 31, v4
	v_lshlrev_b64 v[8:9], 2, v[4:5]
	v_mov_b32_e32 v2, s95
	v_add_co_u32_e32 v8, vcc, s94, v8
	v_addc_co_u32_e32 v9, vcc, v2, v9, vcc
	global_load_dword v2, v[8:9], off
	s_mov_b64 s[88:89], 0
	s_waitcnt vmcnt(0)
	v_cmp_class_f16_e64 vcc, v2, s92
	s_mov_b64 s[86:87], exec
                                        ; implicit-def: $vgpr14 : SGPR spill to VGPR lane
	v_writelane_b32 v14, s86, 0
	s_and_b64 vcc, s[86:87], vcc
	v_writelane_b32 v14, s87, 1
	s_mov_b64 exec, vcc
	s_cbranch_execz .LBB53_221
; %bb.44:                               ;   in Loop: Header=BB53_5 Depth=1
	v_cmp_class_f16_sdwa s[88:89], v2, s92 src0_sel:WORD_1 src1_sel:DWORD
	s_mov_b64 vcc, 0
	s_mov_b64 s[86:87], exec
	v_writelane_b32 v14, s86, 2
	s_and_b64 s[88:89], s[86:87], s[88:89]
	v_writelane_b32 v14, s87, 3
	s_mov_b64 exec, s[88:89]
	s_cbranch_execz .LBB53_220
; %bb.45:                               ;   in Loop: Header=BB53_5 Depth=1
	v_add_u32_e32 v4, s13, v4
	v_ashrrev_i32_e32 v5, 31, v4
	v_lshlrev_b64 v[8:9], 2, v[4:5]
	v_mov_b32_e32 v2, s95
	v_add_co_u32_e32 v8, vcc, s94, v8
	v_addc_co_u32_e32 v9, vcc, v2, v9, vcc
	global_load_dword v2, v[8:9], off
	s_mov_b64 vcc, 0
	s_waitcnt vmcnt(0)
	v_cmp_class_f16_e64 s[88:89], v2, s92
	s_mov_b64 s[86:87], exec
	v_writelane_b32 v14, s86, 4
	s_and_b64 s[88:89], s[86:87], s[88:89]
	v_writelane_b32 v14, s87, 5
	s_mov_b64 exec, s[88:89]
	s_cbranch_execz .LBB53_219
; %bb.46:                               ;   in Loop: Header=BB53_5 Depth=1
	v_cmp_class_f16_sdwa s[88:89], v2, s92 src0_sel:WORD_1 src1_sel:DWORD
	s_mov_b64 vcc, 0
	s_mov_b64 s[86:87], exec
	v_writelane_b32 v14, s86, 6
	s_and_b64 s[88:89], s[86:87], s[88:89]
	v_writelane_b32 v14, s87, 7
	s_mov_b64 exec, s[88:89]
	s_cbranch_execz .LBB53_218
; %bb.47:                               ;   in Loop: Header=BB53_5 Depth=1
	v_add_u32_e32 v4, s13, v4
	v_ashrrev_i32_e32 v5, 31, v4
	v_lshlrev_b64 v[8:9], 2, v[4:5]
	v_mov_b32_e32 v2, s95
	v_add_co_u32_e32 v8, vcc, s94, v8
	v_addc_co_u32_e32 v9, vcc, v2, v9, vcc
	global_load_dword v2, v[8:9], off
	s_mov_b64 vcc, 0
	s_waitcnt vmcnt(0)
	v_cmp_class_f16_e64 s[88:89], v2, s92
	s_mov_b64 s[86:87], exec
	v_writelane_b32 v14, s86, 8
	s_and_b64 s[88:89], s[86:87], s[88:89]
	v_writelane_b32 v14, s87, 9
	s_mov_b64 exec, s[88:89]
	;; [unrolled: 26-line block ×15, first 2 shown]
	s_cbranch_execz .LBB53_191
; %bb.74:                               ;   in Loop: Header=BB53_5 Depth=1
	v_cmp_class_f16_sdwa s[88:89], v2, s92 src0_sel:WORD_1 src1_sel:DWORD
	s_mov_b64 vcc, 0
	s_mov_b64 s[86:87], exec
	v_writelane_b32 v14, s86, 62
	s_and_b64 s[88:89], s[86:87], s[88:89]
	v_writelane_b32 v14, s87, 63
	s_mov_b64 exec, s[88:89]
	s_cbranch_execz .LBB53_190
; %bb.75:                               ;   in Loop: Header=BB53_5 Depth=1
	v_add_u32_e32 v4, s13, v4
	v_ashrrev_i32_e32 v5, 31, v4
	v_lshlrev_b64 v[8:9], 2, v[4:5]
	v_mov_b32_e32 v2, s95
	v_add_co_u32_e32 v8, vcc, s94, v8
	v_addc_co_u32_e32 v9, vcc, v2, v9, vcc
	global_load_dword v2, v[8:9], off
	s_mov_b64 vcc, 0
	s_waitcnt vmcnt(0)
	v_cmp_class_f16_e64 s[88:89], v2, s92
	s_mov_b64 s[86:87], exec
                                        ; implicit-def: $vgpr13 : SGPR spill to VGPR lane
	v_writelane_b32 v13, s86, 0
	s_and_b64 s[88:89], s[86:87], s[88:89]
	v_writelane_b32 v13, s87, 1
	s_mov_b64 exec, s[88:89]
	s_cbranch_execz .LBB53_189
; %bb.76:                               ;   in Loop: Header=BB53_5 Depth=1
	v_cmp_class_f16_sdwa s[88:89], v2, s92 src0_sel:WORD_1 src1_sel:DWORD
	s_mov_b64 vcc, 0
	s_mov_b64 s[86:87], exec
	v_writelane_b32 v13, s86, 2
	s_and_b64 s[88:89], s[86:87], s[88:89]
	v_writelane_b32 v13, s87, 3
	s_mov_b64 exec, s[88:89]
	s_cbranch_execz .LBB53_188
; %bb.77:                               ;   in Loop: Header=BB53_5 Depth=1
	v_add_u32_e32 v4, s13, v4
	v_ashrrev_i32_e32 v5, 31, v4
	v_lshlrev_b64 v[8:9], 2, v[4:5]
	v_mov_b32_e32 v2, s95
	v_add_co_u32_e32 v8, vcc, s94, v8
	v_addc_co_u32_e32 v9, vcc, v2, v9, vcc
	global_load_dword v2, v[8:9], off
	s_mov_b64 vcc, 0
	s_waitcnt vmcnt(0)
	v_cmp_class_f16_e64 s[88:89], v2, s92
	s_mov_b64 s[86:87], exec
	v_writelane_b32 v13, s86, 4
	s_and_b64 s[88:89], s[86:87], s[88:89]
	v_writelane_b32 v13, s87, 5
	s_mov_b64 exec, s[88:89]
	s_cbranch_execz .LBB53_187
; %bb.78:                               ;   in Loop: Header=BB53_5 Depth=1
	v_cmp_class_f16_sdwa s[88:89], v2, s92 src0_sel:WORD_1 src1_sel:DWORD
	s_mov_b64 vcc, 0
	s_mov_b64 s[86:87], exec
	v_writelane_b32 v13, s86, 6
	s_and_b64 s[88:89], s[86:87], s[88:89]
	v_writelane_b32 v13, s87, 7
	s_mov_b64 exec, s[88:89]
	s_cbranch_execz .LBB53_186
; %bb.79:                               ;   in Loop: Header=BB53_5 Depth=1
	v_add_u32_e32 v4, s13, v4
	v_ashrrev_i32_e32 v5, 31, v4
	v_lshlrev_b64 v[8:9], 2, v[4:5]
	v_mov_b32_e32 v2, s95
	v_add_co_u32_e32 v8, vcc, s94, v8
	v_addc_co_u32_e32 v9, vcc, v2, v9, vcc
	global_load_dword v2, v[8:9], off
	s_mov_b64 vcc, 0
	s_waitcnt vmcnt(0)
	v_cmp_class_f16_e64 s[88:89], v2, s92
	s_mov_b64 s[86:87], exec
	;; [unrolled: 26-line block ×12, first 2 shown]
	v_writelane_b32 v13, s86, 48
	s_and_b64 s[88:89], s[86:87], s[88:89]
	v_writelane_b32 v13, s87, 49
	s_mov_b64 exec, s[88:89]
	s_cbranch_execz .LBB53_165
; %bb.100:                              ;   in Loop: Header=BB53_5 Depth=1
	v_cmp_class_f16_sdwa s[88:89], v2, s92 src0_sel:WORD_1 src1_sel:DWORD
	s_mov_b64 vcc, 0
	s_mov_b64 s[86:87], exec
	v_writelane_b32 v13, s86, 50
	s_and_b64 s[88:89], s[86:87], s[88:89]
	v_writelane_b32 v13, s87, 51
	s_mov_b64 exec, s[88:89]
	s_cbranch_execz .LBB53_164
; %bb.101:                              ;   in Loop: Header=BB53_5 Depth=1
	v_add_u32_e32 v4, s13, v4
	v_ashrrev_i32_e32 v5, 31, v4
	v_lshlrev_b64 v[8:9], 2, v[4:5]
	v_mov_b32_e32 v2, s95
	v_add_co_u32_e32 v8, vcc, s94, v8
	v_addc_co_u32_e32 v9, vcc, v2, v9, vcc
	global_load_dword v2, v[8:9], off
	s_mov_b64 vcc, 0
	s_waitcnt vmcnt(0)
	v_cmp_class_f16_e64 s[88:89], v2, s92
	s_mov_b64 s[86:87], exec
	v_writelane_b32 v13, s86, 52
	s_and_b64 s[88:89], s[86:87], s[88:89]
	v_writelane_b32 v13, s87, 53
	s_mov_b64 exec, s[88:89]
	s_cbranch_execz .LBB53_163
; %bb.102:                              ;   in Loop: Header=BB53_5 Depth=1
	v_cmp_class_f16_sdwa s[88:89], v2, s92 src0_sel:WORD_1 src1_sel:DWORD
	s_mov_b64 vcc, 0
	s_mov_b64 s[86:87], exec
	v_writelane_b32 v13, s86, 54
	s_and_b64 s[88:89], s[86:87], s[88:89]
	v_writelane_b32 v13, s87, 55
	s_mov_b64 exec, s[88:89]
	s_cbranch_execz .LBB53_162
; %bb.103:                              ;   in Loop: Header=BB53_5 Depth=1
	v_add_u32_e32 v4, s13, v4
	v_ashrrev_i32_e32 v5, 31, v4
	v_lshlrev_b64 v[8:9], 2, v[4:5]
	v_mov_b32_e32 v2, s95
	v_add_co_u32_e32 v8, vcc, s94, v8
	v_addc_co_u32_e32 v9, vcc, v2, v9, vcc
	global_load_dword v2, v[8:9], off
	s_mov_b64 vcc, 0
	s_waitcnt vmcnt(0)
	v_cmp_class_f16_e64 s[88:89], v2, s92
	s_mov_b64 s[86:87], exec
	;; [unrolled: 26-line block ×4, first 2 shown]
                                        ; implicit-def: $vgpr12 : SGPR spill to VGPR lane
	v_writelane_b32 v12, s86, 0
	s_and_b64 s[88:89], s[86:87], s[88:89]
	v_writelane_b32 v12, s87, 1
	s_mov_b64 exec, s[88:89]
	s_cbranch_execz .LBB53_157
; %bb.108:                              ;   in Loop: Header=BB53_5 Depth=1
	v_cmp_class_f16_sdwa s[88:89], v2, s92 src0_sel:WORD_1 src1_sel:DWORD
	s_mov_b64 vcc, 0
	s_mov_b64 s[86:87], exec
	v_writelane_b32 v12, s86, 2
	s_and_b64 s[88:89], s[86:87], s[88:89]
	v_writelane_b32 v12, s87, 3
	s_mov_b64 exec, s[88:89]
	s_cbranch_execz .LBB53_156
; %bb.109:                              ;   in Loop: Header=BB53_5 Depth=1
	v_add_u32_e32 v4, s13, v4
	v_ashrrev_i32_e32 v5, 31, v4
	v_lshlrev_b64 v[8:9], 2, v[4:5]
	v_mov_b32_e32 v2, s95
	v_add_co_u32_e32 v8, vcc, s94, v8
	v_addc_co_u32_e32 v9, vcc, v2, v9, vcc
	global_load_dword v2, v[8:9], off
	s_mov_b64 vcc, 0
	s_waitcnt vmcnt(0)
	v_cmp_class_f16_e64 s[88:89], v2, s92
	s_mov_b64 s[86:87], exec
	v_writelane_b32 v12, s86, 4
	s_and_b64 s[88:89], s[86:87], s[88:89]
	v_writelane_b32 v12, s87, 5
	s_mov_b64 exec, s[88:89]
	s_cbranch_execz .LBB53_155
; %bb.110:                              ;   in Loop: Header=BB53_5 Depth=1
	v_cmp_class_f16_sdwa s[88:89], v2, s92 src0_sel:WORD_1 src1_sel:DWORD
	s_mov_b64 vcc, 0
	s_mov_b64 s[86:87], exec
	v_writelane_b32 v12, s86, 6
	s_and_b64 s[88:89], s[86:87], s[88:89]
	v_writelane_b32 v12, s87, 7
	s_mov_b64 exec, s[88:89]
	s_cbranch_execz .LBB53_154
; %bb.111:                              ;   in Loop: Header=BB53_5 Depth=1
	v_add_u32_e32 v4, s13, v4
	v_ashrrev_i32_e32 v5, 31, v4
	v_lshlrev_b64 v[8:9], 2, v[4:5]
	v_mov_b32_e32 v2, s95
	v_add_co_u32_e32 v8, vcc, s94, v8
	v_addc_co_u32_e32 v9, vcc, v2, v9, vcc
	global_load_dword v2, v[8:9], off
	s_mov_b64 vcc, 0
	s_waitcnt vmcnt(0)
	v_cmp_class_f16_e64 s[88:89], v2, s92
	s_mov_b64 s[86:87], exec
	;; [unrolled: 26-line block ×11, first 2 shown]
	v_writelane_b32 v12, s86, 44
	s_and_b64 s[88:89], s[86:87], s[88:89]
	v_writelane_b32 v12, s87, 45
	s_mov_b64 exec, s[88:89]
	s_cbranch_execz .LBB53_135
; %bb.130:                              ;   in Loop: Header=BB53_5 Depth=1
	v_cmp_class_f16_sdwa s[88:89], v2, s92 src0_sel:WORD_1 src1_sel:DWORD
	s_mov_b64 vcc, 0
	s_mov_b64 s[86:87], exec
	v_writelane_b32 v12, s86, 46
	s_and_b64 s[88:89], s[86:87], s[88:89]
	v_writelane_b32 v12, s87, 47
	s_mov_b64 exec, s[88:89]
	s_cbranch_execz .LBB53_134
; %bb.131:                              ;   in Loop: Header=BB53_5 Depth=1
	v_add_u32_e32 v4, s13, v4
	v_ashrrev_i32_e32 v5, 31, v4
	v_lshlrev_b64 v[4:5], 2, v[4:5]
	v_mov_b32_e32 v2, s95
	v_add_co_u32_e32 v4, vcc, s94, v4
	v_addc_co_u32_e32 v5, vcc, v2, v5, vcc
	global_load_dword v2, v[4:5], off
	s_mov_b64 vcc, 0
	s_waitcnt vmcnt(0)
	v_cmp_class_f16_e64 s[88:89], v2, s92
	s_and_saveexec_b64 s[86:87], s[88:89]
; %bb.132:                              ;   in Loop: Header=BB53_5 Depth=1
	v_cmp_class_f16_sdwa s[88:89], v2, s92 src0_sel:WORD_1 src1_sel:DWORD
	s_and_b64 vcc, s[88:89], exec
; %bb.133:                              ;   in Loop: Header=BB53_5 Depth=1
	s_or_b64 exec, exec, s[86:87]
	s_and_b64 vcc, vcc, exec
.LBB53_134:                             ;   in Loop: Header=BB53_5 Depth=1
	v_readlane_b32 s88, v12, 46
	v_readlane_b32 s89, v12, 47
	s_or_b64 exec, exec, s[88:89]
	s_and_b64 vcc, vcc, exec
.LBB53_135:                             ;   in Loop: Header=BB53_5 Depth=1
	v_readlane_b32 s86, v12, 44
	v_readlane_b32 s87, v12, 45
	s_or_b64 exec, exec, s[86:87]
	s_and_b64 vcc, vcc, exec
.LBB53_136:                             ;   in Loop: Header=BB53_5 Depth=1
	v_readlane_b32 s88, v12, 42
	v_readlane_b32 s89, v12, 43
	s_or_b64 exec, exec, s[88:89]
	s_and_b64 vcc, vcc, exec
.LBB53_137:                             ;   in Loop: Header=BB53_5 Depth=1
	v_readlane_b32 s86, v12, 40
	v_readlane_b32 s87, v12, 41
	s_or_b64 exec, exec, s[86:87]
	s_and_b64 vcc, vcc, exec
.LBB53_138:                             ;   in Loop: Header=BB53_5 Depth=1
	v_readlane_b32 s88, v12, 38
	v_readlane_b32 s89, v12, 39
	s_or_b64 exec, exec, s[88:89]
	s_and_b64 vcc, vcc, exec
.LBB53_139:                             ;   in Loop: Header=BB53_5 Depth=1
	v_readlane_b32 s86, v12, 36
	v_readlane_b32 s87, v12, 37
	s_or_b64 exec, exec, s[86:87]
	s_and_b64 vcc, vcc, exec
.LBB53_140:                             ;   in Loop: Header=BB53_5 Depth=1
	v_readlane_b32 s88, v12, 34
	v_readlane_b32 s89, v12, 35
	s_or_b64 exec, exec, s[88:89]
	s_and_b64 vcc, vcc, exec
.LBB53_141:                             ;   in Loop: Header=BB53_5 Depth=1
	v_readlane_b32 s86, v12, 32
	v_readlane_b32 s87, v12, 33
	s_or_b64 exec, exec, s[86:87]
	s_and_b64 vcc, vcc, exec
.LBB53_142:                             ;   in Loop: Header=BB53_5 Depth=1
	v_readlane_b32 s88, v12, 30
	v_readlane_b32 s89, v12, 31
	s_or_b64 exec, exec, s[88:89]
	s_and_b64 vcc, vcc, exec
.LBB53_143:                             ;   in Loop: Header=BB53_5 Depth=1
	v_readlane_b32 s86, v12, 28
	v_readlane_b32 s87, v12, 29
	s_or_b64 exec, exec, s[86:87]
	s_and_b64 vcc, vcc, exec
.LBB53_144:                             ;   in Loop: Header=BB53_5 Depth=1
	v_readlane_b32 s88, v12, 26
	v_readlane_b32 s89, v12, 27
	s_or_b64 exec, exec, s[88:89]
	s_and_b64 vcc, vcc, exec
.LBB53_145:                             ;   in Loop: Header=BB53_5 Depth=1
	v_readlane_b32 s86, v12, 24
	v_readlane_b32 s87, v12, 25
	s_or_b64 exec, exec, s[86:87]
	s_and_b64 vcc, vcc, exec
.LBB53_146:                             ;   in Loop: Header=BB53_5 Depth=1
	v_readlane_b32 s88, v12, 22
	v_readlane_b32 s89, v12, 23
	s_or_b64 exec, exec, s[88:89]
	s_and_b64 vcc, vcc, exec
.LBB53_147:                             ;   in Loop: Header=BB53_5 Depth=1
	v_readlane_b32 s86, v12, 20
	v_readlane_b32 s87, v12, 21
	s_or_b64 exec, exec, s[86:87]
	s_and_b64 vcc, vcc, exec
.LBB53_148:                             ;   in Loop: Header=BB53_5 Depth=1
	v_readlane_b32 s88, v12, 18
	v_readlane_b32 s89, v12, 19
	s_or_b64 exec, exec, s[88:89]
	s_and_b64 vcc, vcc, exec
.LBB53_149:                             ;   in Loop: Header=BB53_5 Depth=1
	v_readlane_b32 s86, v12, 16
	v_readlane_b32 s87, v12, 17
	s_or_b64 exec, exec, s[86:87]
	s_and_b64 vcc, vcc, exec
.LBB53_150:                             ;   in Loop: Header=BB53_5 Depth=1
	v_readlane_b32 s88, v12, 14
	v_readlane_b32 s89, v12, 15
	s_or_b64 exec, exec, s[88:89]
	s_and_b64 vcc, vcc, exec
.LBB53_151:                             ;   in Loop: Header=BB53_5 Depth=1
	v_readlane_b32 s86, v12, 12
	v_readlane_b32 s87, v12, 13
	s_or_b64 exec, exec, s[86:87]
	s_and_b64 vcc, vcc, exec
.LBB53_152:                             ;   in Loop: Header=BB53_5 Depth=1
	v_readlane_b32 s88, v12, 10
	v_readlane_b32 s89, v12, 11
	s_or_b64 exec, exec, s[88:89]
	s_and_b64 vcc, vcc, exec
.LBB53_153:                             ;   in Loop: Header=BB53_5 Depth=1
	v_readlane_b32 s86, v12, 8
	v_readlane_b32 s87, v12, 9
	s_or_b64 exec, exec, s[86:87]
	s_and_b64 vcc, vcc, exec
.LBB53_154:                             ;   in Loop: Header=BB53_5 Depth=1
	v_readlane_b32 s88, v12, 6
	v_readlane_b32 s89, v12, 7
	s_or_b64 exec, exec, s[88:89]
	s_and_b64 vcc, vcc, exec
.LBB53_155:                             ;   in Loop: Header=BB53_5 Depth=1
	v_readlane_b32 s86, v12, 4
	v_readlane_b32 s87, v12, 5
	s_or_b64 exec, exec, s[86:87]
	s_and_b64 vcc, vcc, exec
.LBB53_156:                             ;   in Loop: Header=BB53_5 Depth=1
	v_readlane_b32 s88, v12, 2
	v_readlane_b32 s89, v12, 3
	s_or_b64 exec, exec, s[88:89]
	s_and_b64 vcc, vcc, exec
.LBB53_157:                             ;   in Loop: Header=BB53_5 Depth=1
	v_readlane_b32 s86, v12, 0
	v_readlane_b32 s87, v12, 1
	s_or_b64 exec, exec, s[86:87]
	s_and_b64 vcc, vcc, exec
.LBB53_158:                             ;   in Loop: Header=BB53_5 Depth=1
	v_readlane_b32 s88, v13, 62
	v_readlane_b32 s89, v13, 63
	s_or_b64 exec, exec, s[88:89]
	s_and_b64 vcc, vcc, exec
.LBB53_159:                             ;   in Loop: Header=BB53_5 Depth=1
	v_readlane_b32 s86, v13, 60
	v_readlane_b32 s87, v13, 61
	s_or_b64 exec, exec, s[86:87]
	s_and_b64 vcc, vcc, exec
.LBB53_160:                             ;   in Loop: Header=BB53_5 Depth=1
	v_readlane_b32 s88, v13, 58
	v_readlane_b32 s89, v13, 59
	s_or_b64 exec, exec, s[88:89]
	s_and_b64 vcc, vcc, exec
.LBB53_161:                             ;   in Loop: Header=BB53_5 Depth=1
	v_readlane_b32 s86, v13, 56
	v_readlane_b32 s87, v13, 57
	s_or_b64 exec, exec, s[86:87]
	s_and_b64 vcc, vcc, exec
.LBB53_162:                             ;   in Loop: Header=BB53_5 Depth=1
	v_readlane_b32 s88, v13, 54
	v_readlane_b32 s89, v13, 55
	s_or_b64 exec, exec, s[88:89]
	s_and_b64 vcc, vcc, exec
.LBB53_163:                             ;   in Loop: Header=BB53_5 Depth=1
	v_readlane_b32 s86, v13, 52
	v_readlane_b32 s87, v13, 53
	s_or_b64 exec, exec, s[86:87]
	s_and_b64 vcc, vcc, exec
.LBB53_164:                             ;   in Loop: Header=BB53_5 Depth=1
	v_readlane_b32 s88, v13, 50
	v_readlane_b32 s89, v13, 51
	s_or_b64 exec, exec, s[88:89]
	s_and_b64 vcc, vcc, exec
.LBB53_165:                             ;   in Loop: Header=BB53_5 Depth=1
	v_readlane_b32 s86, v13, 48
	v_readlane_b32 s87, v13, 49
	s_or_b64 exec, exec, s[86:87]
	s_and_b64 vcc, vcc, exec
.LBB53_166:                             ;   in Loop: Header=BB53_5 Depth=1
	v_readlane_b32 s88, v13, 46
	v_readlane_b32 s89, v13, 47
	s_or_b64 exec, exec, s[88:89]
	s_and_b64 vcc, vcc, exec
.LBB53_167:                             ;   in Loop: Header=BB53_5 Depth=1
	v_readlane_b32 s86, v13, 44
	v_readlane_b32 s87, v13, 45
	s_or_b64 exec, exec, s[86:87]
	s_and_b64 vcc, vcc, exec
.LBB53_168:                             ;   in Loop: Header=BB53_5 Depth=1
	v_readlane_b32 s88, v13, 42
	v_readlane_b32 s89, v13, 43
	s_or_b64 exec, exec, s[88:89]
	s_and_b64 vcc, vcc, exec
.LBB53_169:                             ;   in Loop: Header=BB53_5 Depth=1
	v_readlane_b32 s86, v13, 40
	v_readlane_b32 s87, v13, 41
	s_or_b64 exec, exec, s[86:87]
	s_and_b64 vcc, vcc, exec
.LBB53_170:                             ;   in Loop: Header=BB53_5 Depth=1
	v_readlane_b32 s88, v13, 38
	v_readlane_b32 s89, v13, 39
	s_or_b64 exec, exec, s[88:89]
	s_and_b64 vcc, vcc, exec
.LBB53_171:                             ;   in Loop: Header=BB53_5 Depth=1
	v_readlane_b32 s86, v13, 36
	v_readlane_b32 s87, v13, 37
	s_or_b64 exec, exec, s[86:87]
	s_and_b64 vcc, vcc, exec
.LBB53_172:                             ;   in Loop: Header=BB53_5 Depth=1
	v_readlane_b32 s88, v13, 34
	v_readlane_b32 s89, v13, 35
	s_or_b64 exec, exec, s[88:89]
	s_and_b64 vcc, vcc, exec
.LBB53_173:                             ;   in Loop: Header=BB53_5 Depth=1
	v_readlane_b32 s86, v13, 32
	v_readlane_b32 s87, v13, 33
	s_or_b64 exec, exec, s[86:87]
	s_and_b64 vcc, vcc, exec
.LBB53_174:                             ;   in Loop: Header=BB53_5 Depth=1
	v_readlane_b32 s88, v13, 30
	v_readlane_b32 s89, v13, 31
	s_or_b64 exec, exec, s[88:89]
	s_and_b64 vcc, vcc, exec
.LBB53_175:                             ;   in Loop: Header=BB53_5 Depth=1
	v_readlane_b32 s86, v13, 28
	v_readlane_b32 s87, v13, 29
	s_or_b64 exec, exec, s[86:87]
	s_and_b64 vcc, vcc, exec
.LBB53_176:                             ;   in Loop: Header=BB53_5 Depth=1
	v_readlane_b32 s88, v13, 26
	v_readlane_b32 s89, v13, 27
	s_or_b64 exec, exec, s[88:89]
	s_and_b64 vcc, vcc, exec
.LBB53_177:                             ;   in Loop: Header=BB53_5 Depth=1
	v_readlane_b32 s86, v13, 24
	v_readlane_b32 s87, v13, 25
	s_or_b64 exec, exec, s[86:87]
	s_and_b64 vcc, vcc, exec
.LBB53_178:                             ;   in Loop: Header=BB53_5 Depth=1
	v_readlane_b32 s88, v13, 22
	v_readlane_b32 s89, v13, 23
	s_or_b64 exec, exec, s[88:89]
	s_and_b64 vcc, vcc, exec
.LBB53_179:                             ;   in Loop: Header=BB53_5 Depth=1
	v_readlane_b32 s86, v13, 20
	v_readlane_b32 s87, v13, 21
	s_or_b64 exec, exec, s[86:87]
	s_and_b64 vcc, vcc, exec
.LBB53_180:                             ;   in Loop: Header=BB53_5 Depth=1
	v_readlane_b32 s88, v13, 18
	v_readlane_b32 s89, v13, 19
	s_or_b64 exec, exec, s[88:89]
	s_and_b64 vcc, vcc, exec
.LBB53_181:                             ;   in Loop: Header=BB53_5 Depth=1
	v_readlane_b32 s86, v13, 16
	v_readlane_b32 s87, v13, 17
	s_or_b64 exec, exec, s[86:87]
	s_and_b64 vcc, vcc, exec
.LBB53_182:                             ;   in Loop: Header=BB53_5 Depth=1
	v_readlane_b32 s88, v13, 14
	v_readlane_b32 s89, v13, 15
	s_or_b64 exec, exec, s[88:89]
	s_and_b64 vcc, vcc, exec
.LBB53_183:                             ;   in Loop: Header=BB53_5 Depth=1
	v_readlane_b32 s86, v13, 12
	v_readlane_b32 s87, v13, 13
	s_or_b64 exec, exec, s[86:87]
	s_and_b64 vcc, vcc, exec
.LBB53_184:                             ;   in Loop: Header=BB53_5 Depth=1
	v_readlane_b32 s88, v13, 10
	v_readlane_b32 s89, v13, 11
	s_or_b64 exec, exec, s[88:89]
	s_and_b64 vcc, vcc, exec
.LBB53_185:                             ;   in Loop: Header=BB53_5 Depth=1
	v_readlane_b32 s86, v13, 8
	v_readlane_b32 s87, v13, 9
	s_or_b64 exec, exec, s[86:87]
	s_and_b64 vcc, vcc, exec
.LBB53_186:                             ;   in Loop: Header=BB53_5 Depth=1
	v_readlane_b32 s88, v13, 6
	v_readlane_b32 s89, v13, 7
	s_or_b64 exec, exec, s[88:89]
	s_and_b64 vcc, vcc, exec
.LBB53_187:                             ;   in Loop: Header=BB53_5 Depth=1
	v_readlane_b32 s86, v13, 4
	v_readlane_b32 s87, v13, 5
	s_or_b64 exec, exec, s[86:87]
	s_and_b64 vcc, vcc, exec
.LBB53_188:                             ;   in Loop: Header=BB53_5 Depth=1
	v_readlane_b32 s88, v13, 2
	v_readlane_b32 s89, v13, 3
	s_or_b64 exec, exec, s[88:89]
	s_and_b64 vcc, vcc, exec
.LBB53_189:                             ;   in Loop: Header=BB53_5 Depth=1
	v_readlane_b32 s86, v13, 0
	v_readlane_b32 s87, v13, 1
	s_or_b64 exec, exec, s[86:87]
	s_and_b64 vcc, vcc, exec
.LBB53_190:                             ;   in Loop: Header=BB53_5 Depth=1
	v_readlane_b32 s88, v14, 62
	v_readlane_b32 s89, v14, 63
	s_or_b64 exec, exec, s[88:89]
	s_and_b64 vcc, vcc, exec
.LBB53_191:                             ;   in Loop: Header=BB53_5 Depth=1
	v_readlane_b32 s86, v14, 60
	v_readlane_b32 s87, v14, 61
	s_or_b64 exec, exec, s[86:87]
	s_and_b64 vcc, vcc, exec
.LBB53_192:                             ;   in Loop: Header=BB53_5 Depth=1
	v_readlane_b32 s88, v14, 58
	v_readlane_b32 s89, v14, 59
	s_or_b64 exec, exec, s[88:89]
	s_and_b64 vcc, vcc, exec
.LBB53_193:                             ;   in Loop: Header=BB53_5 Depth=1
	v_readlane_b32 s86, v14, 56
	v_readlane_b32 s87, v14, 57
	s_or_b64 exec, exec, s[86:87]
	s_and_b64 vcc, vcc, exec
.LBB53_194:                             ;   in Loop: Header=BB53_5 Depth=1
	v_readlane_b32 s88, v14, 54
	v_readlane_b32 s89, v14, 55
	s_or_b64 exec, exec, s[88:89]
	s_and_b64 vcc, vcc, exec
.LBB53_195:                             ;   in Loop: Header=BB53_5 Depth=1
	v_readlane_b32 s86, v14, 52
	v_readlane_b32 s87, v14, 53
	s_or_b64 exec, exec, s[86:87]
	s_and_b64 vcc, vcc, exec
.LBB53_196:                             ;   in Loop: Header=BB53_5 Depth=1
	v_readlane_b32 s88, v14, 50
	v_readlane_b32 s89, v14, 51
	s_or_b64 exec, exec, s[88:89]
	s_and_b64 vcc, vcc, exec
.LBB53_197:                             ;   in Loop: Header=BB53_5 Depth=1
	v_readlane_b32 s86, v14, 48
	v_readlane_b32 s87, v14, 49
	s_or_b64 exec, exec, s[86:87]
	s_and_b64 vcc, vcc, exec
.LBB53_198:                             ;   in Loop: Header=BB53_5 Depth=1
	v_readlane_b32 s88, v14, 46
	v_readlane_b32 s89, v14, 47
	s_or_b64 exec, exec, s[88:89]
	s_and_b64 vcc, vcc, exec
.LBB53_199:                             ;   in Loop: Header=BB53_5 Depth=1
	v_readlane_b32 s86, v14, 44
	v_readlane_b32 s87, v14, 45
	s_or_b64 exec, exec, s[86:87]
	s_and_b64 vcc, vcc, exec
.LBB53_200:                             ;   in Loop: Header=BB53_5 Depth=1
	v_readlane_b32 s88, v14, 42
	v_readlane_b32 s89, v14, 43
	s_or_b64 exec, exec, s[88:89]
	s_and_b64 vcc, vcc, exec
.LBB53_201:                             ;   in Loop: Header=BB53_5 Depth=1
	v_readlane_b32 s86, v14, 40
	v_readlane_b32 s87, v14, 41
	s_or_b64 exec, exec, s[86:87]
	s_and_b64 vcc, vcc, exec
.LBB53_202:                             ;   in Loop: Header=BB53_5 Depth=1
	v_readlane_b32 s88, v14, 38
	v_readlane_b32 s89, v14, 39
	s_or_b64 exec, exec, s[88:89]
	s_and_b64 vcc, vcc, exec
.LBB53_203:                             ;   in Loop: Header=BB53_5 Depth=1
	v_readlane_b32 s86, v14, 36
	v_readlane_b32 s87, v14, 37
	s_or_b64 exec, exec, s[86:87]
	s_and_b64 vcc, vcc, exec
.LBB53_204:                             ;   in Loop: Header=BB53_5 Depth=1
	v_readlane_b32 s88, v14, 34
	v_readlane_b32 s89, v14, 35
	s_or_b64 exec, exec, s[88:89]
	s_and_b64 vcc, vcc, exec
.LBB53_205:                             ;   in Loop: Header=BB53_5 Depth=1
	v_readlane_b32 s86, v14, 32
	v_readlane_b32 s87, v14, 33
	s_or_b64 exec, exec, s[86:87]
	s_and_b64 vcc, vcc, exec
.LBB53_206:                             ;   in Loop: Header=BB53_5 Depth=1
	v_readlane_b32 s88, v14, 30
	v_readlane_b32 s89, v14, 31
	s_or_b64 exec, exec, s[88:89]
	s_and_b64 vcc, vcc, exec
.LBB53_207:                             ;   in Loop: Header=BB53_5 Depth=1
	v_readlane_b32 s86, v14, 28
	v_readlane_b32 s87, v14, 29
	s_or_b64 exec, exec, s[86:87]
	s_and_b64 vcc, vcc, exec
.LBB53_208:                             ;   in Loop: Header=BB53_5 Depth=1
	v_readlane_b32 s88, v14, 26
	v_readlane_b32 s89, v14, 27
	s_or_b64 exec, exec, s[88:89]
	s_and_b64 vcc, vcc, exec
.LBB53_209:                             ;   in Loop: Header=BB53_5 Depth=1
	v_readlane_b32 s86, v14, 24
	v_readlane_b32 s87, v14, 25
	s_or_b64 exec, exec, s[86:87]
	s_and_b64 vcc, vcc, exec
.LBB53_210:                             ;   in Loop: Header=BB53_5 Depth=1
	v_readlane_b32 s88, v14, 22
	v_readlane_b32 s89, v14, 23
	s_or_b64 exec, exec, s[88:89]
	s_and_b64 vcc, vcc, exec
.LBB53_211:                             ;   in Loop: Header=BB53_5 Depth=1
	v_readlane_b32 s86, v14, 20
	v_readlane_b32 s87, v14, 21
	s_or_b64 exec, exec, s[86:87]
	s_and_b64 vcc, vcc, exec
.LBB53_212:                             ;   in Loop: Header=BB53_5 Depth=1
	v_readlane_b32 s88, v14, 18
	v_readlane_b32 s89, v14, 19
	s_or_b64 exec, exec, s[88:89]
	s_and_b64 vcc, vcc, exec
.LBB53_213:                             ;   in Loop: Header=BB53_5 Depth=1
	v_readlane_b32 s86, v14, 16
	v_readlane_b32 s87, v14, 17
	s_or_b64 exec, exec, s[86:87]
	s_and_b64 vcc, vcc, exec
.LBB53_214:                             ;   in Loop: Header=BB53_5 Depth=1
	v_readlane_b32 s88, v14, 14
	v_readlane_b32 s89, v14, 15
	s_or_b64 exec, exec, s[88:89]
	s_and_b64 vcc, vcc, exec
.LBB53_215:                             ;   in Loop: Header=BB53_5 Depth=1
	v_readlane_b32 s86, v14, 12
	v_readlane_b32 s87, v14, 13
	s_or_b64 exec, exec, s[86:87]
	s_and_b64 vcc, vcc, exec
.LBB53_216:                             ;   in Loop: Header=BB53_5 Depth=1
	v_readlane_b32 s88, v14, 10
	v_readlane_b32 s89, v14, 11
	s_or_b64 exec, exec, s[88:89]
	s_and_b64 vcc, vcc, exec
.LBB53_217:                             ;   in Loop: Header=BB53_5 Depth=1
	v_readlane_b32 s86, v14, 8
	v_readlane_b32 s87, v14, 9
	s_or_b64 exec, exec, s[86:87]
	s_and_b64 vcc, vcc, exec
.LBB53_218:                             ;   in Loop: Header=BB53_5 Depth=1
	v_readlane_b32 s88, v14, 6
	v_readlane_b32 s89, v14, 7
	s_or_b64 exec, exec, s[88:89]
	s_and_b64 vcc, vcc, exec
.LBB53_219:                             ;   in Loop: Header=BB53_5 Depth=1
	v_readlane_b32 s86, v14, 4
	v_readlane_b32 s87, v14, 5
	s_or_b64 exec, exec, s[86:87]
	s_and_b64 vcc, vcc, exec
.LBB53_220:                             ;   in Loop: Header=BB53_5 Depth=1
	v_readlane_b32 s88, v14, 2
	v_readlane_b32 s89, v14, 3
	s_or_b64 exec, exec, s[88:89]
	s_and_b64 s[88:89], vcc, exec
.LBB53_221:                             ;   in Loop: Header=BB53_5 Depth=1
	v_readlane_b32 s86, v14, 0
	v_readlane_b32 s87, v14, 1
	s_or_b64 exec, exec, s[86:87]
	s_and_b64 s[86:87], s[88:89], exec
.LBB53_222:                             ;   in Loop: Header=BB53_5 Depth=1
	s_or_b64 exec, exec, s[84:85]
	s_and_b64 s[84:85], s[86:87], exec
.LBB53_223:                             ;   in Loop: Header=BB53_5 Depth=1
	s_or_b64 exec, exec, s[82:83]
	s_and_b64 s[82:83], s[84:85], exec
.LBB53_224:                             ;   in Loop: Header=BB53_5 Depth=1
	s_or_b64 exec, exec, s[80:81]
	s_and_b64 s[80:81], s[82:83], exec
.LBB53_225:                             ;   in Loop: Header=BB53_5 Depth=1
	s_or_b64 exec, exec, s[78:79]
	s_and_b64 s[78:79], s[80:81], exec
.LBB53_226:                             ;   in Loop: Header=BB53_5 Depth=1
	s_or_b64 exec, exec, s[76:77]
	s_and_b64 s[76:77], s[78:79], exec
.LBB53_227:                             ;   in Loop: Header=BB53_5 Depth=1
	s_or_b64 exec, exec, s[74:75]
	s_and_b64 s[74:75], s[76:77], exec
.LBB53_228:                             ;   in Loop: Header=BB53_5 Depth=1
	s_or_b64 exec, exec, s[72:73]
	s_and_b64 s[72:73], s[74:75], exec
.LBB53_229:                             ;   in Loop: Header=BB53_5 Depth=1
	s_or_b64 exec, exec, s[70:71]
	s_and_b64 s[70:71], s[72:73], exec
.LBB53_230:                             ;   in Loop: Header=BB53_5 Depth=1
	s_or_b64 exec, exec, s[68:69]
	s_and_b64 s[68:69], s[70:71], exec
.LBB53_231:                             ;   in Loop: Header=BB53_5 Depth=1
	s_or_b64 exec, exec, s[66:67]
	s_and_b64 s[66:67], s[68:69], exec
.LBB53_232:                             ;   in Loop: Header=BB53_5 Depth=1
	s_or_b64 exec, exec, s[64:65]
	s_and_b64 s[64:65], s[66:67], exec
.LBB53_233:                             ;   in Loop: Header=BB53_5 Depth=1
	s_or_b64 exec, exec, s[62:63]
	s_and_b64 s[62:63], s[64:65], exec
.LBB53_234:                             ;   in Loop: Header=BB53_5 Depth=1
	s_or_b64 exec, exec, s[60:61]
	s_and_b64 s[60:61], s[62:63], exec
.LBB53_235:                             ;   in Loop: Header=BB53_5 Depth=1
	s_or_b64 exec, exec, s[58:59]
	s_and_b64 s[58:59], s[60:61], exec
.LBB53_236:                             ;   in Loop: Header=BB53_5 Depth=1
	s_or_b64 exec, exec, s[56:57]
	s_and_b64 s[56:57], s[58:59], exec
.LBB53_237:                             ;   in Loop: Header=BB53_5 Depth=1
	s_or_b64 exec, exec, s[54:55]
	s_and_b64 s[54:55], s[56:57], exec
.LBB53_238:                             ;   in Loop: Header=BB53_5 Depth=1
	s_or_b64 exec, exec, s[52:53]
	s_and_b64 s[52:53], s[54:55], exec
.LBB53_239:                             ;   in Loop: Header=BB53_5 Depth=1
	s_or_b64 exec, exec, s[50:51]
	s_and_b64 s[50:51], s[52:53], exec
.LBB53_240:                             ;   in Loop: Header=BB53_5 Depth=1
	s_or_b64 exec, exec, s[48:49]
	s_and_b64 s[48:49], s[50:51], exec
.LBB53_241:                             ;   in Loop: Header=BB53_5 Depth=1
	s_or_b64 exec, exec, s[46:47]
	s_and_b64 s[46:47], s[48:49], exec
.LBB53_242:                             ;   in Loop: Header=BB53_5 Depth=1
	s_or_b64 exec, exec, s[44:45]
	s_and_b64 s[44:45], s[46:47], exec
.LBB53_243:                             ;   in Loop: Header=BB53_5 Depth=1
	s_or_b64 exec, exec, s[42:43]
	s_and_b64 s[42:43], s[44:45], exec
.LBB53_244:                             ;   in Loop: Header=BB53_5 Depth=1
	s_or_b64 exec, exec, s[40:41]
	s_and_b64 s[40:41], s[42:43], exec
.LBB53_245:                             ;   in Loop: Header=BB53_5 Depth=1
	s_or_b64 exec, exec, s[38:39]
	s_and_b64 s[38:39], s[40:41], exec
.LBB53_246:                             ;   in Loop: Header=BB53_5 Depth=1
	s_or_b64 exec, exec, s[36:37]
	s_and_b64 s[36:37], s[38:39], exec
.LBB53_247:                             ;   in Loop: Header=BB53_5 Depth=1
	s_or_b64 exec, exec, s[34:35]
	s_and_b64 s[34:35], s[36:37], exec
.LBB53_248:                             ;   in Loop: Header=BB53_5 Depth=1
	s_or_b64 exec, exec, s[30:31]
	s_and_b64 s[30:31], s[34:35], exec
.LBB53_249:                             ;   in Loop: Header=BB53_5 Depth=1
	s_or_b64 exec, exec, s[28:29]
	s_and_b64 s[28:29], s[30:31], exec
.LBB53_250:                             ;   in Loop: Header=BB53_5 Depth=1
	s_or_b64 exec, exec, s[26:27]
	s_and_b64 s[26:27], s[28:29], exec
.LBB53_251:                             ;   in Loop: Header=BB53_5 Depth=1
	s_or_b64 exec, exec, s[24:25]
	s_and_b64 s[24:25], s[26:27], exec
.LBB53_252:                             ;   in Loop: Header=BB53_5 Depth=1
	s_or_b64 exec, exec, s[22:23]
	s_and_b64 s[22:23], s[24:25], exec
.LBB53_253:                             ;   in Loop: Header=BB53_5 Depth=1
	s_or_b64 exec, exec, s[20:21]
	s_and_b64 s[20:21], s[22:23], exec
.LBB53_254:                             ;   in Loop: Header=BB53_5 Depth=1
	s_or_b64 exec, exec, s[18:19]
	s_and_b64 s[18:19], s[20:21], exec
.LBB53_255:                             ;   in Loop: Header=BB53_5 Depth=1
	s_or_b64 exec, exec, s[16:17]
	s_and_b64 s[16:17], s[18:19], exec
.LBB53_256:                             ;   in Loop: Header=BB53_5 Depth=1
	s_or_b64 exec, exec, s[14:15]
	s_and_b64 s[14:15], s[16:17], exec
.LBB53_257:                             ;   in Loop: Header=BB53_5 Depth=1
	s_or_b64 exec, exec, s[8:9]
	s_and_b64 s[8:9], s[14:15], exec
.LBB53_258:                             ;   in Loop: Header=BB53_5 Depth=1
	s_or_b64 exec, exec, s[2:3]
	v_and_b32_e32 v2, 0x60, v7
	v_add_u32_e32 v9, 32, v2
	v_xor_b32_e32 v2, 16, v7
	v_cmp_lt_i32_e32 vcc, v2, v9
	v_cndmask_b32_e32 v2, v7, v2, vcc
	v_cndmask_b32_e64 v4, 0, 1, s[8:9]
	v_lshlrev_b32_e32 v2, 2, v2
	ds_bpermute_b32 v4, v2, v4
	v_xor_b32_e32 v11, 1, v7
	s_waitcnt lgkmcnt(0)
	v_cmp_ne_u32_e32 vcc, 0, v4
	v_xor_b32_e32 v4, 8, v7
	s_and_b64 s[2:3], s[8:9], vcc
	v_cmp_lt_i32_e32 vcc, v4, v9
	v_cndmask_b32_e32 v4, v7, v4, vcc
	v_cndmask_b32_e64 v5, 0, 1, s[2:3]
	v_lshlrev_b32_e32 v4, 2, v4
	ds_bpermute_b32 v5, v4, v5
	s_waitcnt lgkmcnt(0)
	v_cmp_ne_u32_e32 vcc, 0, v5
	v_xor_b32_e32 v5, 4, v7
	s_and_b64 s[2:3], vcc, s[2:3]
	v_cmp_lt_i32_e32 vcc, v5, v9
	v_cndmask_b32_e32 v5, v7, v5, vcc
	v_cndmask_b32_e64 v8, 0, 1, s[2:3]
	v_lshlrev_b32_e32 v5, 2, v5
	ds_bpermute_b32 v8, v5, v8
	s_waitcnt lgkmcnt(0)
	v_cmp_ne_u32_e32 vcc, 0, v8
	v_xor_b32_e32 v8, 2, v7
	s_and_b64 s[2:3], vcc, s[2:3]
	v_cmp_lt_i32_e32 vcc, v8, v9
	v_cndmask_b32_e32 v8, v7, v8, vcc
	v_cndmask_b32_e64 v10, 0, 1, s[2:3]
	v_lshlrev_b32_e32 v8, 2, v8
	ds_bpermute_b32 v10, v8, v10
	s_waitcnt lgkmcnt(0)
	v_cmp_ne_u32_e32 vcc, 0, v10
	s_and_b64 s[2:3], vcc, s[2:3]
	v_cmp_lt_i32_e32 vcc, v11, v9
	v_cndmask_b32_e32 v9, v7, v11, vcc
	v_cndmask_b32_e64 v10, 0, 1, s[2:3]
	v_lshlrev_b32_e32 v9, 2, v9
	ds_bpermute_b32 v10, v9, v10
	s_and_saveexec_b64 s[8:9], s[0:1]
	s_cbranch_execz .LBB53_3
; %bb.259:                              ;   in Loop: Header=BB53_5 Depth=1
	s_waitcnt lgkmcnt(0)
	v_cmp_ne_u32_e32 vcc, 0, v10
	s_and_b64 s[2:3], vcc, s[2:3]
	v_cndmask_b32_e64 v10, 0, 1, s[2:3]
	ds_write_b32 v1, v10
	s_branch .LBB53_3
.LBB53_260:
	s_or_b64 exec, exec, s[4:5]
	v_cmp_eq_u32_e32 vcc, 0, v0
	s_and_saveexec_b64 s[0:1], vcc
	s_cbranch_execz .LBB53_262
; %bb.261:
	s_mul_i32 s0, s33, s7
	s_add_i32 s0, s0, s6
	s_ashr_i32 s1, s0, 31
	s_lshl_b64 s[0:1], s[0:1], 2
	s_add_u32 s0, s10, s0
	s_addc_u32 s1, s11, s1
	v_mov_b32_e32 v0, 0
	global_store_dword v0, v2, s[0:1]
.LBB53_262:
	s_endpgm
	.section	.rodata,"a",@progbits
	.p2align	6, 0x0
	.amdhsa_kernel _ZL25flash_attn_mask_to_KV_maxILi64EEvPK7__half2Piiii
		.amdhsa_group_segment_fixed_size 128
		.amdhsa_private_segment_fixed_size 0
		.amdhsa_kernarg_size 288
		.amdhsa_user_sgpr_count 6
		.amdhsa_user_sgpr_private_segment_buffer 1
		.amdhsa_user_sgpr_dispatch_ptr 0
		.amdhsa_user_sgpr_queue_ptr 0
		.amdhsa_user_sgpr_kernarg_segment_ptr 1
		.amdhsa_user_sgpr_dispatch_id 0
		.amdhsa_user_sgpr_flat_scratch_init 0
		.amdhsa_user_sgpr_kernarg_preload_length 0
		.amdhsa_user_sgpr_kernarg_preload_offset 0
		.amdhsa_user_sgpr_private_segment_size 0
		.amdhsa_uses_dynamic_stack 0
		.amdhsa_system_sgpr_private_segment_wavefront_offset 0
		.amdhsa_system_sgpr_workgroup_id_x 1
		.amdhsa_system_sgpr_workgroup_id_y 1
		.amdhsa_system_sgpr_workgroup_id_z 0
		.amdhsa_system_sgpr_workgroup_info 0
		.amdhsa_system_vgpr_workitem_id 0
		.amdhsa_next_free_vgpr 15
		.amdhsa_next_free_sgpr 96
		.amdhsa_accum_offset 16
		.amdhsa_reserve_vcc 1
		.amdhsa_reserve_flat_scratch 0
		.amdhsa_float_round_mode_32 0
		.amdhsa_float_round_mode_16_64 0
		.amdhsa_float_denorm_mode_32 3
		.amdhsa_float_denorm_mode_16_64 3
		.amdhsa_dx10_clamp 1
		.amdhsa_ieee_mode 1
		.amdhsa_fp16_overflow 0
		.amdhsa_tg_split 0
		.amdhsa_exception_fp_ieee_invalid_op 0
		.amdhsa_exception_fp_denorm_src 0
		.amdhsa_exception_fp_ieee_div_zero 0
		.amdhsa_exception_fp_ieee_overflow 0
		.amdhsa_exception_fp_ieee_underflow 0
		.amdhsa_exception_fp_ieee_inexact 0
		.amdhsa_exception_int_div_zero 0
	.end_amdhsa_kernel
	.section	.text._ZL25flash_attn_mask_to_KV_maxILi64EEvPK7__half2Piiii,"axG",@progbits,_ZL25flash_attn_mask_to_KV_maxILi64EEvPK7__half2Piiii,comdat
.Lfunc_end53:
	.size	_ZL25flash_attn_mask_to_KV_maxILi64EEvPK7__half2Piiii, .Lfunc_end53-_ZL25flash_attn_mask_to_KV_maxILi64EEvPK7__half2Piiii
                                        ; -- End function
	.section	.AMDGPU.csdata,"",@progbits
; Kernel info:
; codeLenInByte = 10324
; NumSgprs: 100
; NumVgprs: 15
; NumAgprs: 0
; TotalNumVgprs: 15
; ScratchSize: 0
; MemoryBound: 0
; FloatMode: 240
; IeeeMode: 1
; LDSByteSize: 128 bytes/workgroup (compile time only)
; SGPRBlocks: 12
; VGPRBlocks: 1
; NumSGPRsForWavesPerEU: 100
; NumVGPRsForWavesPerEU: 15
; AccumOffset: 16
; Occupancy: 8
; WaveLimiterHint : 0
; COMPUTE_PGM_RSRC2:SCRATCH_EN: 0
; COMPUTE_PGM_RSRC2:USER_SGPR: 6
; COMPUTE_PGM_RSRC2:TRAP_HANDLER: 0
; COMPUTE_PGM_RSRC2:TGID_X_EN: 1
; COMPUTE_PGM_RSRC2:TGID_Y_EN: 1
; COMPUTE_PGM_RSRC2:TGID_Z_EN: 0
; COMPUTE_PGM_RSRC2:TIDIG_COMP_CNT: 0
; COMPUTE_PGM_RSRC3_GFX90A:ACCUM_OFFSET: 3
; COMPUTE_PGM_RSRC3_GFX90A:TG_SPLIT: 0
	.section	.text._ZL33flash_attn_stream_k_fixup_uniformILi128ELi64ELi1EEvPfPK15HIP_vector_typeIfLj2EEiiiiiiS1_IjLj3EES5_S5_,"axG",@progbits,_ZL33flash_attn_stream_k_fixup_uniformILi128ELi64ELi1EEvPfPK15HIP_vector_typeIfLj2EEiiiiiiS1_IjLj3EES5_S5_,comdat
	.globl	_ZL33flash_attn_stream_k_fixup_uniformILi128ELi64ELi1EEvPfPK15HIP_vector_typeIfLj2EEiiiiiiS1_IjLj3EES5_S5_ ; -- Begin function _ZL33flash_attn_stream_k_fixup_uniformILi128ELi64ELi1EEvPfPK15HIP_vector_typeIfLj2EEiiiiiiS1_IjLj3EES5_S5_
	.p2align	8
	.type	_ZL33flash_attn_stream_k_fixup_uniformILi128ELi64ELi1EEvPfPK15HIP_vector_typeIfLj2EEiiiiiiS1_IjLj3EES5_S5_,@function
_ZL33flash_attn_stream_k_fixup_uniformILi128ELi64ELi1EEvPfPK15HIP_vector_typeIfLj2EEiiiiiiS1_IjLj3EES5_S5_: ; @_ZL33flash_attn_stream_k_fixup_uniformILi128ELi64ELi1EEvPfPK15HIP_vector_typeIfLj2EEiiiiiiS1_IjLj3EES5_S5_
; %bb.0:
	s_load_dwordx8 s[12:19], s[4:5], 0x1c
	s_load_dwordx2 s[10:11], s[4:5], 0x10
	s_load_dwordx4 s[0:3], s[4:5], 0x3c
	s_waitcnt lgkmcnt(0)
	s_mul_hi_u32 s9, s15, s6
	s_add_i32 s9, s6, s9
	s_lshr_b32 s9, s9, s16
	s_mul_i32 s15, s9, s17
	s_sub_i32 s15, s6, s15
	s_mul_hi_u32 s16, s15, s18
	s_add_i32 s16, s15, s16
	s_lshr_b32 s16, s16, s19
	s_mul_i32 s0, s16, s0
	s_sub_i32 s0, s15, s0
	;; [unrolled: 5-line block ×3, first 2 shown]
	s_lshl_b32 s0, s17, 6
	s_add_i32 s0, s0, s7
	s_cmp_lt_i32 s0, s10
	s_cselect_b64 s[0:1], -1, 0
	s_add_i32 s2, s15, s8
	s_cmp_lt_i32 s2, s13
	s_cselect_b64 s[2:3], -1, 0
	s_and_b64 s[0:1], s[0:1], s[2:3]
	s_andn2_b64 vcc, exec, s[0:1]
	s_cbranch_vccnz .LBB54_6
; %bb.1:
	s_load_dwordx4 s[0:3], s[4:5], 0x0
	s_mul_i32 s4, s9, s10
	s_add_i32 s4, s4, s7
	s_mul_i32 s4, s4, s11
	s_mul_i32 s16, s16, s13
	s_add_i32 s4, s4, s8
	s_add_i32 s4, s4, s16
	s_mul_i32 s5, s11, s17
	s_add_i32 s4, s4, s15
	s_lshl_b32 s5, s5, 13
	s_lshl_b32 s4, s4, 7
	s_add_i32 s5, s5, s4
	v_or_b32_e32 v2, s5, v0
	v_ashrrev_i32_e32 v3, 31, v2
	v_lshlrev_b64 v[2:3], 2, v[2:3]
	s_waitcnt lgkmcnt(0)
	v_mov_b32_e32 v1, s1
	v_add_co_u32_e32 v2, vcc, s0, v2
	v_addc_co_u32_e32 v3, vcc, v1, v3, vcc
	global_load_dword v8, v[2:3], off
	s_add_i32 s4, s7, s8
	s_mul_i32 s7, s6, s14
	s_add_i32 s5, s7, s14
	s_lshl_b32 s0, s5, 6
	s_add_i32 s0, s4, s0
	s_sub_i32 s0, s0, 64
	s_ashr_i32 s1, s0, 31
	s_lshl_b64 s[0:1], s[0:1], 3
	s_add_u32 s0, s2, s0
	s_addc_u32 s1, s3, s1
	s_load_dword s10, s[0:1], 0x4
	s_add_i32 s8, s5, -2
	s_cmp_lt_i32 s8, s7
	s_cbranch_scc1 .LBB54_4
; %bb.2:
	s_lshl_b32 s8, s12, 8
	s_ashr_i32 s9, s8, 31
	s_lshl_b64 s[8:9], s[8:9], 2
	s_add_u32 s8, s2, s8
	s_addc_u32 s11, s3, s9
	s_add_i32 s6, s6, 1
	s_add_i32 s9, s5, -1
	s_mul_i32 s5, s14, s6
	s_load_dword s0, s[0:1], 0x0
	s_lshl_b32 s1, s4, 7
	s_lshl_b32 s6, s5, 13
	s_add_i32 s1, s1, s6
	v_or_b32_e32 v0, s1, v0
	s_lshl_b32 s1, s5, 6
	s_add_i32 s1, s4, s1
	s_lshl_b32 s4, s12, 6
	s_add_i32 s1, s1, s4
	v_add_u32_e32 v0, 0xffffc000, v0
	s_add_i32 s4, s1, 0xffffff80
	s_waitcnt lgkmcnt(0)
	v_mov_b32_e32 v7, s10
	v_mov_b32_e32 v6, s0
	;; [unrolled: 1-line block ×3, first 2 shown]
	s_mov_b32 s6, 0x3fb8aa3b
	s_mov_b32 s10, 0xc2ce8ed0
	;; [unrolled: 1-line block ×3, first 2 shown]
	v_mov_b32_e32 v5, 0x7f800000
	s_mov_b32 s12, 0xc1a00000
.LBB54_3:                               ; =>This Inner Loop Header: Depth=1
	v_ashrrev_i32_e32 v1, 31, v0
	v_lshlrev_b64 v[10:11], 2, v[0:1]
	v_add_co_u32_e32 v10, vcc, s8, v10
	v_addc_co_u32_e32 v11, vcc, v4, v11, vcc
	global_load_dword v1, v[10:11], off
	s_ashr_i32 s5, s4, 31
	s_lshl_b64 s[0:1], s[4:5], 3
	s_add_u32 s0, s2, s0
	s_addc_u32 s1, s3, s1
	s_load_dwordx2 s[14:15], s[0:1], 0x0
	s_waitcnt vmcnt(1)
	v_mov_b32_e32 v9, v8
	v_max_f32_e32 v8, v6, v6
	v_mov_b32_e32 v10, v7
	s_add_i32 s9, s9, -1
	s_waitcnt lgkmcnt(0)
	v_max_f32_e64 v7, s14, s14
	v_max_f32_e32 v7, v8, v7
	v_sub_f32_e32 v11, s14, v7
	v_sub_f32_e32 v8, v6, v7
	v_mul_f32_e32 v12, 0x3fb8aa3b, v11
	v_mov_b32_e32 v6, v7
	v_mul_f32_e32 v7, 0x3fb8aa3b, v8
	v_fma_f32 v15, v11, s6, -v12
	v_rndne_f32_e32 v16, v12
	v_fma_f32 v13, v8, s6, -v7
	v_rndne_f32_e32 v14, v7
	v_fmac_f32_e32 v15, 0x32a5705f, v11
	v_sub_f32_e32 v12, v12, v16
	v_fmac_f32_e32 v13, 0x32a5705f, v8
	v_sub_f32_e32 v7, v7, v14
	v_add_f32_e32 v12, v12, v15
	v_cvt_i32_f32_e32 v16, v16
	v_add_f32_e32 v7, v7, v13
	v_exp_f32_e32 v12, v12
	v_cvt_i32_f32_e32 v14, v14
	v_exp_f32_e32 v7, v7
	v_cmp_ngt_f32_e32 vcc, s10, v11
	v_ldexp_f32 v12, v12, v16
	v_cmp_ngt_f32_e64 s[0:1], s10, v8
	v_ldexp_f32 v7, v7, v14
	v_cndmask_b32_e32 v12, 0, v12, vcc
	v_cmp_nlt_f32_e32 vcc, s11, v11
	v_cndmask_b32_e64 v7, 0, v7, s[0:1]
	v_cmp_nlt_f32_e64 s[0:1], s11, v8
	v_cndmask_b32_e32 v12, v5, v12, vcc
	v_cmp_le_f32_e32 vcc, s12, v11
	v_cndmask_b32_e64 v7, v5, v7, s[0:1]
	v_cmp_le_f32_e64 s[0:1], s12, v8
	v_cndmask_b32_e32 v8, 0, v12, vcc
	s_sub_i32 s4, s4, 64
	v_cndmask_b32_e64 v11, 0, v7, s[0:1]
	v_mul_f32_e32 v7, s15, v8
	v_add_u32_e32 v0, 0xffffe000, v0
	s_cmp_le_i32 s9, s7
	v_fmac_f32_e32 v7, v10, v11
	s_waitcnt vmcnt(0)
	v_mul_f32_e32 v8, v1, v8
	v_fmac_f32_e32 v8, v9, v11
	s_cbranch_scc0 .LBB54_3
	s_branch .LBB54_5
.LBB54_4:
	s_waitcnt lgkmcnt(0)
	v_mov_b32_e32 v7, s10
.LBB54_5:
	s_waitcnt vmcnt(0)
	v_div_scale_f32 v0, s[0:1], v7, v7, v8
	v_rcp_f32_e32 v1, v0
	v_div_scale_f32 v4, vcc, v8, v7, v8
	v_fma_f32 v5, -v0, v1, 1.0
	v_fmac_f32_e32 v1, v5, v1
	v_mul_f32_e32 v5, v4, v1
	v_fma_f32 v6, -v0, v5, v4
	v_fmac_f32_e32 v5, v6, v1
	v_fma_f32 v0, -v0, v5, v4
	v_div_fmas_f32 v0, v0, v1, v5
	v_div_fixup_f32 v0, v0, v7, v8
	global_store_dword v[2:3], v0, off
.LBB54_6:
	s_endpgm
	.section	.rodata,"a",@progbits
	.p2align	6, 0x0
	.amdhsa_kernel _ZL33flash_attn_stream_k_fixup_uniformILi128ELi64ELi1EEvPfPK15HIP_vector_typeIfLj2EEiiiiiiS1_IjLj3EES5_S5_
		.amdhsa_group_segment_fixed_size 0
		.amdhsa_private_segment_fixed_size 0
		.amdhsa_kernarg_size 76
		.amdhsa_user_sgpr_count 6
		.amdhsa_user_sgpr_private_segment_buffer 1
		.amdhsa_user_sgpr_dispatch_ptr 0
		.amdhsa_user_sgpr_queue_ptr 0
		.amdhsa_user_sgpr_kernarg_segment_ptr 1
		.amdhsa_user_sgpr_dispatch_id 0
		.amdhsa_user_sgpr_flat_scratch_init 0
		.amdhsa_user_sgpr_kernarg_preload_length 0
		.amdhsa_user_sgpr_kernarg_preload_offset 0
		.amdhsa_user_sgpr_private_segment_size 0
		.amdhsa_uses_dynamic_stack 0
		.amdhsa_system_sgpr_private_segment_wavefront_offset 0
		.amdhsa_system_sgpr_workgroup_id_x 1
		.amdhsa_system_sgpr_workgroup_id_y 1
		.amdhsa_system_sgpr_workgroup_id_z 1
		.amdhsa_system_sgpr_workgroup_info 0
		.amdhsa_system_vgpr_workitem_id 0
		.amdhsa_next_free_vgpr 17
		.amdhsa_next_free_sgpr 20
		.amdhsa_accum_offset 20
		.amdhsa_reserve_vcc 1
		.amdhsa_reserve_flat_scratch 0
		.amdhsa_float_round_mode_32 0
		.amdhsa_float_round_mode_16_64 0
		.amdhsa_float_denorm_mode_32 3
		.amdhsa_float_denorm_mode_16_64 3
		.amdhsa_dx10_clamp 1
		.amdhsa_ieee_mode 1
		.amdhsa_fp16_overflow 0
		.amdhsa_tg_split 0
		.amdhsa_exception_fp_ieee_invalid_op 0
		.amdhsa_exception_fp_denorm_src 0
		.amdhsa_exception_fp_ieee_div_zero 0
		.amdhsa_exception_fp_ieee_overflow 0
		.amdhsa_exception_fp_ieee_underflow 0
		.amdhsa_exception_fp_ieee_inexact 0
		.amdhsa_exception_int_div_zero 0
	.end_amdhsa_kernel
	.section	.text._ZL33flash_attn_stream_k_fixup_uniformILi128ELi64ELi1EEvPfPK15HIP_vector_typeIfLj2EEiiiiiiS1_IjLj3EES5_S5_,"axG",@progbits,_ZL33flash_attn_stream_k_fixup_uniformILi128ELi64ELi1EEvPfPK15HIP_vector_typeIfLj2EEiiiiiiS1_IjLj3EES5_S5_,comdat
.Lfunc_end54:
	.size	_ZL33flash_attn_stream_k_fixup_uniformILi128ELi64ELi1EEvPfPK15HIP_vector_typeIfLj2EEiiiiiiS1_IjLj3EES5_S5_, .Lfunc_end54-_ZL33flash_attn_stream_k_fixup_uniformILi128ELi64ELi1EEvPfPK15HIP_vector_typeIfLj2EEiiiiiiS1_IjLj3EES5_S5_
                                        ; -- End function
	.section	.AMDGPU.csdata,"",@progbits
; Kernel info:
; codeLenInByte = 840
; NumSgprs: 24
; NumVgprs: 17
; NumAgprs: 0
; TotalNumVgprs: 17
; ScratchSize: 0
; MemoryBound: 0
; FloatMode: 240
; IeeeMode: 1
; LDSByteSize: 0 bytes/workgroup (compile time only)
; SGPRBlocks: 2
; VGPRBlocks: 2
; NumSGPRsForWavesPerEU: 24
; NumVGPRsForWavesPerEU: 17
; AccumOffset: 20
; Occupancy: 8
; WaveLimiterHint : 0
; COMPUTE_PGM_RSRC2:SCRATCH_EN: 0
; COMPUTE_PGM_RSRC2:USER_SGPR: 6
; COMPUTE_PGM_RSRC2:TRAP_HANDLER: 0
; COMPUTE_PGM_RSRC2:TGID_X_EN: 1
; COMPUTE_PGM_RSRC2:TGID_Y_EN: 1
; COMPUTE_PGM_RSRC2:TGID_Z_EN: 1
; COMPUTE_PGM_RSRC2:TIDIG_COMP_CNT: 0
; COMPUTE_PGM_RSRC3_GFX90A:ACCUM_OFFSET: 4
; COMPUTE_PGM_RSRC3_GFX90A:TG_SPLIT: 0
	.section	.text._ZL33flash_attn_stream_k_fixup_generalILi128ELi64ELi1EEvPfPK15HIP_vector_typeIfLj2EEiiiiS1_IjLj3EES5_S5_S5_,"axG",@progbits,_ZL33flash_attn_stream_k_fixup_generalILi128ELi64ELi1EEvPfPK15HIP_vector_typeIfLj2EEiiiiS1_IjLj3EES5_S5_S5_,comdat
	.globl	_ZL33flash_attn_stream_k_fixup_generalILi128ELi64ELi1EEvPfPK15HIP_vector_typeIfLj2EEiiiiS1_IjLj3EES5_S5_S5_ ; -- Begin function _ZL33flash_attn_stream_k_fixup_generalILi128ELi64ELi1EEvPfPK15HIP_vector_typeIfLj2EEiiiiS1_IjLj3EES5_S5_S5_
	.p2align	8
	.type	_ZL33flash_attn_stream_k_fixup_generalILi128ELi64ELi1EEvPfPK15HIP_vector_typeIfLj2EEiiiiS1_IjLj3EES5_S5_S5_,@function
_ZL33flash_attn_stream_k_fixup_generalILi128ELi64ELi1EEvPfPK15HIP_vector_typeIfLj2EEiiiiS1_IjLj3EES5_S5_S5_: ; @_ZL33flash_attn_stream_k_fixup_generalILi128ELi64ELi1EEvPfPK15HIP_vector_typeIfLj2EEiiiiS1_IjLj3EES5_S5_S5_
; %bb.0:
	s_load_dwordx4 s[12:15], s[4:5], 0x10
	s_load_dword s9, s[4:5], 0x50
	s_mov_b32 s2, 0
	s_waitcnt lgkmcnt(0)
	s_mul_hi_i32 s3, s15, s6
	s_cmp_lg_u64 s[2:3], 0
	s_mul_i32 s2, s15, s6
	s_cbranch_scc0 .LBB55_21
; %bb.1:
	v_cvt_f32_u32_e32 v1, s9
	v_cvt_f32_ubyte0_e32 v2, 0
	s_sub_u32 s10, 0, s9
	s_subb_u32 s11, 0, 0
	v_madmk_f32 v1, v2, 0x4f800000, v1
	v_rcp_f32_e32 v1, v1
	v_mul_f32_e32 v1, 0x5f7ffffc, v1
	v_mul_f32_e32 v2, 0x2f800000, v1
	v_trunc_f32_e32 v2, v2
	v_madmk_f32 v1, v2, 0xcf800000, v1
	v_cvt_u32_f32_e32 v2, v2
	v_cvt_u32_f32_e32 v1, v1
	v_readfirstlane_b32 s16, v2
	v_readfirstlane_b32 s17, v1
	s_mul_i32 s18, s10, s16
	s_mul_hi_u32 s20, s10, s17
	s_mul_i32 s19, s11, s17
	s_add_i32 s18, s20, s18
	s_add_i32 s18, s18, s19
	s_mul_i32 s21, s10, s17
	s_mul_hi_u32 s19, s17, s18
	s_mul_i32 s20, s17, s18
	s_mul_hi_u32 s17, s17, s21
	s_add_u32 s17, s17, s20
	s_addc_u32 s19, 0, s19
	s_mul_hi_u32 s22, s16, s21
	s_mul_i32 s21, s16, s21
	s_add_u32 s17, s17, s21
	s_mul_hi_u32 s20, s16, s18
	s_addc_u32 s17, s19, s22
	s_addc_u32 s19, s20, 0
	s_mul_i32 s18, s16, s18
	s_add_u32 s17, s17, s18
	s_addc_u32 s18, 0, s19
	v_add_co_u32_e32 v1, vcc, s17, v1
	s_cmp_lg_u64 vcc, 0
	s_addc_u32 s16, s16, s18
	v_readfirstlane_b32 s18, v1
	s_mul_i32 s17, s10, s16
	s_mul_hi_u32 s19, s10, s18
	s_add_i32 s17, s19, s17
	s_mul_i32 s11, s11, s18
	s_add_i32 s17, s17, s11
	s_mul_i32 s10, s10, s18
	s_mul_hi_u32 s19, s16, s10
	s_mul_i32 s20, s16, s10
	s_mul_i32 s22, s18, s17
	s_mul_hi_u32 s10, s18, s10
	s_mul_hi_u32 s21, s18, s17
	s_add_u32 s10, s10, s22
	s_addc_u32 s18, 0, s21
	s_add_u32 s10, s10, s20
	s_mul_hi_u32 s11, s16, s17
	s_addc_u32 s10, s18, s19
	s_addc_u32 s11, s11, 0
	s_mul_i32 s17, s16, s17
	s_add_u32 s10, s10, s17
	s_addc_u32 s11, 0, s11
	v_add_co_u32_e32 v1, vcc, s10, v1
	s_cmp_lg_u64 vcc, 0
	s_addc_u32 s18, s16, s11
	s_ashr_i32 s10, s3, 31
	s_add_u32 s16, s2, s10
	s_mov_b32 s11, s10
	s_addc_u32 s17, s3, s10
	s_xor_b64 s[16:17], s[16:17], s[10:11]
	v_readfirstlane_b32 s20, v1
	s_mul_i32 s19, s16, s18
	s_mul_hi_u32 s21, s16, s20
	s_mul_hi_u32 s3, s16, s18
	s_add_u32 s19, s21, s19
	s_addc_u32 s3, 0, s3
	s_mul_hi_u32 s22, s17, s20
	s_mul_i32 s20, s17, s20
	s_add_u32 s19, s19, s20
	s_mul_hi_u32 s21, s17, s18
	s_addc_u32 s3, s3, s22
	s_addc_u32 s19, s21, 0
	s_mul_i32 s18, s17, s18
	s_add_u32 s3, s3, s18
	s_addc_u32 s18, 0, s19
	s_add_u32 s19, s3, 1
	s_addc_u32 s20, s18, 0
	s_add_u32 s21, s3, 2
	s_mul_i32 s23, s9, s18
	s_mul_hi_u32 s24, s9, s3
	s_addc_u32 s22, s18, 0
	s_add_i32 s24, s24, s23
	s_mul_i32 s23, s9, s3
	v_mov_b32_e32 v1, s23
	v_sub_co_u32_e32 v1, vcc, s16, v1
	s_cmp_lg_u64 vcc, 0
	s_subb_u32 s16, s17, s24
	v_subrev_co_u32_e32 v2, vcc, s9, v1
	s_cmp_lg_u64 vcc, 0
	s_subb_u32 s17, s16, 0
	v_readfirstlane_b32 s23, v2
	s_cmp_ge_u32 s23, s9
	s_cselect_b32 s23, -1, 0
	s_cmp_eq_u32 s17, 0
	s_cselect_b32 s17, s23, -1
	s_cmp_lg_u32 s17, 0
	s_cselect_b32 s17, s22, s20
	v_readfirstlane_b32 s20, v1
	s_cselect_b32 s19, s21, s19
	s_cmp_ge_u32 s20, s9
	s_cselect_b32 s20, -1, 0
	s_cmp_eq_u32 s16, 0
	s_cselect_b32 s16, s20, -1
	s_cmp_lg_u32 s16, 0
	s_cselect_b32 s17, s17, s18
	s_cselect_b32 s16, s19, s3
	s_xor_b64 s[16:17], s[16:17], s[10:11]
	s_sub_u32 s20, s16, s10
	s_load_dwordx4 s[16:19], s[4:5], 0x44
	s_cbranch_execnz .LBB55_3
.LBB55_2:
	v_cvt_f32_u32_e32 v1, s9
	s_sub_i32 s0, 0, s9
	v_rcp_iflag_f32_e32 v1, v1
	v_mul_f32_e32 v1, 0x4f7ffffe, v1
	v_cvt_u32_f32_e32 v1, v1
	v_readfirstlane_b32 s1, v1
	s_mul_i32 s0, s0, s1
	s_mul_hi_u32 s0, s1, s0
	s_add_i32 s1, s1, s0
	s_mul_hi_u32 s0, s2, s1
	s_mul_i32 s3, s0, s9
	s_sub_i32 s2, s2, s3
	s_add_i32 s1, s0, 1
	s_sub_i32 s3, s2, s9
	s_cmp_ge_u32 s2, s9
	s_cselect_b32 s0, s1, s0
	s_cselect_b32 s2, s3, s2
	s_add_i32 s1, s0, 1
	s_cmp_ge_u32 s2, s9
	s_cselect_b32 s20, s1, s0
.LBB55_3:
	s_add_i32 s0, s6, 1
	s_mul_hi_i32 s3, s15, s0
	s_mov_b32 s2, 0
	s_cmp_lg_u64 s[2:3], 0
	s_mul_i32 s2, s15, s0
	s_cbranch_scc0 .LBB55_22
; %bb.4:
	v_cvt_f32_u32_e32 v1, s9
	v_cvt_f32_ubyte0_e32 v2, 0
	s_sub_u32 s10, 0, s9
	s_subb_u32 s11, 0, 0
	v_madmk_f32 v1, v2, 0x4f800000, v1
	v_rcp_f32_e32 v1, v1
	v_mul_f32_e32 v1, 0x5f7ffffc, v1
	v_mul_f32_e32 v2, 0x2f800000, v1
	v_trunc_f32_e32 v2, v2
	v_madmk_f32 v1, v2, 0xcf800000, v1
	v_cvt_u32_f32_e32 v2, v2
	v_cvt_u32_f32_e32 v1, v1
	s_waitcnt lgkmcnt(0)
	v_readfirstlane_b32 s19, v2
	v_readfirstlane_b32 s21, v1
	s_mul_i32 s22, s10, s19
	s_mul_hi_u32 s24, s10, s21
	s_mul_i32 s23, s11, s21
	s_add_i32 s22, s24, s22
	s_add_i32 s22, s22, s23
	s_mul_i32 s25, s10, s21
	s_mul_hi_u32 s23, s21, s22
	s_mul_i32 s24, s21, s22
	s_mul_hi_u32 s21, s21, s25
	s_add_u32 s21, s21, s24
	s_addc_u32 s23, 0, s23
	s_mul_hi_u32 s26, s19, s25
	s_mul_i32 s25, s19, s25
	s_add_u32 s21, s21, s25
	s_mul_hi_u32 s24, s19, s22
	s_addc_u32 s21, s23, s26
	s_addc_u32 s23, s24, 0
	s_mul_i32 s22, s19, s22
	s_add_u32 s21, s21, s22
	s_addc_u32 s22, 0, s23
	v_add_co_u32_e32 v1, vcc, s21, v1
	s_cmp_lg_u64 vcc, 0
	s_addc_u32 s19, s19, s22
	v_readfirstlane_b32 s22, v1
	s_mul_i32 s21, s10, s19
	s_mul_hi_u32 s23, s10, s22
	s_add_i32 s21, s23, s21
	s_mul_i32 s11, s11, s22
	s_add_i32 s21, s21, s11
	s_mul_i32 s10, s10, s22
	s_mul_hi_u32 s23, s19, s10
	s_mul_i32 s24, s19, s10
	s_mul_i32 s26, s22, s21
	s_mul_hi_u32 s10, s22, s10
	s_mul_hi_u32 s25, s22, s21
	s_add_u32 s10, s10, s26
	s_addc_u32 s22, 0, s25
	s_add_u32 s10, s10, s24
	s_mul_hi_u32 s11, s19, s21
	s_addc_u32 s10, s22, s23
	s_addc_u32 s11, s11, 0
	s_mul_i32 s21, s19, s21
	s_add_u32 s10, s10, s21
	s_addc_u32 s11, 0, s11
	v_add_co_u32_e32 v1, vcc, s10, v1
	s_cmp_lg_u64 vcc, 0
	s_addc_u32 s19, s19, s11
	s_ashr_i32 s10, s3, 31
	s_add_u32 s22, s2, s10
	s_mov_b32 s11, s10
	s_addc_u32 s23, s3, s10
	s_xor_b64 s[22:23], s[22:23], s[10:11]
	v_readfirstlane_b32 s21, v1
	s_mul_i32 s11, s22, s19
	s_mul_hi_u32 s24, s22, s21
	s_mul_hi_u32 s3, s22, s19
	s_add_u32 s11, s24, s11
	s_addc_u32 s3, 0, s3
	s_mul_hi_u32 s25, s23, s21
	s_mul_i32 s21, s23, s21
	s_add_u32 s11, s11, s21
	s_mul_hi_u32 s24, s23, s19
	s_addc_u32 s3, s3, s25
	s_addc_u32 s11, s24, 0
	s_mul_i32 s19, s23, s19
	s_add_u32 s3, s3, s19
	s_addc_u32 s11, 0, s11
	s_mul_i32 s11, s9, s11
	s_mul_hi_u32 s24, s9, s3
	s_add_i32 s24, s24, s11
	s_mul_i32 s11, s9, s3
	v_mov_b32_e32 v1, s11
	s_add_u32 s19, s3, 1
	s_add_u32 s21, s3, 2
	v_sub_co_u32_e32 v1, vcc, s22, v1
	s_cmp_lg_u64 vcc, 0
	s_subb_u32 s11, s23, s24
	v_subrev_co_u32_e32 v2, vcc, s9, v1
	s_cmp_lg_u64 vcc, 0
	s_subb_u32 s22, s11, 0
	v_cmp_le_u32_e32 vcc, s9, v2
	s_cmp_eq_u32 s22, 0
	v_cndmask_b32_e64 v2, 0, -1, vcc
	s_cselect_b64 vcc, -1, 0
	v_cndmask_b32_e32 v2, -1, v2, vcc
	v_mov_b32_e32 v3, s19
	v_mov_b32_e32 v4, s21
	v_cmp_ne_u32_e32 vcc, 0, v2
	v_cndmask_b32_e32 v2, v3, v4, vcc
	v_cmp_le_u32_e32 vcc, s9, v1
	s_cmp_eq_u32 s11, 0
	v_cndmask_b32_e64 v1, 0, -1, vcc
	s_cselect_b64 vcc, -1, 0
	v_cndmask_b32_e32 v1, -1, v1, vcc
	v_mov_b32_e32 v3, s3
	v_cmp_ne_u32_e32 vcc, 0, v1
	v_cndmask_b32_e32 v1, v3, v2, vcc
	v_xor_b32_e32 v1, s10, v1
	v_subrev_co_u32_e32 v2, vcc, s10, v1
	s_cbranch_execnz .LBB55_6
.LBB55_5:
	v_cvt_f32_u32_e32 v1, s9
	s_sub_i32 s0, 0, s9
	s_mov_b32 s1, 0
	v_rcp_iflag_f32_e32 v1, v1
	v_mul_f32_e32 v1, 0x4f7ffffe, v1
	v_cvt_u32_f32_e32 v1, v1
	v_readfirstlane_b32 s3, v1
	s_mul_i32 s0, s0, s3
	s_mul_hi_u32 s0, s3, s0
	s_add_i32 s3, s3, s0
	s_mul_hi_u32 s0, s2, s3
	s_mul_i32 s10, s0, s9
	s_sub_i32 s2, s2, s10
	s_add_i32 s3, s0, 1
	s_sub_i32 s10, s2, s9
	s_cmp_ge_u32 s2, s9
	s_cselect_b32 s0, s3, s0
	s_cselect_b32 s2, s10, s2
	s_add_i32 s3, s0, 1
	s_cmp_ge_u32 s2, s9
	s_cselect_b32 s0, s3, s0
	v_pk_mov_b32 v[2:3], s[0:1], s[0:1] op_sel:[0,1]
.LBB55_6:
	s_waitcnt lgkmcnt(0)
	s_mul_hi_u32 s0, s20, s16
	s_add_i32 s0, s0, s20
	v_mul_hi_u32 v1, v2, s16
	s_lshr_b32 s19, s0, s17
	v_add_u32_e32 v1, v1, v2
	s_mul_i32 s0, s19, s18
	v_lshrrev_b32_e32 v1, s17, v1
	s_cmp_eq_u32 s0, s20
	v_cmp_eq_u32_e64 s[0:1], s19, v1
	v_mul_lo_u32 v1, v1, s18
	v_cmp_eq_u32_e32 vcc, s20, v2
	s_cselect_b64 s[10:11], -1, 0
	v_cmp_ne_u32_e64 s[2:3], v1, v2
	s_and_b64 s[0:1], s[0:1], s[2:3]
	s_or_b64 s[2:3], vcc, s[10:11]
	s_or_b64 s[0:1], s[2:3], s[0:1]
	s_and_b64 vcc, exec, s[0:1]
	s_cbranch_vccnz .LBB55_24
; %bb.7:
	s_load_dwordx8 s[24:31], s[4:5], 0x20
	s_load_dword s0, s[4:5], 0x40
	s_mov_b32 s10, 0
	s_waitcnt lgkmcnt(0)
	s_mul_hi_u32 s1, s20, s24
	s_add_i32 s1, s1, s20
	s_lshr_b32 s11, s1, s25
	s_mul_i32 s1, s11, s26
	s_sub_i32 s1, s20, s1
	s_mul_hi_u32 s2, s1, s27
	s_add_i32 s2, s1, s2
	s_lshr_b32 s25, s2, s28
	s_mul_i32 s2, s25, s29
	s_sub_i32 s1, s1, s2
	;; [unrolled: 5-line block ×3, first 2 shown]
	s_mul_hi_u32 s1, s0, s16
	s_add_i32 s0, s0, s1
	s_lshr_b32 s26, s0, s17
	s_lshl_b32 s0, s26, 6
	s_add_i32 s0, s0, s7
	s_cmp_lt_i32 s0, s12
	s_cselect_b64 s[0:1], -1, 0
	s_add_i32 s2, s24, s8
	s_cmp_lt_i32 s2, s14
	s_cselect_b64 s[2:3], -1, 0
	s_and_b64 s[0:1], s[0:1], s[2:3]
	s_andn2_b64 vcc, exec, s[0:1]
	s_cbranch_vccnz .LBB55_24
; %bb.8:
	s_load_dwordx4 s[0:3], s[4:5], 0x0
	s_lshl_b32 s4, s9, 8
	s_mov_b32 s5, s10
	s_add_i32 s21, s7, s8
	s_lshl_b64 s[4:5], s[4:5], 2
	s_waitcnt lgkmcnt(0)
	s_add_u32 s22, s2, s4
	s_mul_i32 s4, s11, s12
	s_addc_u32 s23, s3, s5
	s_add_i32 s4, s4, s7
	s_mul_i32 s4, s4, s13
	s_mul_i32 s25, s25, s14
	s_add_i32 s4, s4, s8
	s_add_i32 s4, s4, s25
	s_mul_i32 s5, s13, s26
	s_add_i32 s4, s4, s24
	s_lshl_b32 s5, s5, 13
	s_lshl_b32 s4, s4, 7
	s_add_i32 s5, s5, s4
	v_or_b32_e32 v2, s5, v0
	v_ashrrev_i32_e32 v3, 31, v2
	v_lshlrev_b64 v[2:3], 2, v[2:3]
	v_mov_b32_e32 v1, s1
	v_add_co_u32_e32 v2, vcc, s0, v2
	v_addc_co_u32_e32 v3, vcc, v1, v3, vcc
	global_load_dword v5, v[2:3], off
	v_lshl_or_b32 v4, s21, 7, v0
	v_cvt_f32_u32_e32 v0, s9
	v_cvt_f32_ubyte0_e32 v1, 0
	s_lshl_b32 s0, s6, 6
	s_add_i32 s0, s0, s21
	v_mac_f32_e32 v0, 0x4f800000, v1
	v_rcp_f32_e32 v0, v0
	v_cvt_f32_u32_e32 v1, s9
	s_ashr_i32 s1, s0, 31
	s_lshl_b64 s[0:1], s[0:1], 3
	v_mul_f32_e32 v0, 0x5f7ffffc, v0
	v_rcp_iflag_f32_e32 v1, v1
	s_add_u32 s0, s2, s0
	v_mul_f32_e32 v9, 0x2f800000, v0
	s_addc_u32 s1, s3, s1
	v_trunc_f32_e32 v10, v9
	s_load_dwordx2 s[0:1], s[0:1], 0x0
	v_mac_f32_e32 v0, 0xcf800000, v10
	v_cvt_u32_f32_e32 v9, v0
	v_mul_f32_e32 v0, 0x4f7ffffe, v1
	v_cvt_u32_f32_e32 v10, v10
	v_cvt_u32_f32_e32 v11, v0
	s_add_i32 s8, s6, -1
	s_waitcnt lgkmcnt(0)
	v_mov_b32_e32 v6, s1
	v_mov_b32_e32 v7, s0
	;; [unrolled: 1-line block ×3, first 2 shown]
	s_mov_b32 s6, 0x3fb8aa3b
	s_mov_b32 s7, 0xc2ce8ed0
	;; [unrolled: 1-line block ×4, first 2 shown]
	v_mov_b32_e32 v12, 0x7f800000
	s_mul_hi_i32 s11, s8, s15
	s_cmp_lg_u64 s[10:11], 0
	s_mul_i32 s4, s8, s15
	s_cbranch_scc0 .LBB55_15
.LBB55_9:
	s_sub_u32 s0, 0, s9
	v_readfirstlane_b32 s5, v9
	v_readfirstlane_b32 s24, v10
	s_subb_u32 s1, 0, 0
	s_mul_hi_u32 s20, s0, s5
	s_mul_i32 s25, s0, s24
	s_mul_i32 s14, s1, s5
	s_add_i32 s20, s20, s25
	s_add_i32 s20, s20, s14
	s_mul_i32 s26, s0, s5
	s_mul_hi_u32 s14, s5, s20
	s_mul_i32 s25, s5, s20
	s_mul_hi_u32 s5, s5, s26
	s_add_u32 s5, s5, s25
	s_addc_u32 s14, 0, s14
	s_mul_hi_u32 s27, s24, s26
	s_mul_i32 s26, s24, s26
	s_add_u32 s5, s5, s26
	s_mul_hi_u32 s25, s24, s20
	s_addc_u32 s5, s14, s27
	s_addc_u32 s14, s25, 0
	s_mul_i32 s20, s24, s20
	s_add_u32 s5, s5, s20
	s_addc_u32 s14, 0, s14
	v_add_co_u32_e32 v0, vcc, s5, v9
	s_cmp_lg_u64 vcc, 0
	s_addc_u32 s5, s24, s14
	v_readfirstlane_b32 s20, v0
	s_mul_i32 s14, s0, s5
	s_mul_hi_u32 s24, s0, s20
	s_add_i32 s14, s24, s14
	s_mul_i32 s1, s1, s20
	s_add_i32 s14, s14, s1
	s_mul_i32 s0, s0, s20
	s_mul_hi_u32 s24, s5, s0
	s_mul_i32 s25, s5, s0
	s_mul_i32 s27, s20, s14
	s_mul_hi_u32 s0, s20, s0
	s_mul_hi_u32 s26, s20, s14
	s_add_u32 s0, s0, s27
	s_addc_u32 s20, 0, s26
	s_add_u32 s0, s0, s25
	s_mul_hi_u32 s1, s5, s14
	s_addc_u32 s0, s20, s24
	s_addc_u32 s1, s1, 0
	s_mul_i32 s14, s5, s14
	s_add_u32 s0, s0, s14
	s_addc_u32 s1, 0, s1
	v_add_co_u32_e32 v0, vcc, s0, v0
	s_cmp_lg_u64 vcc, 0
	s_addc_u32 s5, s5, s1
	s_ashr_i32 s0, s11, 31
	s_add_u32 s24, s4, s0
	s_mov_b32 s1, s0
	s_addc_u32 s25, s11, s0
	s_xor_b64 s[24:25], s[24:25], s[0:1]
	v_readfirstlane_b32 s14, v0
	s_mul_i32 s11, s24, s5
	s_mul_hi_u32 s20, s24, s14
	s_mul_hi_u32 s1, s24, s5
	s_add_u32 s11, s20, s11
	s_addc_u32 s1, 0, s1
	s_mul_hi_u32 s26, s25, s14
	s_mul_i32 s14, s25, s14
	s_add_u32 s11, s11, s14
	s_mul_hi_u32 s20, s25, s5
	s_addc_u32 s1, s1, s26
	s_addc_u32 s11, s20, 0
	s_mul_i32 s5, s25, s5
	s_add_u32 s1, s1, s5
	s_addc_u32 s5, 0, s11
	s_mul_i32 s5, s9, s5
	s_mul_hi_u32 s20, s9, s1
	s_add_i32 s20, s20, s5
	s_mul_i32 s5, s9, s1
	v_mov_b32_e32 v0, s5
	s_add_u32 s11, s1, 1
	s_add_u32 s14, s1, 2
	v_sub_co_u32_e32 v0, vcc, s24, v0
	s_cmp_lg_u64 vcc, 0
	s_subb_u32 s5, s25, s20
	v_subrev_co_u32_e32 v1, vcc, s9, v0
	s_cmp_lg_u64 vcc, 0
	s_subb_u32 s20, s5, 0
	v_cmp_le_u32_e32 vcc, s9, v1
	s_cmp_eq_u32 s20, 0
	v_cndmask_b32_e64 v1, 0, -1, vcc
	s_cselect_b64 vcc, -1, 0
	v_cndmask_b32_e32 v1, -1, v1, vcc
	v_mov_b32_e32 v13, s11
	v_mov_b32_e32 v14, s14
	v_cmp_ne_u32_e32 vcc, 0, v1
	v_cndmask_b32_e32 v1, v13, v14, vcc
	v_cmp_le_u32_e32 vcc, s9, v0
	s_cmp_eq_u32 s5, 0
	v_cndmask_b32_e64 v0, 0, -1, vcc
	s_cselect_b64 vcc, -1, 0
	v_cndmask_b32_e32 v0, -1, v0, vcc
	v_mov_b32_e32 v13, s1
	v_cmp_ne_u32_e32 vcc, 0, v0
	v_cndmask_b32_e32 v0, v13, v1, vcc
	v_xor_b32_e32 v0, s0, v0
	v_subrev_co_u32_e32 v0, vcc, s0, v0
	s_cbranch_execnz .LBB55_11
.LBB55_10:
	s_sub_i32 s0, 0, s9
	v_mul_lo_u32 v0, s0, v11
	v_mul_hi_u32 v0, v11, v0
	v_add_u32_e32 v0, v11, v0
	v_mul_hi_u32 v0, s4, v0
	v_mul_lo_u32 v13, v0, s9
	v_sub_u32_e32 v13, s4, v13
	v_add_u32_e32 v1, 1, v0
	v_subrev_u32_e32 v14, s9, v13
	v_cmp_le_u32_e32 vcc, s9, v13
	v_cndmask_b32_e32 v13, v13, v14, vcc
	v_cndmask_b32_e32 v0, v0, v1, vcc
	v_add_u32_e32 v1, 1, v0
	v_cmp_le_u32_e32 vcc, s9, v13
	v_cndmask_b32_e32 v0, v0, v1, vcc
.LBB55_11:
	v_cmp_ne_u32_e32 vcc, v8, v0
	s_cbranch_vccz .LBB55_14
; %bb.12:
	s_add_i32 s0, s8, s9
	s_lshl_b32 s0, s0, 6
	v_mul_hi_u32 v1, v0, s16
	s_add_i32 s0, s0, s21
	s_mov_b32 s1, s10
	v_add_u32_e32 v1, v1, v0
	s_lshl_b64 s[0:1], s[0:1], 3
	v_lshrrev_b32_e32 v1, s17, v1
	s_add_u32 s4, s2, s0
	v_mul_lo_u32 v13, v1, s18
	s_addc_u32 s5, s3, s1
	v_cmp_eq_u32_e32 vcc, v13, v0
	v_cmp_gt_u32_e64 s[0:1], s19, v1
	s_or_b64 s[0:1], s[0:1], vcc
	s_and_b64 vcc, exec, s[0:1]
	s_cbranch_vccnz .LBB55_16
; %bb.13:
	s_add_i32 s11, s8, -1
	s_mov_b64 s[0:1], 0
	s_branch .LBB55_17
.LBB55_14:
                                        ; implicit-def: $sgpr0_sgpr1
                                        ; implicit-def: $vgpr14
                                        ; implicit-def: $vgpr1
                                        ; implicit-def: $vgpr13
                                        ; implicit-def: $sgpr11
                                        ; implicit-def: $vgpr0
	s_branch .LBB55_18
.LBB55_15:
                                        ; implicit-def: $vgpr0_vgpr1
	s_branch .LBB55_10
.LBB55_16:
	s_mov_b64 s[0:1], -1
	s_mov_b32 s11, s8
	v_mov_b32_e32 v0, v8
.LBB55_17:
	v_lshl_add_u32 v14, s8, 13, v4
	v_ashrrev_i32_e32 v15, 31, v14
	v_lshlrev_b64 v[14:15], 2, v[14:15]
	v_mov_b32_e32 v1, s23
	v_add_co_u32_e32 v14, vcc, s22, v14
	v_addc_co_u32_e32 v15, vcc, v1, v15, vcc
	global_load_dword v14, v[14:15], off
	s_load_dwordx2 s[4:5], s[4:5], 0x0
	v_max_f32_e32 v1, v7, v7
	s_waitcnt lgkmcnt(0)
	v_max_f32_e64 v13, s4, s4
	v_max_f32_e32 v1, v1, v13
	v_sub_f32_e32 v13, v7, v1
	v_sub_f32_e32 v15, s4, v1
	v_mul_f32_e32 v16, 0x3fb8aa3b, v13
	v_mul_f32_e32 v17, 0x3fb8aa3b, v15
	v_fma_f32 v18, v13, s6, -v16
	v_rndne_f32_e32 v19, v16
	v_fma_f32 v20, v15, s6, -v17
	v_rndne_f32_e32 v21, v17
	v_fmac_f32_e32 v18, 0x32a5705f, v13
	v_sub_f32_e32 v16, v16, v19
	v_fmac_f32_e32 v20, 0x32a5705f, v15
	v_sub_f32_e32 v17, v17, v21
	v_add_f32_e32 v16, v16, v18
	v_cvt_i32_f32_e32 v19, v19
	v_add_f32_e32 v17, v17, v20
	v_exp_f32_e32 v16, v16
	v_cvt_i32_f32_e32 v21, v21
	v_exp_f32_e32 v17, v17
	v_cmp_ngt_f32_e32 vcc, s7, v13
	v_ldexp_f32 v16, v16, v19
	v_cndmask_b32_e32 v16, 0, v16, vcc
	v_ldexp_f32 v17, v17, v21
	v_cmp_ngt_f32_e32 vcc, s7, v15
	v_cndmask_b32_e32 v17, 0, v17, vcc
	v_cmp_nlt_f32_e32 vcc, s12, v13
	v_cndmask_b32_e32 v16, v12, v16, vcc
	v_cmp_nlt_f32_e32 vcc, s12, v15
	v_cndmask_b32_e32 v17, v12, v17, vcc
	v_cmp_le_f32_e32 vcc, s13, v13
	v_cndmask_b32_e32 v16, 0, v16, vcc
	v_cmp_le_f32_e32 vcc, s13, v15
	v_cndmask_b32_e32 v15, 0, v17, vcc
	v_mul_f32_e32 v13, s5, v15
	v_fmac_f32_e32 v13, v6, v16
	s_waitcnt vmcnt(0)
	v_mul_f32_e32 v14, v14, v15
	v_fmac_f32_e32 v14, v5, v16
	s_cbranch_execnz .LBB55_19
.LBB55_18:
	s_add_i32 s11, s8, -1
	s_mov_b64 s[0:1], 0
	v_mov_b32_e32 v0, v8
	v_mov_b32_e32 v13, v6
	;; [unrolled: 1-line block ×3, first 2 shown]
	s_waitcnt vmcnt(0)
	v_mov_b32_e32 v14, v5
.LBB55_19:
	s_andn2_b64 vcc, exec, s[0:1]
	s_cbranch_vccz .LBB55_23
; %bb.20:
	v_mov_b32_e32 v8, v0
	s_mov_b32 s8, s11
	v_mov_b32_e32 v6, v13
	v_mov_b32_e32 v7, v1
	s_waitcnt vmcnt(0)
	v_mov_b32_e32 v5, v14
	s_mul_hi_i32 s11, s8, s15
	s_cmp_lg_u64 s[10:11], 0
	s_mul_i32 s4, s8, s15
	s_cbranch_scc1 .LBB55_9
	s_branch .LBB55_15
.LBB55_21:
                                        ; implicit-def: $sgpr20_sgpr21
	s_load_dwordx4 s[16:19], s[4:5], 0x44
	s_branch .LBB55_2
.LBB55_22:
                                        ; implicit-def: $vgpr2_vgpr3
	s_branch .LBB55_5
.LBB55_23:
	v_div_scale_f32 v0, s[0:1], v13, v13, v14
	v_rcp_f32_e32 v1, v0
	v_div_scale_f32 v4, vcc, v14, v13, v14
	s_waitcnt vmcnt(0)
	v_fma_f32 v5, -v0, v1, 1.0
	v_fmac_f32_e32 v1, v5, v1
	v_mul_f32_e32 v5, v4, v1
	v_fma_f32 v6, -v0, v5, v4
	v_fmac_f32_e32 v5, v6, v1
	v_fma_f32 v0, -v0, v5, v4
	v_div_fmas_f32 v0, v0, v1, v5
	v_div_fixup_f32 v0, v0, v13, v14
	global_store_dword v[2:3], v0, off
.LBB55_24:
	s_endpgm
	.section	.rodata,"a",@progbits
	.p2align	6, 0x0
	.amdhsa_kernel _ZL33flash_attn_stream_k_fixup_generalILi128ELi64ELi1EEvPfPK15HIP_vector_typeIfLj2EEiiiiS1_IjLj3EES5_S5_S5_
		.amdhsa_group_segment_fixed_size 0
		.amdhsa_private_segment_fixed_size 0
		.amdhsa_kernarg_size 336
		.amdhsa_user_sgpr_count 6
		.amdhsa_user_sgpr_private_segment_buffer 1
		.amdhsa_user_sgpr_dispatch_ptr 0
		.amdhsa_user_sgpr_queue_ptr 0
		.amdhsa_user_sgpr_kernarg_segment_ptr 1
		.amdhsa_user_sgpr_dispatch_id 0
		.amdhsa_user_sgpr_flat_scratch_init 0
		.amdhsa_user_sgpr_kernarg_preload_length 0
		.amdhsa_user_sgpr_kernarg_preload_offset 0
		.amdhsa_user_sgpr_private_segment_size 0
		.amdhsa_uses_dynamic_stack 0
		.amdhsa_system_sgpr_private_segment_wavefront_offset 0
		.amdhsa_system_sgpr_workgroup_id_x 1
		.amdhsa_system_sgpr_workgroup_id_y 1
		.amdhsa_system_sgpr_workgroup_id_z 1
		.amdhsa_system_sgpr_workgroup_info 0
		.amdhsa_system_vgpr_workitem_id 0
		.amdhsa_next_free_vgpr 22
		.amdhsa_next_free_sgpr 32
		.amdhsa_accum_offset 24
		.amdhsa_reserve_vcc 1
		.amdhsa_reserve_flat_scratch 0
		.amdhsa_float_round_mode_32 0
		.amdhsa_float_round_mode_16_64 0
		.amdhsa_float_denorm_mode_32 3
		.amdhsa_float_denorm_mode_16_64 3
		.amdhsa_dx10_clamp 1
		.amdhsa_ieee_mode 1
		.amdhsa_fp16_overflow 0
		.amdhsa_tg_split 0
		.amdhsa_exception_fp_ieee_invalid_op 0
		.amdhsa_exception_fp_denorm_src 0
		.amdhsa_exception_fp_ieee_div_zero 0
		.amdhsa_exception_fp_ieee_overflow 0
		.amdhsa_exception_fp_ieee_underflow 0
		.amdhsa_exception_fp_ieee_inexact 0
		.amdhsa_exception_int_div_zero 0
	.end_amdhsa_kernel
	.section	.text._ZL33flash_attn_stream_k_fixup_generalILi128ELi64ELi1EEvPfPK15HIP_vector_typeIfLj2EEiiiiS1_IjLj3EES5_S5_S5_,"axG",@progbits,_ZL33flash_attn_stream_k_fixup_generalILi128ELi64ELi1EEvPfPK15HIP_vector_typeIfLj2EEiiiiS1_IjLj3EES5_S5_S5_,comdat
.Lfunc_end55:
	.size	_ZL33flash_attn_stream_k_fixup_generalILi128ELi64ELi1EEvPfPK15HIP_vector_typeIfLj2EEiiiiS1_IjLj3EES5_S5_S5_, .Lfunc_end55-_ZL33flash_attn_stream_k_fixup_generalILi128ELi64ELi1EEvPfPK15HIP_vector_typeIfLj2EEiiiiS1_IjLj3EES5_S5_S5_
                                        ; -- End function
	.section	.AMDGPU.csdata,"",@progbits
; Kernel info:
; codeLenInByte = 2816
; NumSgprs: 36
; NumVgprs: 22
; NumAgprs: 0
; TotalNumVgprs: 22
; ScratchSize: 0
; MemoryBound: 0
; FloatMode: 240
; IeeeMode: 1
; LDSByteSize: 0 bytes/workgroup (compile time only)
; SGPRBlocks: 4
; VGPRBlocks: 2
; NumSGPRsForWavesPerEU: 36
; NumVGPRsForWavesPerEU: 22
; AccumOffset: 24
; Occupancy: 8
; WaveLimiterHint : 0
; COMPUTE_PGM_RSRC2:SCRATCH_EN: 0
; COMPUTE_PGM_RSRC2:USER_SGPR: 6
; COMPUTE_PGM_RSRC2:TRAP_HANDLER: 0
; COMPUTE_PGM_RSRC2:TGID_X_EN: 1
; COMPUTE_PGM_RSRC2:TGID_Y_EN: 1
; COMPUTE_PGM_RSRC2:TGID_Z_EN: 1
; COMPUTE_PGM_RSRC2:TIDIG_COMP_CNT: 0
; COMPUTE_PGM_RSRC3_GFX90A:ACCUM_OFFSET: 5
; COMPUTE_PGM_RSRC3_GFX90A:TG_SPLIT: 0
	.section	.text._ZL15flash_attn_tileILi128ELi128ELi32ELi1ELb0EEvPKcS1_S1_S1_S1_PKiPfP15HIP_vector_typeIfLj2EEffffjfiS5_IjLj3EEiiiiiiiiiiiliiliiiiil,"axG",@progbits,_ZL15flash_attn_tileILi128ELi128ELi32ELi1ELb0EEvPKcS1_S1_S1_S1_PKiPfP15HIP_vector_typeIfLj2EEffffjfiS5_IjLj3EEiiiiiiiiiiiliiliiiiil,comdat
	.globl	_ZL15flash_attn_tileILi128ELi128ELi32ELi1ELb0EEvPKcS1_S1_S1_S1_PKiPfP15HIP_vector_typeIfLj2EEffffjfiS5_IjLj3EEiiiiiiiiiiiliiliiiiil ; -- Begin function _ZL15flash_attn_tileILi128ELi128ELi32ELi1ELb0EEvPKcS1_S1_S1_S1_PKiPfP15HIP_vector_typeIfLj2EEffffjfiS5_IjLj3EEiiiiiiiiiiiliiliiiiil
	.p2align	8
	.type	_ZL15flash_attn_tileILi128ELi128ELi32ELi1ELb0EEvPKcS1_S1_S1_S1_PKiPfP15HIP_vector_typeIfLj2EEffffjfiS5_IjLj3EEiiiiiiiiiiiliiliiiiil,@function
_ZL15flash_attn_tileILi128ELi128ELi32ELi1ELb0EEvPKcS1_S1_S1_S1_PKiPfP15HIP_vector_typeIfLj2EEffffjfiS5_IjLj3EEiiiiiiiiiiiliiliiiiil: ; @_ZL15flash_attn_tileILi128ELi128ELi32ELi1ELb0EEvPKcS1_S1_S1_S1_PKiPfP15HIP_vector_typeIfLj2EEffffjfiS5_IjLj3EEiiiiiiiiiiiliiliiiiil
; %bb.0:
	s_load_dwordx4 s[36:39], s[4:5], 0x5c
	s_load_dwordx2 s[44:45], s[4:5], 0x80
	s_add_u32 flat_scratch_lo, s6, s11
	s_addc_u32 flat_scratch_hi, s7, 0
	s_add_u32 s0, s0, s11
	s_waitcnt lgkmcnt(0)
	v_cvt_f32_u32_e32 v1, s39
	s_addc_u32 s1, s1, 0
	s_sub_i32 s6, 0, s39
	s_load_dwordx16 s[16:31], s[4:5], 0x0
	v_rcp_iflag_f32_e32 v1, v1
	s_load_dwordx2 s[46:47], s[4:5], 0xb8
	s_mov_b64 s[34:35], 0
	v_mul_f32_e32 v1, 0x4f7ffffe, v1
	v_cvt_u32_f32_e32 v1, v1
	v_readfirstlane_b32 s7, v1
	s_mul_i32 s6, s6, s7
	s_mul_hi_u32 s6, s7, s6
	s_add_i32 s7, s7, s6
	s_mul_hi_u32 s6, s10, s7
	s_mul_i32 s7, s6, s39
	s_sub_i32 s7, s10, s7
	s_add_i32 s11, s6, 1
	s_sub_i32 s12, s7, s39
	s_cmp_ge_u32 s7, s39
	s_cselect_b32 s6, s11, s6
	s_cselect_b32 s7, s12, s7
	s_add_i32 s11, s6, 1
	s_cmp_ge_u32 s7, s39
	s_cselect_b32 s33, s11, s6
	s_abs_i32 s6, s45
	v_cvt_f32_u32_e32 v1, s6
	s_mul_i32 s12, s33, s39
	s_sub_i32 s13, 0, s6
	s_sub_i32 s14, s10, s12
	v_rcp_iflag_f32_e32 v1, v1
	s_abs_i32 s11, s39
	s_xor_b32 s7, s39, s45
	s_ashr_i32 s7, s7, 31
	v_mul_f32_e32 v1, 0x4f7ffffe, v1
	v_cvt_u32_f32_e32 v1, v1
	v_readfirstlane_b32 s10, v1
	s_mul_i32 s13, s13, s10
	s_mul_hi_u32 s12, s10, s13
	s_add_i32 s10, s10, s12
	s_mul_hi_u32 s10, s11, s10
	s_mul_i32 s12, s10, s6
	s_sub_i32 s11, s11, s12
	s_add_i32 s13, s10, 1
	s_sub_i32 s12, s11, s6
	s_cmp_ge_u32 s11, s6
	s_cselect_b32 s10, s13, s10
	s_cselect_b32 s11, s12, s11
	s_add_i32 s12, s10, 1
	s_cmp_ge_u32 s11, s6
	s_cselect_b32 s6, s12, s10
	s_xor_b32 s6, s6, s7
	s_sub_i32 s49, s6, s7
	s_abs_i32 s45, s49
	v_cvt_f32_u32_e32 v1, s45
	s_sub_i32 s6, 0, s45
	s_abs_i32 s48, s14
	v_rcp_iflag_f32_e32 v1, v1
	v_mul_f32_e32 v1, 0x4f7ffffe, v1
	v_cvt_u32_f32_e32 v1, v1
	v_readfirstlane_b32 s7, v1
	s_mul_i32 s6, s6, s7
	s_mul_hi_u32 s6, s7, s6
	s_add_i32 s6, s7, s6
	s_waitcnt lgkmcnt(0)
	s_cmp_eq_u64 s[22:23], 0
	s_cbranch_scc1 .LBB56_2
; %bb.1:
	s_abs_i32 s7, s46
	v_cvt_f32_u32_e32 v1, s7
	s_sub_i32 s15, 0, s7
	s_abs_i32 s13, s33
	s_ashr_i32 s12, s33, 31
	v_rcp_iflag_f32_e32 v1, v1
	s_load_dwordx2 s[10:11], s[4:5], 0xc8
	v_mul_f32_e32 v1, 0x4f7ffffe, v1
	v_cvt_u32_f32_e32 v1, v1
	v_readfirstlane_b32 s34, v1
	s_mul_i32 s15, s15, s34
	s_mul_hi_u32 s15, s34, s15
	s_add_i32 s34, s34, s15
	s_mul_hi_u32 s15, s13, s34
	s_mul_i32 s15, s15, s7
	s_sub_i32 s13, s13, s15
	s_sub_i32 s15, s13, s7
	s_cmp_ge_u32 s13, s7
	s_cselect_b32 s13, s15, s13
	s_sub_i32 s15, s13, s7
	s_cmp_ge_u32 s13, s7
	s_cselect_b32 s7, s15, s13
	s_xor_b32 s7, s7, s12
	s_sub_i32 s7, s7, s12
	s_ashr_i32 s12, s7, 31
	s_waitcnt lgkmcnt(0)
	s_mul_i32 s11, s7, s11
	s_mul_hi_u32 s13, s7, s10
	s_add_i32 s11, s13, s11
	s_mul_i32 s12, s12, s10
	s_add_i32 s11, s11, s12
	s_mul_i32 s7, s7, s10
	s_add_u32 s34, s22, s7
	s_addc_u32 s35, s23, s11
.LBB56_2:
	s_load_dwordx4 s[40:43], s[4:5], 0x40
	s_mul_hi_u32 s46, s48, s6
	s_load_dword s6, s[4:5], 0x50
	v_mov_b32_e32 v44, 1.0
	s_waitcnt lgkmcnt(0)
	v_cmp_le_f32_e64 s[10:11], s41, 0
	s_and_b64 vcc, exec, s[10:11]
	s_cbranch_vccnz .LBB56_4
; %bb.3:
	s_sub_i32 s7, s14, s6
	s_lshl_b32 s7, s7, 1
	s_add_i32 s10, s14, 1
	s_or_b32 s11, s7, 1
	s_cmp_lt_u32 s14, s6
	s_cselect_b64 vcc, -1, 0
	s_and_b64 s[6:7], vcc, exec
	v_mov_b32_e32 v1, s43
	v_mov_b32_e32 v2, s42
	s_cselect_b32 s6, s10, s11
	v_cndmask_b32_e32 v18, v1, v2, vcc
	v_cvt_f32_i32_e32 v1, s6
	v_cmp_neq_f32_e32 vcc, 1.0, v18
	s_mov_b32 s6, 0x3f2aaaab
	s_movk_i32 s10, 0x204
	v_cndmask_b32_e32 v19, 1.0, v1, vcc
	v_cmp_eq_f32_e32 vcc, 0, v19
	v_cndmask_b32_e64 v20, |v18|, 1.0, vcc
	v_frexp_mant_f32_e32 v1, v20
	v_cmp_gt_f32_e64 s[6:7], s6, v1
	v_cndmask_b32_e64 v2, 1.0, 2.0, s[6:7]
	v_mul_f32_e32 v1, v1, v2
	v_add_f32_e32 v2, 1.0, v1
	v_rcp_f32_e32 v10, v2
	v_add_f32_e32 v3, -1.0, v2
	v_sub_f32_e32 v5, v1, v3
	v_add_f32_e32 v3, -1.0, v1
	v_mul_f32_e32 v1, v3, v10
	v_mul_f32_e32 v4, v2, v1
	v_fma_f32 v6, v1, v2, -v4
	v_fmac_f32_e32 v6, v1, v5
	v_add_f32_e32 v2, v4, v6
	v_sub_f32_e32 v5, v3, v2
	v_pk_add_f32 v[8:9], v[2:3], v[4:5] neg_lo:[0,1] neg_hi:[0,1]
	v_mov_b32_e32 v7, v2
	v_pk_add_f32 v[2:3], v[8:9], v[6:7] neg_lo:[0,1] neg_hi:[0,1]
	v_add_f32_e32 v2, v2, v3
	v_add_f32_e32 v2, v5, v2
	v_mul_f32_e32 v3, v10, v2
	v_add_f32_e32 v2, v1, v3
	v_sub_f32_e32 v1, v2, v1
	v_sub_f32_e32 v1, v3, v1
	v_mul_f32_e32 v3, v2, v2
	v_fma_f32 v5, v2, v2, -v3
	v_add_f32_e32 v4, v1, v1
	v_fmac_f32_e32 v5, v2, v4
	v_add_f32_e32 v4, v3, v5
	v_mov_b32_e32 v6, 0x3e91f4c4
	v_fmac_f32_e32 v6, 0x3e76c4e1, v4
	v_mov_b32_e32 v7, 0x3ecccdef
	v_fmac_f32_e32 v7, v4, v6
	v_sub_f32_e32 v3, v4, v3
	v_sub_f32_e32 v12, v5, v3
	v_mul_f32_e32 v3, v4, v7
	v_fma_f32 v5, v4, v7, -v3
	v_fmac_f32_e32 v5, v12, v7
	v_add_f32_e32 v6, v3, v5
	v_add_f32_e32 v7, 0x3f2aaaaa, v6
	v_sub_f32_e32 v3, v6, v3
	v_sub_f32_e32 v3, v5, v3
	v_add_f32_e32 v5, 0xbf2aaaaa, v7
	v_add_f32_e32 v3, 0x31739010, v3
	v_sub_f32_e32 v5, v6, v5
	v_pk_mul_f32 v[8:9], v[2:3], v[4:5]
	v_fma_f32 v6, v4, v2, -v8
	v_pk_add_f32 v[10:11], v[2:3], v[4:5]
	v_fmac_f32_e32 v6, v4, v1
	v_mov_b32_e32 v9, v11
	v_fmac_f32_e32 v6, v12, v2
	v_pk_add_f32 v[4:5], v[8:9], v[6:7]
	v_sub_f32_e32 v3, v4, v8
	v_sub_f32_e32 v3, v6, v3
	;; [unrolled: 1-line block ×3, first 2 shown]
	v_add_f32_e32 v9, v11, v6
	v_mov_b32_e32 v6, v5
	v_pk_mul_f32 v[6:7], v[4:5], v[6:7]
	v_cvt_f64_f32_e32 v[10:11], v20
	v_frexp_exp_i32_f64_e32 v7, v[10:11]
	v_subbrev_co_u32_e64 v7, s[6:7], 0, v7, s[6:7]
	v_cvt_f32_i32_e32 v7, v7
	v_fma_f32 v8, v4, v5, -v6
	v_fmac_f32_e32 v8, v4, v9
	s_mov_b32 s6, 0x3f317218
	v_mul_f32_e32 v4, 0x3f317218, v7
	v_fmac_f32_e32 v8, v3, v5
	v_fma_f32 v10, v7, s6, -v4
	v_fmac_f32_e32 v10, 0xb102e308, v7
	v_ldexp_f32 v11, v2, 1
	v_add_f32_e32 v5, v6, v8
	v_pk_add_f32 v[2:3], v[4:5], v[10:11]
	v_mov_b32_e32 v12, v5
	v_mov_b32_e32 v13, v3
	;; [unrolled: 1-line block ×3, first 2 shown]
	v_pk_add_f32 v[6:7], v[12:13], v[6:7] neg_lo:[0,1] neg_hi:[0,1]
	v_mov_b32_e32 v9, v5
	v_ldexp_f32 v1, v1, 1
	v_pk_add_f32 v[6:7], v[8:9], v[6:7] neg_lo:[0,1] neg_hi:[0,1]
	v_add_f32_e32 v1, v1, v6
	v_add_f32_e32 v5, v1, v7
	v_pk_add_f32 v[6:7], v[2:3], v[4:5] neg_lo:[0,1] neg_hi:[0,1]
	v_pk_add_f32 v[8:9], v[2:3], v[4:5]
	v_mov_b32_e32 v12, v6
	v_mov_b32_e32 v13, v9
	;; [unrolled: 1-line block ×3, first 2 shown]
	v_pk_add_f32 v[12:13], v[10:11], v[12:13]
	v_mov_b32_e32 v4, v13
	v_pk_add_f32 v[14:15], v[4:5], v[2:3] neg_lo:[0,1] neg_hi:[0,1]
	v_mov_b32_e32 v1, v14
	v_mov_b32_e32 v12, v9
	v_mov_b32_e32 v2, v3
	v_mov_b32_e32 v3, v14
	v_pk_add_f32 v[6:7], v[10:11], v[6:7] neg_lo:[0,1] neg_hi:[0,1]
	v_pk_add_f32 v[16:17], v[8:9], v[0:1] neg_lo:[0,1] neg_hi:[0,1]
	;; [unrolled: 1-line block ×3, first 2 shown]
	v_mov_b32_e32 v10, v5
	v_pk_add_f32 v[2:3], v[10:11], v[2:3] neg_lo:[0,1] neg_hi:[0,1]
	v_mov_b32_e32 v16, v6
	v_pk_add_f32 v[8:9], v[16:17], v[2:3]
	v_mov_b32_e32 v10, v9
	v_pk_add_f32 v[10:11], v[8:9], v[10:11]
	v_pk_add_f32 v[4:5], v[4:5], v[10:11]
	v_mov_b32_e32 v7, v13
	v_mov_b32_e32 v9, v4
	v_pk_add_f32 v[12:13], v[8:9], v[6:7] neg_lo:[0,1] neg_hi:[0,1]
	v_mov_b32_e32 v3, v10
	v_sub_f32_e32 v1, v8, v12
	v_pk_add_f32 v[2:3], v[2:3], v[12:13] neg_lo:[0,1] neg_hi:[0,1]
	v_sub_f32_e32 v1, v6, v1
	v_add_f32_e32 v1, v2, v1
	v_add_f32_e32 v1, v1, v3
	;; [unrolled: 1-line block ×3, first 2 shown]
	v_sub_f32_e32 v3, v2, v4
	v_sub_f32_e32 v1, v1, v3
	v_mul_f32_e32 v3, v19, v2
	v_fma_f32 v2, v19, v2, -v3
	v_fmac_f32_e32 v2, v19, v1
	v_add_f32_e32 v1, v3, v2
	v_cmp_class_f32_e64 s[6:7], v3, s10
	v_sub_f32_e32 v4, v1, v3
	v_cndmask_b32_e64 v1, v1, v3, s[6:7]
	s_mov_b32 s12, 0x42b17218
	v_mov_b32_e32 v3, 0x37000000
	v_cmp_eq_f32_e64 s[6:7], s12, v1
	v_cndmask_b32_e64 v3, 0, v3, s[6:7]
	v_sub_f32_e32 v2, v2, v4
	v_sub_f32_e32 v4, v1, v3
	s_mov_b32 s6, 0x3fb8aa3b
	v_mul_f32_e32 v5, 0x3fb8aa3b, v4
	v_fma_f32 v6, v4, s6, -v5
	v_rndne_f32_e32 v7, v5
	v_fmac_f32_e32 v6, 0x32a5705f, v4
	v_sub_f32_e32 v5, v5, v7
	v_add_f32_e32 v5, v5, v6
	v_exp_f32_e32 v5, v5
	v_cvt_i32_f32_e32 v6, v7
	s_mov_b32 s11, 0x7f800000
	v_cmp_neq_f32_e64 s[6:7], |v1|, s11
	v_cndmask_b32_e64 v1, 0, v2, s[6:7]
	s_mov_b32 s6, 0xc2ce8ed0
	v_ldexp_f32 v2, v5, v6
	v_cmp_ngt_f32_e64 s[6:7], s6, v4
	v_add_f32_e32 v1, v3, v1
	v_cndmask_b32_e64 v2, 0, v2, s[6:7]
	v_mov_b32_e32 v3, 0x7f800000
	v_cmp_nlt_f32_e64 s[6:7], s12, v4
	v_cndmask_b32_e64 v2, v3, v2, s[6:7]
	v_fma_f32 v1, v2, v1, v2
	v_cmp_class_f32_e64 s[6:7], v2, s10
	v_trunc_f32_e32 v4, v19
	v_cndmask_b32_e64 v1, v1, v2, s[6:7]
	v_cndmask_b32_e64 v2, v18, 1.0, vcc
	v_cmp_eq_f32_e32 vcc, v4, v19
	v_mul_f32_e32 v4, 0.5, v19
	v_trunc_f32_e32 v6, v4
	v_cmp_neq_f32_e64 s[6:7], v6, v4
	s_and_b64 s[6:7], vcc, s[6:7]
	v_cndmask_b32_e64 v4, 1.0, v2, s[6:7]
	s_brev_b32 s15, -2
	v_mov_b32_e32 v5, 0x7fc00000
	v_bfi_b32 v1, s15, v1, v4
	v_cndmask_b32_e32 v4, v5, v1, vcc
	v_cmp_gt_f32_e32 vcc, 0, v2
	v_cndmask_b32_e32 v1, v1, v4, vcc
	v_cmp_eq_f32_e32 vcc, s11, v20
	v_cmp_eq_f32_e64 s[10:11], 0, v2
	v_cmp_gt_f32_e64 s[12:13], 0, v19
	s_xor_b64 s[12:13], s[12:13], s[10:11]
	v_cndmask_b32_e64 v3, v3, 0, s[12:13]
	v_cndmask_b32_e64 v4, 0, v2, s[6:7]
	v_bfi_b32 v3, s15, v3, v4
	s_or_b64 vcc, vcc, s[10:11]
	v_cndmask_b32_e32 v1, v1, v3, vcc
	v_cmp_o_f32_e32 vcc, v2, v2
	v_cndmask_b32_e32 v44, v5, v1, vcc
.LBB56_4:
	s_load_dwordx4 s[52:55], s[4:5], 0x70
	s_ashr_i32 s15, s14, 31
	s_ashr_i32 s6, s49, 31
	s_lshl_b32 s22, s8, 5
	v_bfe_u32 v42, v0, 10, 10
	s_waitcnt lgkmcnt(0)
	s_mul_i32 s7, s33, s54
	s_ashr_i32 s11, s7, 31
	s_mul_i32 s10, s14, s53
	s_add_u32 s7, s16, s7
	s_addc_u32 s11, s17, s11
	s_ashr_i32 s12, s10, 31
	v_lshlrev_b32_e32 v38, 2, v42
	v_and_b32_e32 v39, 0x3ff, v0
	s_add_u32 s7, s7, s10
	v_lshlrev_b32_e32 v0, 4, v39
	v_add_u32_e32 v40, s22, v38
	v_add_co_u32_e32 v18, vcc, s7, v0
	v_mul_hi_u32 v0, v40, s36
	v_add_u32_e32 v0, v40, v0
	v_lshrrev_b32_e32 v0, s37, v0
	s_addc_u32 s10, s11, s12
	s_ashr_i32 s12, s52, 31
	v_mul_lo_u32 v0, v0, s38
	v_mov_b32_e32 v2, s52
	v_sub_u32_e32 v0, v40, v0
	v_alignbit_b32 v14, s12, v2, 2
	v_mov_b32_e32 v1, s10
	v_mad_u64_u32 v[2:3], s[10:11], v14, v0, 0
	v_mov_b32_e32 v4, v3
	s_lshr_b32 s7, s12, 2
	v_mad_u64_u32 v[4:5], s[10:11], s7, v0, v[4:5]
	v_mov_b32_e32 v3, v4
	v_or_b32_e32 v36, 1, v38
	v_addc_co_u32_e32 v1, vcc, 0, v1, vcc
	v_lshlrev_b64 v[2:3], 2, v[2:3]
	v_add_u32_e32 v37, s22, v36
	v_add_co_u32_e32 v10, vcc, v18, v2
	v_mul_hi_u32 v2, v37, s36
	v_add_u32_e32 v2, v37, v2
	v_lshrrev_b32_e32 v2, s37, v2
	v_mul_lo_u32 v2, v2, s38
	v_sub_u32_e32 v5, v37, v2
	v_addc_co_u32_e32 v11, vcc, v1, v3, vcc
	v_mad_u64_u32 v[2:3], s[10:11], v14, v5, 0
	v_mov_b32_e32 v4, v3
	v_mad_u64_u32 v[4:5], s[10:11], s7, v5, v[4:5]
	v_mov_b32_e32 v3, v4
	v_lshlrev_b64 v[2:3], 2, v[2:3]
	v_or_b32_e32 v33, 2, v38
	v_add_co_u32_e32 v12, vcc, v18, v2
	v_add_u32_e32 v34, s22, v33
	v_addc_co_u32_e32 v13, vcc, v1, v3, vcc
	global_load_dwordx4 v[2:5], v[10:11], off
	global_load_dwordx4 v[6:9], v[12:13], off
	v_mul_hi_u32 v10, v34, s36
	v_add_u32_e32 v10, v34, v10
	v_lshrrev_b32_e32 v10, s37, v10
	v_mul_lo_u32 v10, v10, s38
	v_sub_u32_e32 v13, v34, v10
	v_or_b32_e32 v21, 3, v38
	v_mad_u64_u32 v[10:11], s[10:11], v14, v13, 0
	v_add_u32_e32 v32, s22, v21
	v_mov_b32_e32 v12, v11
	v_mul_hi_u32 v15, v32, s36
	v_mad_u64_u32 v[12:13], s[10:11], s7, v13, v[12:13]
	v_add_u32_e32 v15, v32, v15
	v_mov_b32_e32 v11, v12
	v_lshrrev_b32_e32 v15, s37, v15
	v_lshlrev_b64 v[10:11], 2, v[10:11]
	v_mul_lo_u32 v15, v15, s38
	v_add_co_u32_e32 v10, vcc, v18, v10
	v_sub_u32_e32 v17, v32, v15
	v_addc_co_u32_e32 v11, vcc, v1, v11, vcc
	v_mad_u64_u32 v[14:15], s[10:11], v14, v17, 0
	global_load_dwordx4 v[10:13], v[10:11], off
	v_mov_b32_e32 v16, v15
	v_mad_u64_u32 v[16:17], s[10:11], s7, v17, v[16:17]
	v_mov_b32_e32 v15, v16
	v_lshlrev_b64 v[14:15], 2, v[14:15]
	v_add_co_u32_e32 v14, vcc, v18, v14
	v_addc_co_u32_e32 v15, vcc, v1, v15, vcc
	global_load_dwordx4 v[14:17], v[14:15], off
	v_lshlrev_b32_e32 v1, 1, v39
	s_cmp_eq_u64 s[26:27], 0
	s_waitcnt vmcnt(3)
	v_pk_mul_f32 v[2:3], v[2:3], s[40:41] op_sel_hi:[1,0]
	v_pk_mul_f32 v[4:5], v[4:5], s[40:41] op_sel_hi:[1,0]
	v_cvt_f16_f32_e32 v18, v3
	v_cvt_f16_f32_e32 v3, v5
	v_cvt_f16_f32_e32 v4, v4
	v_cvt_f16_f32_e32 v2, v2
	v_lshlrev_b32_e32 v5, 8, v42
	v_add_lshl_u32 v5, v5, v1, 2
	v_pack_b32_f16 v3, v4, v3
	v_pack_b32_f16 v2, v2, v18
	ds_write_b64 v5, v[2:3] offset:9216
	s_waitcnt vmcnt(2)
	v_pk_mul_f32 v[2:3], v[6:7], s[40:41] op_sel_hi:[1,0]
	v_pk_mul_f32 v[4:5], v[8:9], s[40:41] op_sel_hi:[1,0]
	v_cvt_f16_f32_e32 v6, v3
	v_cvt_f16_f32_e32 v3, v5
	v_cvt_f16_f32_e32 v4, v4
	v_cvt_f16_f32_e32 v2, v2
	v_lshlrev_b32_e32 v5, 6, v36
	v_add_lshl_u32 v5, v5, v1, 2
	v_pack_b32_f16 v3, v4, v3
	v_pack_b32_f16 v2, v2, v6
	ds_write_b64 v5, v[2:3] offset:9216
	;; [unrolled: 12-line block ×4, first 2 shown]
	s_waitcnt lgkmcnt(0)
	s_barrier
	s_cbranch_scc1 .LBB56_6
; %bb.5:
	s_load_dword s7, s[4:5], 0xd0
	s_mov_b32 s11, 0
	s_waitcnt lgkmcnt(0)
	s_mul_i32 s7, s7, s33
	s_add_i32 s10, s7, s8
	s_lshl_b64 s[10:11], s[10:11], 2
	s_add_u32 s10, s26, s10
	s_addc_u32 s11, s27, s11
	s_load_dword s44, s[10:11], 0x0
.LBB56_6:
	s_nop 0
	s_load_dwordx2 s[10:11], s[4:5], 0x8c
	s_load_dwordx4 s[40:43], s[4:5], 0x98
	s_ashr_i32 s7, s33, 31
	s_ashr_i32 s23, s47, 1
	s_mul_i32 s16, s46, s45
	s_waitcnt lgkmcnt(0)
	s_ashr_i32 s12, s10, 2
	s_mul_i32 s10, s33, s41
	s_mul_hi_u32 s13, s33, s40
	s_add_i32 s10, s13, s10
	s_mul_i32 s13, s7, s40
	s_ashr_i32 s8, s42, 2
	s_add_i32 s10, s10, s13
	s_mul_i32 s13, s33, s40
	s_add_u32 s13, s18, s13
	s_addc_u32 s10, s19, s10
	s_sub_i32 s16, s48, s16
	s_xor_b32 s6, s15, s6
	s_add_i32 s17, s46, 1
	s_sub_i32 s18, s16, s45
	s_cmp_ge_u32 s16, s45
	s_cselect_b32 s17, s17, s46
	s_cselect_b32 s16, s18, s16
	s_add_i32 s18, s17, 1
	s_cmp_ge_u32 s16, s45
	s_cselect_b32 s16, s18, s17
	s_load_dwordx2 s[26:27], s[4:5], 0xa8
	s_xor_b32 s16, s16, s6
	s_sub_i32 s6, s16, s6
	s_mul_i32 s11, s6, s11
	s_ashr_i32 s16, s11, 31
	s_add_u32 s13, s13, s11
	s_addc_u32 s16, s10, s16
	s_waitcnt lgkmcnt(0)
	s_mul_i32 s10, s33, s27
	s_mul_hi_u32 s11, s33, s26
	s_add_i32 s10, s11, s10
	s_mul_i32 s7, s7, s26
	s_add_i32 s10, s10, s7
	s_mul_i32 s7, s33, s26
	s_add_u32 s7, s20, s7
	s_mul_i32 s6, s6, s43
	s_addc_u32 s10, s21, s10
	s_ashr_i32 s11, s6, 31
	s_add_u32 s18, s7, s6
	v_lshlrev_b32_e32 v35, 2, v39
	s_addc_u32 s19, s10, s11
	s_lshl_b32 s20, s9, 6
	s_sub_i32 s17, s44, 64
	s_mov_b32 s40, 0xfeffffff
	s_cmp_ge_i32 s20, s17
	v_mov_b32_e32 v11, 0
	v_mov_b32_e32 v49, 0
	v_mul_lo_u32 v57, v0, s23
	v_lshrrev_b32_e32 v1, 3, v39
	v_and_b32_e32 v0, 28, v35
	v_or_b32_e32 v55, 1, v40
	v_or_b32_e32 v54, 2, v40
	v_or_b32_e32 v51, 3, v40
	v_lshlrev_b32_e32 v41, 3, v39
	v_lshrrev_b32_e32 v43, 4, v39
	v_and_b32_e32 v20, 60, v35
	v_mbcnt_lo_u32_b32 v56, -1, 0
	s_cbranch_scc1 .LBB56_27
; %bb.7:
	v_mov_b32_e32 v6, 0x2400
	v_lshl_add_u32 v61, v42, 10, v6
	v_mul_hi_u32 v6, s36, v55
	v_add_u32_e32 v6, v55, v6
	v_lshrrev_b32_e32 v6, s37, v6
	v_mul_lo_u32 v6, v6, s38
	v_sub_u32_e32 v6, v55, v6
	v_mul_lo_u32 v62, v6, s23
	v_mul_hi_u32 v6, s36, v54
	v_add_u32_e32 v6, v54, v6
	v_lshrrev_b32_e32 v6, s37, v6
	v_mul_lo_u32 v6, v6, s38
	v_sub_u32_e32 v6, v54, v6
	v_mul_lo_u32 v63, v6, s23
	;; [unrolled: 6-line block ×3, first 2 shown]
	v_mov_b32_e32 v6, 0x4400
	v_add_u32_e32 v2, v1, v38
	v_lshlrev_b32_e32 v3, 2, v0
	s_movk_i32 s6, 0x90
	s_cmp_lg_u64 s[34:35], 0
	v_lshl_add_u32 v65, v42, 9, v6
	v_lshl_add_u32 v6, v42, 1, v43
	v_lshlrev_b32_e32 v7, 2, v20
	v_mad_u32_u24 v58, v2, s6, v3
	v_mul_lo_u32 v2, s12, v2
	v_lshl_or_b32 v66, v6, 8, v7
	v_mul_lo_u32 v6, s8, v6
	s_cselect_b64 s[6:7], -1, 0
	s_add_u32 s10, s4, 0xd0
	v_lshl_add_u32 v4, s12, 5, v2
	v_lshl_add_u32 v8, s8, 4, v6
	s_addc_u32 s11, s5, 0
	v_mov_b32_e32 v46, 0
	v_ashrrev_i32_e32 v3, 31, v2
	v_ashrrev_i32_e32 v5, 31, v4
	;; [unrolled: 1-line block ×4, first 2 shown]
	s_add_u32 s21, s34, 64
	v_mov_b32_e32 v18, 0xfeffffff
	v_cndmask_b32_e64 v10, 0, 1, s[6:7]
	v_add_u32_e32 v59, 0x1200, v58
	v_mul_u32_u24_e32 v60, 0x90, v39
	v_add_u32_e32 v67, 0x1000, v66
	s_addc_u32 s26, s35, 0
	v_lshlrev_b64 v[2:3], 2, v[2:3]
	v_lshlrev_b32_e32 v68, 2, v0
	v_lshlrev_b64 v[4:5], 2, v[4:5]
	v_mbcnt_hi_u32_b32 v69, -1, v56
	s_mov_b32 s27, 0x3fb8aa3b
	s_mov_b32 s40, 0xc2ce8ed0
	;; [unrolled: 1-line block ×3, first 2 shown]
	v_lshlrev_b64 v[6:7], 2, v[6:7]
	v_lshlrev_b32_e32 v70, 2, v20
	v_lshlrev_b64 v[16:17], 2, v[8:9]
	v_cmp_ne_u32_e64 s[6:7], 1, v10
	v_mov_b32_e32 v71, 0x7f800000
	v_mov_b32_e32 v50, 0
	;; [unrolled: 1-line block ×15, first 2 shown]
.LBB56_8:                               ; =>This Inner Loop Header: Depth=1
	s_mul_hi_i32 s43, s20, s12
	s_mul_i32 s42, s20, s12
	s_lshl_b64 s[42:43], s[42:43], 2
	s_add_u32 s42, s13, s42
	s_addc_u32 s43, s16, s43
	v_mov_b32_e32 v14, s43
	v_add_co_u32_e32 v15, vcc, s42, v2
	v_addc_co_u32_e32 v14, vcc, v14, v3, vcc
	v_add_co_u32_e32 v22, vcc, v15, v68
	v_addc_co_u32_e32 v23, vcc, 0, v14, vcc
	v_mov_b32_e32 v14, s43
	v_add_co_u32_e32 v15, vcc, s42, v4
	v_addc_co_u32_e32 v14, vcc, v14, v5, vcc
	v_add_co_u32_e32 v24, vcc, v15, v68
	v_addc_co_u32_e32 v25, vcc, 0, v14, vcc
	global_load_dwordx4 v[72:75], v[22:23], off
	global_load_dwordx4 v[76:79], v[24:25], off
	v_mov_b32_e32 v26, 0
	v_mov_b32_e32 v28, 0
	;; [unrolled: 1-line block ×8, first 2 shown]
	s_and_b64 vcc, exec, s[6:7]
	s_waitcnt vmcnt(1)
	ds_write_b128 v58, v[72:75]
	s_waitcnt vmcnt(0)
	ds_write_b128 v59, v[76:79]
	s_waitcnt lgkmcnt(0)
	s_barrier
	ds_read_b128 v[72:75], v61
	ds_read_b128 v[76:79], v60
	ds_read_b128 v[80:83], v60 offset:4608
	ds_read_b128 v[84:87], v61 offset:256
	ds_read_b128 v[88:91], v61 offset:512
	ds_read_b128 v[92:95], v61 offset:768
	s_waitcnt lgkmcnt(4)
	;;#ASMSTART
	v_dot2_f32_f16 v26, v76, v72, v26
	;;#ASMEND
	;;#ASMSTART
	v_dot2_f32_f16 v26, v77, v73, v26
	;;#ASMEND
	;;#ASMSTART
	v_dot2_f32_f16 v26, v78, v74, v26
	;;#ASMEND
	;;#ASMSTART
	v_dot2_f32_f16 v26, v79, v75, v26
	;;#ASMEND
	s_waitcnt lgkmcnt(2)
	;;#ASMSTART
	v_dot2_f32_f16 v28, v76, v84, v28
	;;#ASMEND
	;;#ASMSTART
	v_dot2_f32_f16 v28, v77, v85, v28
	;;#ASMEND
	;;#ASMSTART
	v_dot2_f32_f16 v28, v78, v86, v28
	;;#ASMEND
	;;#ASMSTART
	v_dot2_f32_f16 v28, v79, v87, v28
	;;#ASMEND
	;; [unrolled: 13-line block ×4, first 2 shown]
	;;#ASMSTART
	v_dot2_f32_f16 v27, v80, v72, v27
	;;#ASMEND
	;;#ASMSTART
	v_dot2_f32_f16 v27, v81, v73, v27
	;;#ASMEND
	;; [unrolled: 3-line block ×16, first 2 shown]
	ds_read_b128 v[72:75], v61 offset:16
	ds_read_b128 v[76:79], v60 offset:16
	;; [unrolled: 1-line block ×6, first 2 shown]
	s_waitcnt lgkmcnt(4)
	;;#ASMSTART
	v_dot2_f32_f16 v26, v76, v72, v26
	;;#ASMEND
	;;#ASMSTART
	v_dot2_f32_f16 v26, v77, v73, v26
	;;#ASMEND
	;;#ASMSTART
	v_dot2_f32_f16 v26, v78, v74, v26
	;;#ASMEND
	;;#ASMSTART
	v_dot2_f32_f16 v26, v79, v75, v26
	;;#ASMEND
	s_waitcnt lgkmcnt(2)
	;;#ASMSTART
	v_dot2_f32_f16 v28, v76, v84, v28
	;;#ASMEND
	;;#ASMSTART
	v_dot2_f32_f16 v28, v77, v85, v28
	;;#ASMEND
	;;#ASMSTART
	v_dot2_f32_f16 v28, v78, v86, v28
	;;#ASMEND
	;;#ASMSTART
	v_dot2_f32_f16 v28, v79, v87, v28
	;;#ASMEND
	;; [unrolled: 13-line block ×4, first 2 shown]
	;;#ASMSTART
	v_dot2_f32_f16 v27, v80, v72, v27
	;;#ASMEND
	;;#ASMSTART
	v_dot2_f32_f16 v27, v81, v73, v27
	;;#ASMEND
	;; [unrolled: 3-line block ×16, first 2 shown]
	ds_read_b128 v[72:75], v61 offset:32
	ds_read_b128 v[76:79], v60 offset:32
	;; [unrolled: 1-line block ×6, first 2 shown]
	s_waitcnt lgkmcnt(4)
	;;#ASMSTART
	v_dot2_f32_f16 v26, v76, v72, v26
	;;#ASMEND
	;;#ASMSTART
	v_dot2_f32_f16 v26, v77, v73, v26
	;;#ASMEND
	;;#ASMSTART
	v_dot2_f32_f16 v26, v78, v74, v26
	;;#ASMEND
	;;#ASMSTART
	v_dot2_f32_f16 v26, v79, v75, v26
	;;#ASMEND
	s_waitcnt lgkmcnt(2)
	;;#ASMSTART
	v_dot2_f32_f16 v28, v76, v84, v28
	;;#ASMEND
	;;#ASMSTART
	v_dot2_f32_f16 v28, v77, v85, v28
	;;#ASMEND
	;;#ASMSTART
	v_dot2_f32_f16 v28, v78, v86, v28
	;;#ASMEND
	;;#ASMSTART
	v_dot2_f32_f16 v28, v79, v87, v28
	;;#ASMEND
	;; [unrolled: 13-line block ×4, first 2 shown]
	;;#ASMSTART
	v_dot2_f32_f16 v27, v80, v72, v27
	;;#ASMEND
	;;#ASMSTART
	v_dot2_f32_f16 v27, v81, v73, v27
	;;#ASMEND
	;;#ASMSTART
	v_dot2_f32_f16 v27, v82, v74, v27
	;;#ASMEND
	;;#ASMSTART
	v_dot2_f32_f16 v27, v83, v75, v27
	;;#ASMEND
	;;#ASMSTART
	v_dot2_f32_f16 v29, v80, v84, v29
	;;#ASMEND
	;;#ASMSTART
	v_dot2_f32_f16 v29, v81, v85, v29
	;;#ASMEND
	;;#ASMSTART
	v_dot2_f32_f16 v29, v82, v86, v29
	;;#ASMEND
	;;#ASMSTART
	v_dot2_f32_f16 v29, v83, v87, v29
	;;#ASMEND
	;;#ASMSTART
	v_dot2_f32_f16 v31, v80, v88, v31
	;;#ASMEND
	;;#ASMSTART
	v_dot2_f32_f16 v31, v81, v89, v31
	;;#ASMEND
	;;#ASMSTART
	v_dot2_f32_f16 v31, v82, v90, v31
	;;#ASMEND
	;;#ASMSTART
	v_dot2_f32_f16 v31, v83, v91, v31
	;;#ASMEND
	;;#ASMSTART
	v_dot2_f32_f16 v15, v80, v92, v15
	;;#ASMEND
	;;#ASMSTART
	v_dot2_f32_f16 v15, v81, v93, v15
	;;#ASMEND
	;;#ASMSTART
	v_dot2_f32_f16 v15, v82, v94, v15
	;;#ASMEND
	;;#ASMSTART
	v_dot2_f32_f16 v15, v83, v95, v15
	;;#ASMEND
	ds_read_b128 v[72:75], v61 offset:48
	ds_read_b128 v[76:79], v60 offset:48
	;; [unrolled: 1-line block ×6, first 2 shown]
	s_waitcnt lgkmcnt(4)
	;;#ASMSTART
	v_dot2_f32_f16 v26, v76, v72, v26
	;;#ASMEND
	;;#ASMSTART
	v_dot2_f32_f16 v26, v77, v73, v26
	;;#ASMEND
	;;#ASMSTART
	v_dot2_f32_f16 v26, v78, v74, v26
	;;#ASMEND
	;;#ASMSTART
	v_dot2_f32_f16 v26, v79, v75, v26
	;;#ASMEND
	s_waitcnt lgkmcnt(2)
	;;#ASMSTART
	v_dot2_f32_f16 v28, v76, v84, v28
	;;#ASMEND
	;;#ASMSTART
	v_dot2_f32_f16 v28, v77, v85, v28
	;;#ASMEND
	;;#ASMSTART
	v_dot2_f32_f16 v28, v78, v86, v28
	;;#ASMEND
	;;#ASMSTART
	v_dot2_f32_f16 v28, v79, v87, v28
	;;#ASMEND
	;; [unrolled: 13-line block ×4, first 2 shown]
	;;#ASMSTART
	v_dot2_f32_f16 v27, v80, v72, v27
	;;#ASMEND
	;;#ASMSTART
	v_dot2_f32_f16 v27, v81, v73, v27
	;;#ASMEND
	;; [unrolled: 3-line block ×16, first 2 shown]
	ds_read_b128 v[72:75], v61 offset:64
	ds_read_b128 v[76:79], v60 offset:64
	;; [unrolled: 1-line block ×6, first 2 shown]
	s_waitcnt lgkmcnt(4)
	;;#ASMSTART
	v_dot2_f32_f16 v26, v76, v72, v26
	;;#ASMEND
	;;#ASMSTART
	v_dot2_f32_f16 v26, v77, v73, v26
	;;#ASMEND
	;;#ASMSTART
	v_dot2_f32_f16 v26, v78, v74, v26
	;;#ASMEND
	;;#ASMSTART
	v_dot2_f32_f16 v26, v79, v75, v26
	;;#ASMEND
	s_waitcnt lgkmcnt(2)
	;;#ASMSTART
	v_dot2_f32_f16 v28, v76, v84, v28
	;;#ASMEND
	;;#ASMSTART
	v_dot2_f32_f16 v28, v77, v85, v28
	;;#ASMEND
	;;#ASMSTART
	v_dot2_f32_f16 v28, v78, v86, v28
	;;#ASMEND
	;;#ASMSTART
	v_dot2_f32_f16 v28, v79, v87, v28
	;;#ASMEND
	;; [unrolled: 13-line block ×4, first 2 shown]
	;;#ASMSTART
	v_dot2_f32_f16 v27, v80, v72, v27
	;;#ASMEND
	;;#ASMSTART
	v_dot2_f32_f16 v27, v81, v73, v27
	;;#ASMEND
	;; [unrolled: 3-line block ×16, first 2 shown]
	ds_read_b128 v[72:75], v61 offset:80
	ds_read_b128 v[76:79], v60 offset:80
	;; [unrolled: 1-line block ×6, first 2 shown]
	s_waitcnt lgkmcnt(4)
	;;#ASMSTART
	v_dot2_f32_f16 v26, v76, v72, v26
	;;#ASMEND
	;;#ASMSTART
	v_dot2_f32_f16 v26, v77, v73, v26
	;;#ASMEND
	;;#ASMSTART
	v_dot2_f32_f16 v26, v78, v74, v26
	;;#ASMEND
	;;#ASMSTART
	v_dot2_f32_f16 v26, v79, v75, v26
	;;#ASMEND
	s_waitcnt lgkmcnt(2)
	;;#ASMSTART
	v_dot2_f32_f16 v28, v76, v84, v28
	;;#ASMEND
	;;#ASMSTART
	v_dot2_f32_f16 v28, v77, v85, v28
	;;#ASMEND
	;;#ASMSTART
	v_dot2_f32_f16 v28, v78, v86, v28
	;;#ASMEND
	;;#ASMSTART
	v_dot2_f32_f16 v28, v79, v87, v28
	;;#ASMEND
	;; [unrolled: 13-line block ×4, first 2 shown]
	;;#ASMSTART
	v_dot2_f32_f16 v27, v80, v72, v27
	;;#ASMEND
	;;#ASMSTART
	v_dot2_f32_f16 v27, v81, v73, v27
	;;#ASMEND
	;; [unrolled: 3-line block ×16, first 2 shown]
	ds_read_b128 v[72:75], v61 offset:96
	ds_read_b128 v[76:79], v60 offset:96
	ds_read_b128 v[80:83], v60 offset:4704
	ds_read_b128 v[84:87], v61 offset:352
	ds_read_b128 v[88:91], v61 offset:608
	ds_read_b128 v[92:95], v61 offset:864
	s_waitcnt lgkmcnt(4)
	;;#ASMSTART
	v_dot2_f32_f16 v26, v76, v72, v26
	;;#ASMEND
	;;#ASMSTART
	v_dot2_f32_f16 v26, v77, v73, v26
	;;#ASMEND
	;;#ASMSTART
	v_dot2_f32_f16 v26, v78, v74, v26
	;;#ASMEND
	;;#ASMSTART
	v_dot2_f32_f16 v26, v79, v75, v26
	;;#ASMEND
	s_waitcnt lgkmcnt(2)
	;;#ASMSTART
	v_dot2_f32_f16 v28, v76, v84, v28
	;;#ASMEND
	;;#ASMSTART
	v_dot2_f32_f16 v28, v77, v85, v28
	;;#ASMEND
	;;#ASMSTART
	v_dot2_f32_f16 v28, v78, v86, v28
	;;#ASMEND
	;;#ASMSTART
	v_dot2_f32_f16 v28, v79, v87, v28
	;;#ASMEND
	;; [unrolled: 13-line block ×4, first 2 shown]
	;;#ASMSTART
	v_dot2_f32_f16 v27, v80, v72, v27
	;;#ASMEND
	;;#ASMSTART
	v_dot2_f32_f16 v27, v81, v73, v27
	;;#ASMEND
	;; [unrolled: 3-line block ×16, first 2 shown]
	ds_read_b128 v[72:75], v61 offset:112
	ds_read_b128 v[76:79], v60 offset:112
	;; [unrolled: 1-line block ×6, first 2 shown]
	s_waitcnt lgkmcnt(4)
	;;#ASMSTART
	v_dot2_f32_f16 v26, v76, v72, v26
	;;#ASMEND
	;;#ASMSTART
	v_dot2_f32_f16 v26, v77, v73, v26
	;;#ASMEND
	;;#ASMSTART
	v_dot2_f32_f16 v26, v78, v74, v26
	;;#ASMEND
	;;#ASMSTART
	v_dot2_f32_f16 v26, v79, v75, v26
	;;#ASMEND
	s_waitcnt lgkmcnt(2)
	;;#ASMSTART
	v_dot2_f32_f16 v28, v76, v84, v28
	;;#ASMEND
	;;#ASMSTART
	v_dot2_f32_f16 v28, v77, v85, v28
	;;#ASMEND
	;;#ASMSTART
	v_dot2_f32_f16 v28, v78, v86, v28
	;;#ASMEND
	;;#ASMSTART
	v_dot2_f32_f16 v28, v79, v87, v28
	;;#ASMEND
	;; [unrolled: 13-line block ×4, first 2 shown]
	;;#ASMSTART
	v_dot2_f32_f16 v27, v80, v72, v27
	;;#ASMEND
	;;#ASMSTART
	v_dot2_f32_f16 v27, v81, v73, v27
	;;#ASMEND
	;; [unrolled: 3-line block ×16, first 2 shown]
	s_barrier
	global_load_dwordx4 v[72:75], v[22:23], off offset:128
	global_load_dwordx4 v[76:79], v[24:25], off offset:128
	s_waitcnt vmcnt(1)
	ds_write_b128 v58, v[72:75]
	s_waitcnt vmcnt(0)
	ds_write_b128 v59, v[76:79]
	s_waitcnt lgkmcnt(0)
	s_barrier
	ds_read_b128 v[22:25], v61 offset:128
	ds_read_b128 v[72:75], v60
	ds_read_b128 v[76:79], v60 offset:4608
	ds_read_b128 v[80:83], v61 offset:384
	;; [unrolled: 1-line block ×4, first 2 shown]
	s_waitcnt lgkmcnt(4)
	;;#ASMSTART
	v_dot2_f32_f16 v26, v72, v22, v26
	;;#ASMEND
	;;#ASMSTART
	v_dot2_f32_f16 v26, v73, v23, v26
	;;#ASMEND
	;;#ASMSTART
	v_dot2_f32_f16 v26, v74, v24, v26
	;;#ASMEND
	;;#ASMSTART
	v_dot2_f32_f16 v26, v75, v25, v26
	;;#ASMEND
	s_waitcnt lgkmcnt(2)
	;;#ASMSTART
	v_dot2_f32_f16 v28, v72, v80, v28
	;;#ASMEND
	;;#ASMSTART
	v_dot2_f32_f16 v28, v73, v81, v28
	;;#ASMEND
	;;#ASMSTART
	v_dot2_f32_f16 v28, v74, v82, v28
	;;#ASMEND
	;;#ASMSTART
	v_dot2_f32_f16 v28, v75, v83, v28
	;;#ASMEND
	;; [unrolled: 13-line block ×4, first 2 shown]
	;;#ASMSTART
	v_dot2_f32_f16 v27, v76, v22, v27
	;;#ASMEND
	;;#ASMSTART
	v_dot2_f32_f16 v27, v77, v23, v27
	;;#ASMEND
	;; [unrolled: 3-line block ×16, first 2 shown]
	ds_read_b128 v[22:25], v61 offset:144
	ds_read_b128 v[72:75], v60 offset:16
	ds_read_b128 v[76:79], v60 offset:4624
	ds_read_b128 v[80:83], v61 offset:400
	ds_read_b128 v[84:87], v61 offset:656
	ds_read_b128 v[88:91], v61 offset:912
	s_waitcnt lgkmcnt(4)
	;;#ASMSTART
	v_dot2_f32_f16 v26, v72, v22, v26
	;;#ASMEND
	;;#ASMSTART
	v_dot2_f32_f16 v26, v73, v23, v26
	;;#ASMEND
	;;#ASMSTART
	v_dot2_f32_f16 v26, v74, v24, v26
	;;#ASMEND
	;;#ASMSTART
	v_dot2_f32_f16 v26, v75, v25, v26
	;;#ASMEND
	s_waitcnt lgkmcnt(2)
	;;#ASMSTART
	v_dot2_f32_f16 v28, v72, v80, v28
	;;#ASMEND
	;;#ASMSTART
	v_dot2_f32_f16 v28, v73, v81, v28
	;;#ASMEND
	;;#ASMSTART
	v_dot2_f32_f16 v28, v74, v82, v28
	;;#ASMEND
	;;#ASMSTART
	v_dot2_f32_f16 v28, v75, v83, v28
	;;#ASMEND
	;; [unrolled: 13-line block ×4, first 2 shown]
	;;#ASMSTART
	v_dot2_f32_f16 v27, v76, v22, v27
	;;#ASMEND
	;;#ASMSTART
	v_dot2_f32_f16 v27, v77, v23, v27
	;;#ASMEND
	;; [unrolled: 3-line block ×16, first 2 shown]
	ds_read_b128 v[22:25], v61 offset:160
	ds_read_b128 v[72:75], v60 offset:32
	;; [unrolled: 1-line block ×6, first 2 shown]
	s_waitcnt lgkmcnt(4)
	;;#ASMSTART
	v_dot2_f32_f16 v26, v72, v22, v26
	;;#ASMEND
	;;#ASMSTART
	v_dot2_f32_f16 v26, v73, v23, v26
	;;#ASMEND
	;;#ASMSTART
	v_dot2_f32_f16 v26, v74, v24, v26
	;;#ASMEND
	;;#ASMSTART
	v_dot2_f32_f16 v26, v75, v25, v26
	;;#ASMEND
	s_waitcnt lgkmcnt(2)
	;;#ASMSTART
	v_dot2_f32_f16 v28, v72, v80, v28
	;;#ASMEND
	;;#ASMSTART
	v_dot2_f32_f16 v28, v73, v81, v28
	;;#ASMEND
	;;#ASMSTART
	v_dot2_f32_f16 v28, v74, v82, v28
	;;#ASMEND
	;;#ASMSTART
	v_dot2_f32_f16 v28, v75, v83, v28
	;;#ASMEND
	;; [unrolled: 13-line block ×4, first 2 shown]
	;;#ASMSTART
	v_dot2_f32_f16 v27, v76, v22, v27
	;;#ASMEND
	;;#ASMSTART
	v_dot2_f32_f16 v27, v77, v23, v27
	;;#ASMEND
	;; [unrolled: 3-line block ×16, first 2 shown]
	ds_read_b128 v[22:25], v61 offset:176
	ds_read_b128 v[72:75], v60 offset:48
	;; [unrolled: 1-line block ×6, first 2 shown]
	s_waitcnt lgkmcnt(4)
	;;#ASMSTART
	v_dot2_f32_f16 v26, v72, v22, v26
	;;#ASMEND
	;;#ASMSTART
	v_dot2_f32_f16 v26, v73, v23, v26
	;;#ASMEND
	;;#ASMSTART
	v_dot2_f32_f16 v26, v74, v24, v26
	;;#ASMEND
	;;#ASMSTART
	v_dot2_f32_f16 v26, v75, v25, v26
	;;#ASMEND
	s_waitcnt lgkmcnt(2)
	;;#ASMSTART
	v_dot2_f32_f16 v28, v72, v80, v28
	;;#ASMEND
	;;#ASMSTART
	v_dot2_f32_f16 v28, v73, v81, v28
	;;#ASMEND
	;;#ASMSTART
	v_dot2_f32_f16 v28, v74, v82, v28
	;;#ASMEND
	;;#ASMSTART
	v_dot2_f32_f16 v28, v75, v83, v28
	;;#ASMEND
	;; [unrolled: 13-line block ×4, first 2 shown]
	;;#ASMSTART
	v_dot2_f32_f16 v27, v76, v22, v27
	;;#ASMEND
	;;#ASMSTART
	v_dot2_f32_f16 v27, v77, v23, v27
	;;#ASMEND
	;;#ASMSTART
	v_dot2_f32_f16 v27, v78, v24, v27
	;;#ASMEND
	;;#ASMSTART
	v_dot2_f32_f16 v27, v79, v25, v27
	;;#ASMEND
	;;#ASMSTART
	v_dot2_f32_f16 v29, v76, v80, v29
	;;#ASMEND
	;;#ASMSTART
	v_dot2_f32_f16 v29, v77, v81, v29
	;;#ASMEND
	;;#ASMSTART
	v_dot2_f32_f16 v29, v78, v82, v29
	;;#ASMEND
	;;#ASMSTART
	v_dot2_f32_f16 v29, v79, v83, v29
	;;#ASMEND
	;;#ASMSTART
	v_dot2_f32_f16 v31, v76, v84, v31
	;;#ASMEND
	;;#ASMSTART
	v_dot2_f32_f16 v31, v77, v85, v31
	;;#ASMEND
	;;#ASMSTART
	v_dot2_f32_f16 v31, v78, v86, v31
	;;#ASMEND
	;;#ASMSTART
	v_dot2_f32_f16 v31, v79, v87, v31
	;;#ASMEND
	;;#ASMSTART
	v_dot2_f32_f16 v15, v76, v88, v15
	;;#ASMEND
	;;#ASMSTART
	v_dot2_f32_f16 v15, v77, v89, v15
	;;#ASMEND
	;;#ASMSTART
	v_dot2_f32_f16 v15, v78, v90, v15
	;;#ASMEND
	;;#ASMSTART
	v_dot2_f32_f16 v15, v79, v91, v15
	;;#ASMEND
	ds_read_b128 v[22:25], v61 offset:192
	ds_read_b128 v[72:75], v60 offset:64
	;; [unrolled: 1-line block ×6, first 2 shown]
	s_waitcnt lgkmcnt(4)
	;;#ASMSTART
	v_dot2_f32_f16 v26, v72, v22, v26
	;;#ASMEND
	;;#ASMSTART
	v_dot2_f32_f16 v26, v73, v23, v26
	;;#ASMEND
	;;#ASMSTART
	v_dot2_f32_f16 v26, v74, v24, v26
	;;#ASMEND
	;;#ASMSTART
	v_dot2_f32_f16 v26, v75, v25, v26
	;;#ASMEND
	s_waitcnt lgkmcnt(2)
	;;#ASMSTART
	v_dot2_f32_f16 v28, v72, v80, v28
	;;#ASMEND
	;;#ASMSTART
	v_dot2_f32_f16 v28, v73, v81, v28
	;;#ASMEND
	;;#ASMSTART
	v_dot2_f32_f16 v28, v74, v82, v28
	;;#ASMEND
	;;#ASMSTART
	v_dot2_f32_f16 v28, v75, v83, v28
	;;#ASMEND
	;; [unrolled: 13-line block ×4, first 2 shown]
	;;#ASMSTART
	v_dot2_f32_f16 v27, v76, v22, v27
	;;#ASMEND
	;;#ASMSTART
	v_dot2_f32_f16 v27, v77, v23, v27
	;;#ASMEND
	;; [unrolled: 3-line block ×16, first 2 shown]
	ds_read_b128 v[22:25], v61 offset:208
	ds_read_b128 v[72:75], v60 offset:80
	;; [unrolled: 1-line block ×6, first 2 shown]
	s_waitcnt lgkmcnt(4)
	;;#ASMSTART
	v_dot2_f32_f16 v26, v72, v22, v26
	;;#ASMEND
	;;#ASMSTART
	v_dot2_f32_f16 v26, v73, v23, v26
	;;#ASMEND
	;;#ASMSTART
	v_dot2_f32_f16 v26, v74, v24, v26
	;;#ASMEND
	;;#ASMSTART
	v_dot2_f32_f16 v26, v75, v25, v26
	;;#ASMEND
	s_waitcnt lgkmcnt(2)
	;;#ASMSTART
	v_dot2_f32_f16 v28, v72, v80, v28
	;;#ASMEND
	;;#ASMSTART
	v_dot2_f32_f16 v28, v73, v81, v28
	;;#ASMEND
	;;#ASMSTART
	v_dot2_f32_f16 v28, v74, v82, v28
	;;#ASMEND
	;;#ASMSTART
	v_dot2_f32_f16 v28, v75, v83, v28
	;;#ASMEND
	;; [unrolled: 13-line block ×4, first 2 shown]
	;;#ASMSTART
	v_dot2_f32_f16 v27, v76, v22, v27
	;;#ASMEND
	;;#ASMSTART
	v_dot2_f32_f16 v27, v77, v23, v27
	;;#ASMEND
	;;#ASMSTART
	v_dot2_f32_f16 v27, v78, v24, v27
	;;#ASMEND
	;;#ASMSTART
	v_dot2_f32_f16 v27, v79, v25, v27
	;;#ASMEND
	;;#ASMSTART
	v_dot2_f32_f16 v29, v76, v80, v29
	;;#ASMEND
	;;#ASMSTART
	v_dot2_f32_f16 v29, v77, v81, v29
	;;#ASMEND
	;;#ASMSTART
	v_dot2_f32_f16 v29, v78, v82, v29
	;;#ASMEND
	;;#ASMSTART
	v_dot2_f32_f16 v29, v79, v83, v29
	;;#ASMEND
	;;#ASMSTART
	v_dot2_f32_f16 v31, v76, v84, v31
	;;#ASMEND
	;;#ASMSTART
	v_dot2_f32_f16 v31, v77, v85, v31
	;;#ASMEND
	;;#ASMSTART
	v_dot2_f32_f16 v31, v78, v86, v31
	;;#ASMEND
	;;#ASMSTART
	v_dot2_f32_f16 v31, v79, v87, v31
	;;#ASMEND
	;;#ASMSTART
	v_dot2_f32_f16 v15, v76, v88, v15
	;;#ASMEND
	;;#ASMSTART
	v_dot2_f32_f16 v15, v77, v89, v15
	;;#ASMEND
	;;#ASMSTART
	v_dot2_f32_f16 v15, v78, v90, v15
	;;#ASMEND
	;;#ASMSTART
	v_dot2_f32_f16 v15, v79, v91, v15
	;;#ASMEND
	ds_read_b128 v[22:25], v61 offset:224
	ds_read_b128 v[72:75], v60 offset:96
	;; [unrolled: 1-line block ×6, first 2 shown]
	s_waitcnt lgkmcnt(4)
	;;#ASMSTART
	v_dot2_f32_f16 v26, v72, v22, v26
	;;#ASMEND
	;;#ASMSTART
	v_dot2_f32_f16 v26, v73, v23, v26
	;;#ASMEND
	;;#ASMSTART
	v_dot2_f32_f16 v26, v74, v24, v26
	;;#ASMEND
	;;#ASMSTART
	v_dot2_f32_f16 v26, v75, v25, v26
	;;#ASMEND
	s_waitcnt lgkmcnt(2)
	;;#ASMSTART
	v_dot2_f32_f16 v28, v72, v80, v28
	;;#ASMEND
	;;#ASMSTART
	v_dot2_f32_f16 v28, v73, v81, v28
	;;#ASMEND
	;;#ASMSTART
	v_dot2_f32_f16 v28, v74, v82, v28
	;;#ASMEND
	;;#ASMSTART
	v_dot2_f32_f16 v28, v75, v83, v28
	;;#ASMEND
	s_waitcnt lgkmcnt(1)
	;;#ASMSTART
	v_dot2_f32_f16 v30, v72, v84, v30
	;;#ASMEND
	;;#ASMSTART
	v_dot2_f32_f16 v30, v73, v85, v30
	;;#ASMEND
	;;#ASMSTART
	v_dot2_f32_f16 v30, v74, v86, v30
	;;#ASMEND
	;;#ASMSTART
	v_dot2_f32_f16 v30, v75, v87, v30
	;;#ASMEND
	s_waitcnt lgkmcnt(0)
	;;#ASMSTART
	v_dot2_f32_f16 v14, v72, v88, v14
	;;#ASMEND
	;;#ASMSTART
	v_dot2_f32_f16 v14, v73, v89, v14
	;;#ASMEND
	;;#ASMSTART
	v_dot2_f32_f16 v14, v74, v90, v14
	;;#ASMEND
	;;#ASMSTART
	v_dot2_f32_f16 v14, v75, v91, v14
	;;#ASMEND
	;;#ASMSTART
	v_dot2_f32_f16 v27, v76, v22, v27
	;;#ASMEND
	;;#ASMSTART
	v_dot2_f32_f16 v27, v77, v23, v27
	;;#ASMEND
	;; [unrolled: 3-line block ×16, first 2 shown]
	ds_read_b128 v[22:25], v61 offset:240
	ds_read_b128 v[72:75], v60 offset:112
	;; [unrolled: 1-line block ×6, first 2 shown]
	s_waitcnt lgkmcnt(4)
	;;#ASMSTART
	v_dot2_f32_f16 v26, v72, v22, v26
	;;#ASMEND
	;;#ASMSTART
	v_dot2_f32_f16 v26, v73, v23, v26
	;;#ASMEND
	;;#ASMSTART
	v_dot2_f32_f16 v26, v74, v24, v26
	;;#ASMEND
	;;#ASMSTART
	v_dot2_f32_f16 v26, v75, v25, v26
	;;#ASMEND
	s_waitcnt lgkmcnt(2)
	;;#ASMSTART
	v_dot2_f32_f16 v28, v72, v80, v28
	;;#ASMEND
	;;#ASMSTART
	v_dot2_f32_f16 v28, v73, v81, v28
	;;#ASMEND
	;;#ASMSTART
	v_dot2_f32_f16 v28, v74, v82, v28
	;;#ASMEND
	;;#ASMSTART
	v_dot2_f32_f16 v28, v75, v83, v28
	;;#ASMEND
	;; [unrolled: 13-line block ×4, first 2 shown]
	;;#ASMSTART
	v_dot2_f32_f16 v27, v76, v22, v27
	;;#ASMEND
	;;#ASMSTART
	v_dot2_f32_f16 v27, v77, v23, v27
	;;#ASMEND
	;; [unrolled: 3-line block ×16, first 2 shown]
	v_add_u32_e32 v79, s20, v39
	v_add_u32_e32 v22, v79, v57
	v_ashrrev_i32_e32 v23, 31, v22
	v_mov_b32_e32 v24, 0
	s_cbranch_vccnz .LBB56_10
; %bb.9:                                ;   in Loop: Header=BB56_8 Depth=1
	v_lshlrev_b64 v[24:25], 1, v[22:23]
	v_mov_b32_e32 v72, s35
	v_add_co_u32_e32 v24, vcc, s34, v24
	v_addc_co_u32_e32 v25, vcc, v72, v25, vcc
	flat_load_ushort v24, v[24:25]
	s_waitcnt vmcnt(0) lgkmcnt(0)
	v_cvt_f32_f16_e32 v24, v24
	v_mul_f32_e32 v24, v44, v24
.LBB56_10:                              ;   in Loop: Header=BB56_8 Depth=1
	s_and_b64 vcc, exec, s[6:7]
	v_mov_b32_e32 v25, 0
	v_mov_b32_e32 v72, 0
	s_cbranch_vccnz .LBB56_12
; %bb.11:                               ;   in Loop: Header=BB56_8 Depth=1
	v_lshlrev_b64 v[22:23], 1, v[22:23]
	v_mov_b32_e32 v72, s26
	v_add_co_u32_e32 v22, vcc, s21, v22
	v_addc_co_u32_e32 v23, vcc, v72, v23, vcc
	flat_load_ushort v22, v[22:23]
	s_waitcnt vmcnt(0) lgkmcnt(0)
	v_cvt_f32_f16_e32 v22, v22
	v_mul_f32_e32 v72, v44, v22
.LBB56_12:                              ;   in Loop: Header=BB56_8 Depth=1
	v_and_b32_e32 v22, 0x60, v69
	v_add_f32_e32 v24, v26, v24
	v_add_u32_e32 v26, 32, v22
	v_xor_b32_e32 v22, 16, v69
	v_cmp_lt_i32_e32 vcc, v22, v26
	v_cndmask_b32_e32 v22, v69, v22, vcc
	v_lshlrev_b32_e32 v77, 2, v22
	v_add_f32_e32 v22, v27, v72
	v_add_f32_e32 v23, 0x40051340, v24
	v_add_f32_e32 v27, 0x40051340, v22
	v_max3_f32 v23, v18, v23, v27
	ds_bpermute_b32 v27, v77, v23
	v_xor_b32_e32 v72, 8, v69
	v_cmp_lt_i32_e32 vcc, v72, v26
	v_cndmask_b32_e32 v72, v69, v72, vcc
	v_lshlrev_b32_e32 v81, 2, v72
	s_waitcnt lgkmcnt(0)
	v_max_f32_e32 v27, v27, v27
	v_max_f32_e32 v23, v23, v27
	ds_bpermute_b32 v27, v81, v23
	v_xor_b32_e32 v72, 4, v69
	v_cmp_lt_i32_e32 vcc, v72, v26
	v_cndmask_b32_e32 v72, v69, v72, vcc
	v_lshlrev_b32_e32 v80, 2, v72
	s_waitcnt lgkmcnt(0)
	v_max_f32_e32 v27, v27, v27
	v_max_f32_e32 v23, v23, v27
	;; [unrolled: 8-line block ×4, first 2 shown]
	ds_bpermute_b32 v73, v76, v72
	v_add_u32_e32 v26, v79, v62
	s_and_b64 vcc, exec, s[6:7]
	v_ashrrev_i32_e32 v27, 31, v26
	s_cbranch_vccnz .LBB56_14
; %bb.13:                               ;   in Loop: Header=BB56_8 Depth=1
	v_lshlrev_b64 v[74:75], 1, v[26:27]
	v_mov_b32_e32 v23, s35
	v_add_co_u32_e32 v74, vcc, s34, v74
	v_addc_co_u32_e32 v75, vcc, v23, v75, vcc
	flat_load_ushort v23, v[74:75]
	s_waitcnt vmcnt(0) lgkmcnt(0)
	v_cvt_f32_f16_e32 v23, v23
	v_mul_f32_e32 v25, v44, v23
.LBB56_14:                              ;   in Loop: Header=BB56_8 Depth=1
	s_and_b64 vcc, exec, s[6:7]
	v_mov_b32_e32 v82, 0
	v_mov_b32_e32 v23, 0
	s_cbranch_vccnz .LBB56_16
; %bb.15:                               ;   in Loop: Header=BB56_8 Depth=1
	v_lshlrev_b64 v[26:27], 1, v[26:27]
	v_mov_b32_e32 v23, s26
	v_add_co_u32_e32 v26, vcc, s21, v26
	v_addc_co_u32_e32 v27, vcc, v23, v27, vcc
	flat_load_ushort v23, v[26:27]
	s_waitcnt vmcnt(0) lgkmcnt(0)
	v_cvt_f32_f16_e32 v23, v23
	v_mul_f32_e32 v23, v44, v23
.LBB56_16:                              ;   in Loop: Header=BB56_8 Depth=1
	v_add_f32_e32 v25, v28, v25
	v_add_f32_e32 v23, v29, v23
	;; [unrolled: 1-line block ×4, first 2 shown]
	v_max3_f32 v26, v19, v26, v27
	ds_bpermute_b32 v27, v77, v26
	v_add_u32_e32 v28, v79, v63
	s_and_b64 vcc, exec, s[6:7]
	v_ashrrev_i32_e32 v29, 31, v28
	s_waitcnt lgkmcnt(0)
	v_max_f32_e32 v27, v27, v27
	v_max_f32_e32 v26, v26, v27
	ds_bpermute_b32 v27, v81, v26
	s_waitcnt lgkmcnt(0)
	v_max_f32_e32 v27, v27, v27
	v_max_f32_e32 v26, v26, v27
	ds_bpermute_b32 v27, v80, v26
	s_waitcnt lgkmcnt(0)
	v_max_f32_e32 v27, v27, v27
	v_max_f32_e32 v26, v26, v27
	ds_bpermute_b32 v27, v78, v26
	s_waitcnt lgkmcnt(0)
	v_max_f32_e32 v27, v27, v27
	v_max_f32_e32 v74, v26, v27
	ds_bpermute_b32 v75, v76, v74
	s_cbranch_vccnz .LBB56_18
; %bb.17:                               ;   in Loop: Header=BB56_8 Depth=1
	v_lshlrev_b64 v[26:27], 1, v[28:29]
	v_mov_b32_e32 v82, s35
	v_add_co_u32_e32 v26, vcc, s34, v26
	v_addc_co_u32_e32 v27, vcc, v82, v27, vcc
	flat_load_ushort v26, v[26:27]
	s_waitcnt vmcnt(0) lgkmcnt(0)
	v_cvt_f32_f16_e32 v26, v26
	v_mul_f32_e32 v82, v44, v26
.LBB56_18:                              ;   in Loop: Header=BB56_8 Depth=1
	s_and_b64 vcc, exec, s[6:7]
	v_mov_b32_e32 v26, 0
	v_mov_b32_e32 v27, 0
	s_cbranch_vccnz .LBB56_20
; %bb.19:                               ;   in Loop: Header=BB56_8 Depth=1
	v_lshlrev_b64 v[28:29], 1, v[28:29]
	v_mov_b32_e32 v27, s26
	v_add_co_u32_e32 v28, vcc, s21, v28
	v_addc_co_u32_e32 v29, vcc, v27, v29, vcc
	flat_load_ushort v27, v[28:29]
	s_waitcnt vmcnt(0) lgkmcnt(0)
	v_cvt_f32_f16_e32 v27, v27
	v_mul_f32_e32 v27, v44, v27
.LBB56_20:                              ;   in Loop: Header=BB56_8 Depth=1
	v_add_f32_e32 v82, v30, v82
	v_add_f32_e32 v30, v31, v27
	;; [unrolled: 1-line block ×4, first 2 shown]
	v_max3_f32 v27, v12, v28, v27
	ds_bpermute_b32 v28, v77, v27
	s_and_b64 vcc, exec, s[6:7]
	s_waitcnt lgkmcnt(0)
	v_max_f32_e32 v28, v28, v28
	v_max_f32_e32 v27, v27, v28
	ds_bpermute_b32 v28, v81, v27
	s_waitcnt lgkmcnt(0)
	v_max_f32_e32 v28, v28, v28
	v_max_f32_e32 v27, v27, v28
	ds_bpermute_b32 v28, v80, v27
	;; [unrolled: 4-line block ×4, first 2 shown]
	v_add_u32_e32 v28, v79, v64
	v_ashrrev_i32_e32 v29, 31, v28
	s_cbranch_vccnz .LBB56_22
; %bb.21:                               ;   in Loop: Header=BB56_8 Depth=1
	v_lshlrev_b64 v[26:27], 1, v[28:29]
	v_mov_b32_e32 v79, s35
	v_add_co_u32_e32 v26, vcc, s34, v26
	v_addc_co_u32_e32 v27, vcc, v79, v27, vcc
	flat_load_ushort v26, v[26:27]
	s_waitcnt vmcnt(0) lgkmcnt(0)
	v_cvt_f32_f16_e32 v26, v26
	v_mul_f32_e32 v26, v44, v26
.LBB56_22:                              ;   in Loop: Header=BB56_8 Depth=1
	s_and_b64 vcc, exec, s[6:7]
	s_cbranch_vccnz .LBB56_24
; %bb.23:                               ;   in Loop: Header=BB56_8 Depth=1
	v_lshlrev_b64 v[28:29], 1, v[28:29]
	v_mov_b32_e32 v27, s26
	v_add_co_u32_e32 v28, vcc, s21, v28
	v_addc_co_u32_e32 v29, vcc, v27, v29, vcc
	flat_load_ushort v27, v[28:29]
	s_waitcnt vmcnt(0) lgkmcnt(0)
	v_cvt_f32_f16_e32 v27, v27
	v_mul_f32_e32 v27, v44, v27
	s_branch .LBB56_25
.LBB56_24:                              ;   in Loop: Header=BB56_8 Depth=1
	v_mov_b32_e32 v27, 0
.LBB56_25:                              ;   in Loop: Header=BB56_8 Depth=1
	v_pk_add_f32 v[84:85], v[14:15], v[26:27]
	v_add_f32_e32 v14, 0x40051340, v84
	v_add_f32_e32 v15, 0x40051340, v85
	v_max3_f32 v14, v13, v14, v15
	ds_bpermute_b32 v15, v77, v14
	v_max_f32_e32 v27, v31, v31
	v_max_f32_e32 v72, v72, v72
	s_mul_hi_i32 s43, s20, s8
	s_mul_i32 s42, s20, s8
	s_waitcnt lgkmcnt(0)
	v_max_f32_e32 v15, v15, v15
	v_max_f32_e32 v15, v14, v15
	ds_bpermute_b32 v26, v81, v15
	v_max_f32_e32 v14, v83, v83
	v_max_f32_e32 v14, v27, v14
	v_sub_f32_e32 v27, v82, v14
	v_mul_f32_e32 v28, 0x3fb8aa3b, v27
	s_waitcnt lgkmcnt(0)
	v_max_f32_e32 v26, v26, v26
	v_max_f32_e32 v15, v15, v26
	ds_bpermute_b32 v26, v80, v15
	v_fma_f32 v29, v27, s27, -v28
	v_rndne_f32_e32 v31, v28
	v_fmac_f32_e32 v29, 0x32a5705f, v27
	v_sub_f32_e32 v28, v28, v31
	s_waitcnt lgkmcnt(0)
	v_max_f32_e32 v26, v26, v26
	v_max_f32_e32 v15, v15, v26
	ds_bpermute_b32 v26, v78, v15
	v_add_f32_e32 v28, v28, v29
	v_cvt_i32_f32_e32 v31, v31
	v_exp_f32_e32 v28, v28
	v_sub_f32_e32 v29, v30, v14
	s_waitcnt lgkmcnt(0)
	v_max_f32_e32 v26, v26, v26
	v_max_f32_e32 v15, v15, v26
	ds_bpermute_b32 v26, v76, v15
	v_ldexp_f32 v28, v28, v31
	v_cmp_ngt_f32_e32 vcc, s40, v27
	v_cndmask_b32_e32 v28, 0, v28, vcc
	v_cmp_nlt_f32_e32 vcc, s41, v27
	s_waitcnt lgkmcnt(0)
	v_max_f32_e32 v26, v26, v26
	v_max_f32_e32 v15, v15, v26
	v_mul_f32_e32 v26, 0x3fb8aa3b, v29
	v_fma_f32 v30, v29, s27, -v26
	v_rndne_f32_e32 v31, v26
	v_fmac_f32_e32 v30, 0x32a5705f, v29
	v_sub_f32_e32 v26, v26, v31
	v_add_f32_e32 v26, v26, v30
	v_exp_f32_e32 v30, v26
	v_cvt_i32_f32_e32 v31, v31
	v_cndmask_b32_e32 v26, v71, v28, vcc
	v_cmp_ngt_f32_e32 vcc, s40, v29
	v_pk_add_f32 v[12:13], v[12:13], v[14:15] neg_lo:[0,1] neg_hi:[0,1]
	v_ldexp_f32 v27, v30, v31
	v_cndmask_b32_e32 v27, 0, v27, vcc
	v_cmp_nlt_f32_e32 vcc, s41, v29
	v_cndmask_b32_e32 v28, v71, v27, vcc
	v_mul_f32_e32 v27, 0x3fb8aa3b, v13
	v_fma_f32 v29, v13, s27, -v27
	v_rndne_f32_e32 v30, v27
	v_fmac_f32_e32 v29, 0x32a5705f, v13
	v_sub_f32_e32 v27, v27, v30
	v_add_f32_e32 v27, v27, v29
	v_cvt_i32_f32_e32 v29, v30
	v_mul_f32_e32 v30, 0x3fb8aa3b, v12
	v_fma_f32 v31, v12, s27, -v30
	v_rndne_f32_e32 v76, v30
	v_fmac_f32_e32 v31, 0x32a5705f, v12
	v_sub_f32_e32 v30, v30, v76
	v_exp_f32_e32 v27, v27
	v_add_f32_e32 v30, v30, v31
	v_exp_f32_e32 v30, v30
	v_cvt_i32_f32_e32 v31, v76
	v_ldexp_f32 v27, v27, v29
	v_cmp_ngt_f32_e32 vcc, s40, v13
	v_cndmask_b32_e32 v27, 0, v27, vcc
	v_ldexp_f32 v29, v30, v31
	v_cmp_ngt_f32_e32 vcc, s40, v12
	v_cndmask_b32_e32 v29, 0, v29, vcc
	v_cmp_nlt_f32_e32 vcc, s41, v12
	v_mov_b32_e32 v12, v15
	v_pk_add_f32 v[76:77], v[84:85], v[12:13] op_sel_hi:[1,0] neg_lo:[0,1] neg_hi:[0,1]
	v_mul_f32_e32 v12, 0x3fb8aa3b, v77
	v_cndmask_b32_e32 v30, v71, v29, vcc
	v_fma_f32 v29, v77, s27, -v12
	v_rndne_f32_e32 v31, v12
	v_fmac_f32_e32 v29, 0x32a5705f, v77
	v_sub_f32_e32 v12, v12, v31
	v_add_f32_e32 v12, v12, v29
	v_exp_f32_e32 v12, v12
	v_cvt_i32_f32_e32 v29, v31
	v_cmp_nlt_f32_e32 vcc, s41, v13
	v_mul_f32_e32 v13, 0x3fb8aa3b, v76
	v_cndmask_b32_e32 v31, v71, v27, vcc
	v_ldexp_f32 v12, v12, v29
	v_fma_f32 v27, v76, s27, -v13
	v_rndne_f32_e32 v29, v13
	v_fmac_f32_e32 v27, 0x32a5705f, v76
	v_sub_f32_e32 v13, v13, v29
	v_add_f32_e32 v13, v13, v27
	v_exp_f32_e32 v13, v13
	v_cvt_i32_f32_e32 v27, v29
	v_cmp_ngt_f32_e32 vcc, s40, v77
	v_cndmask_b32_e32 v12, 0, v12, vcc
	v_cmp_nlt_f32_e32 vcc, s41, v77
	v_cndmask_b32_e32 v29, v71, v12, vcc
	v_ldexp_f32 v12, v13, v27
	v_cmp_ngt_f32_e32 vcc, s40, v76
	v_cndmask_b32_e32 v12, 0, v12, vcc
	v_cmp_nlt_f32_e32 vcc, s41, v76
	v_cndmask_b32_e32 v27, v71, v12, vcc
	v_max_f32_e32 v12, v75, v75
	v_max_f32_e32 v13, v74, v74
	;; [unrolled: 1-line block ×5, first 2 shown]
	v_pk_add_f32 v[24:25], v[24:25], v[12:13] neg_lo:[0,1] neg_hi:[0,1]
	v_cvt_f16_f32_e32 v88, v30
	v_mul_f32_e32 v72, 0x3fb8aa3b, v25
	v_fma_f32 v73, v25, s27, -v72
	v_rndne_f32_e32 v74, v72
	v_fmac_f32_e32 v73, 0x32a5705f, v25
	v_sub_f32_e32 v72, v72, v74
	v_add_f32_e32 v72, v72, v73
	v_pk_mul_f16 v84, v88, v53 op_sel_hi:[0,1]
	v_cvt_f16_f32_e32 v53, v31
	v_exp_f32_e32 v72, v72
	v_cvt_i32_f32_e32 v73, v74
	s_lshl_b64 s[42:43], s[42:43], 2
	v_pk_mul_f16 v50, v53, v50 op_sel_hi:[0,1]
	v_pk_mul_f16 v46, v53, v46 op_sel_hi:[0,1]
	v_ldexp_f32 v53, v72, v73
	v_mul_f32_e32 v72, 0x3fb8aa3b, v24
	v_fma_f32 v73, v24, s27, -v72
	v_rndne_f32_e32 v74, v72
	v_fmac_f32_e32 v73, 0x32a5705f, v24
	v_sub_f32_e32 v72, v72, v74
	s_add_u32 s42, s18, s42
	v_cmp_ngt_f32_e32 vcc, s40, v25
	v_add_f32_e32 v72, v72, v73
	s_addc_u32 s43, s19, s43
	v_cndmask_b32_e32 v53, 0, v53, vcc
	v_exp_f32_e32 v90, v72
	v_mov_b32_e32 v72, s43
	v_add_co_u32_e32 v73, vcc, s42, v6
	v_addc_co_u32_e32 v72, vcc, v72, v7, vcc
	v_add_co_u32_e32 v80, vcc, v73, v70
	v_addc_co_u32_e32 v81, vcc, 0, v72, vcc
	v_mov_b32_e32 v72, s43
	v_add_co_u32_e32 v73, vcc, s42, v16
	v_addc_co_u32_e32 v72, vcc, v72, v17, vcc
	v_add_co_u32_e32 v82, vcc, v73, v70
	s_barrier
	v_cvt_i32_f32_e32 v91, v74
	v_addc_co_u32_e32 v83, vcc, 0, v72, vcc
	global_load_dwordx4 v[72:75], v[80:81], off
	global_load_dwordx4 v[76:79], v[82:83], off
	v_pk_add_f32 v[22:23], v[22:23], v[12:13] neg_lo:[0,1] neg_hi:[0,1]
	v_mul_f32_e32 v80, 0x3fb8aa3b, v23
	v_fma_f32 v81, v23, s27, -v80
	v_rndne_f32_e32 v82, v80
	v_fmac_f32_e32 v81, 0x32a5705f, v23
	v_sub_f32_e32 v80, v80, v82
	v_add_f32_e32 v80, v80, v81
	v_exp_f32_e32 v80, v80
	v_cvt_i32_f32_e32 v81, v82
	v_cmp_nlt_f32_e32 vcc, s41, v25
	v_cndmask_b32_e32 v25, v71, v53, vcc
	v_ldexp_f32 v53, v90, v91
	v_cmp_ngt_f32_e32 vcc, s40, v24
	v_cndmask_b32_e32 v53, 0, v53, vcc
	v_cmp_nlt_f32_e32 vcc, s41, v24
	v_cndmask_b32_e32 v24, v71, v53, vcc
	v_ldexp_f32 v53, v80, v81
	v_mul_f32_e32 v80, 0x3fb8aa3b, v22
	v_fma_f32 v81, v22, s27, -v80
	v_rndne_f32_e32 v90, v80
	v_fmac_f32_e32 v81, 0x32a5705f, v22
	v_sub_f32_e32 v80, v80, v90
	v_add_f32_e32 v80, v80, v81
	v_exp_f32_e32 v80, v80
	v_cvt_i32_f32_e32 v81, v90
	v_cmp_ngt_f32_e32 vcc, s40, v23
	v_cndmask_b32_e32 v53, 0, v53, vcc
	v_cmp_nlt_f32_e32 vcc, s41, v23
	v_cndmask_b32_e32 v23, v71, v53, vcc
	v_ldexp_f32 v53, v80, v81
	v_cmp_ngt_f32_e32 vcc, s40, v22
	v_cndmask_b32_e32 v53, 0, v53, vcc
	v_cmp_nlt_f32_e32 vcc, s41, v22
	v_pk_add_f32 v[18:19], v[18:19], v[12:13] neg_lo:[0,1] neg_hi:[0,1]
	v_cndmask_b32_e32 v22, v71, v53, vcc
	v_mul_f32_e32 v53, 0x3fb8aa3b, v19
	v_fma_f32 v80, v19, s27, -v53
	v_rndne_f32_e32 v81, v53
	v_fmac_f32_e32 v80, 0x32a5705f, v19
	v_sub_f32_e32 v53, v53, v81
	v_add_f32_e32 v53, v53, v80
	v_cvt_i32_f32_e32 v80, v81
	v_mul_f32_e32 v81, 0x3fb8aa3b, v18
	v_fma_f32 v90, v18, s27, -v81
	v_rndne_f32_e32 v91, v81
	v_fmac_f32_e32 v90, 0x32a5705f, v18
	v_sub_f32_e32 v81, v81, v91
	v_exp_f32_e32 v53, v53
	v_add_f32_e32 v81, v81, v90
	v_exp_f32_e32 v81, v81
	v_cvt_i32_f32_e32 v90, v91
	v_ldexp_f32 v53, v53, v80
	v_cmp_ngt_f32_e32 vcc, s40, v19
	v_cndmask_b32_e32 v53, 0, v53, vcc
	v_ldexp_f32 v80, v81, v90
	v_cmp_ngt_f32_e32 vcc, s40, v18
	v_cndmask_b32_e32 v80, 0, v80, vcc
	v_cmp_nlt_f32_e32 vcc, s41, v18
	v_cndmask_b32_e32 v18, v71, v80, vcc
	v_cvt_f16_f32_e32 v90, v18
	v_cvt_f16_f32_e32 v86, v26
	;; [unrolled: 1-line block ×9, first 2 shown]
	v_cmp_nlt_f32_e32 vcc, s41, v19
	v_cndmask_b32_e32 v19, v71, v53, vcc
	v_pk_mul_f16 v92, v90, v52 op_sel_hi:[0,1]
	v_pk_add_f32 v[52:53], v[24:25], v[22:23]
	v_pk_add_f32 v[22:23], v[26:27], v[28:29]
	v_pk_fma_f32 v[10:11], v[10:11], v[30:31], v[22:23]
	v_add_u32_e32 v26, v65, v41
	v_pack_b32_f16 v23, v86, v85
	v_pack_b32_f16 v22, v83, v82
	;; [unrolled: 1-line block ×4, first 2 shown]
	ds_write2_b64 v26, v[22:23], v[24:25] offset1:32
	s_waitcnt vmcnt(1)
	ds_write_b128 v66, v[72:75]
	s_waitcnt vmcnt(0)
	ds_write_b128 v67, v[76:79]
	s_waitcnt lgkmcnt(0)
	s_barrier
	ds_read2_b64 v[22:25], v41 offset1:32
	ds_read_b128 v[26:29], v65
	v_cvt_f16_f32_e32 v91, v19
	v_pk_fma_f32 v[8:9], v[8:9], v[18:19], v[52:53]
	ds_read_b128 v[72:75], v65 offset:16
	ds_read_b128 v[76:79], v65 offset:32
	;; [unrolled: 1-line block ×3, first 2 shown]
	s_or_b32 s42, s20, 32
	v_pk_mul_f16 v48, v91, v48 op_sel_hi:[0,1]
	s_waitcnt lgkmcnt(3)
	v_pk_mul_f16 v18, v22, v26 op_sel_hi:[1,0]
	v_pk_mul_f16 v19, v22, v26 op_sel:[0,1]
	v_pk_mul_f16 v30, v22, v27 op_sel_hi:[1,0]
	v_pk_fma_f16 v18, v90, v49, v18 op_sel_hi:[0,1,1]
	v_pk_fma_f16 v19, v91, v47, v19 op_sel_hi:[0,1,1]
	;; [unrolled: 1-line block ×4, first 2 shown]
	v_pk_fma_f16 v26, v23, v26, v48 op_sel:[0,1,0]
	v_pk_fma_f16 v45, v23, v27, v84 op_sel_hi:[1,0,1]
	v_pk_fma_f16 v23, v23, v27, v46 op_sel:[0,1,0]
	ds_read2_b64 v[46:49], v41 offset0:64 offset1:96
	v_pk_fma_f16 v22, v22, v27, v50 op_sel:[0,1,0]
	v_pk_fma_f16 v27, v24, v29, v30 op_sel_hi:[1,0,1]
	v_pk_fma_f16 v22, v24, v29, v22 op_sel:[0,1,0]
	v_pk_fma_f16 v18, v24, v28, v18 op_sel_hi:[1,0,1]
	;; [unrolled: 2-line block ×4, first 2 shown]
	v_pk_fma_f16 v23, v25, v29, v23 op_sel:[0,1,0]
	s_waitcnt lgkmcnt(0)
	v_pk_fma_f16 v25, v46, v73, v27 op_sel_hi:[1,0,1]
	v_pk_fma_f16 v22, v46, v73, v22 op_sel:[0,1,0]
	v_pk_fma_f16 v27, v47, v72, v24 op_sel_hi:[1,0,1]
	v_pk_fma_f16 v29, v47, v73, v23 op_sel:[0,1,0]
	;; [unrolled: 2-line block ×3, first 2 shown]
	ds_read2_b64 v[22:25], v41 offset0:128 offset1:160
	v_pk_fma_f16 v18, v46, v72, v18 op_sel_hi:[1,0,1]
	v_pk_fma_f16 v19, v46, v72, v19 op_sel:[0,1,0]
	v_pk_fma_f16 v26, v47, v72, v26 op_sel:[0,1,0]
	v_pk_fma_f16 v28, v47, v73, v28 op_sel_hi:[1,0,1]
	v_pk_fma_f16 v18, v48, v74, v18 op_sel_hi:[1,0,1]
	v_pk_fma_f16 v19, v48, v74, v19 op_sel:[0,1,0]
	v_pk_fma_f16 v27, v49, v74, v27 op_sel_hi:[1,0,1]
	v_pk_fma_f16 v26, v49, v74, v26 op_sel:[0,1,0]
	;; [unrolled: 2-line block ×3, first 2 shown]
	s_waitcnt lgkmcnt(0)
	v_pk_fma_f16 v18, v22, v76, v18 op_sel_hi:[1,0,1]
	v_pk_fma_f16 v19, v22, v76, v19 op_sel:[0,1,0]
	v_pk_fma_f16 v30, v22, v77, v30 op_sel_hi:[1,0,1]
	v_pk_fma_f16 v22, v22, v77, v31 op_sel:[0,1,0]
	;; [unrolled: 2-line block ×4, first 2 shown]
	ds_read2_b64 v[26:29], v41 offset0:192 offset1:224
	v_pk_fma_f16 v18, v24, v78, v18 op_sel_hi:[1,0,1]
	v_pk_fma_f16 v19, v24, v78, v19 op_sel:[0,1,0]
	v_pk_fma_f16 v30, v24, v79, v30 op_sel_hi:[1,0,1]
	v_pk_fma_f16 v22, v24, v79, v22 op_sel:[0,1,0]
	;; [unrolled: 2-line block ×3, first 2 shown]
	s_waitcnt lgkmcnt(0)
	v_pk_fma_f16 v18, v26, v80, v18 op_sel_hi:[1,0,1]
	v_pk_fma_f16 v45, v25, v79, v46 op_sel_hi:[1,0,1]
	v_pk_fma_f16 v23, v25, v79, v23 op_sel:[0,1,0]
	v_pk_fma_f16 v19, v26, v80, v19 op_sel:[0,1,0]
	v_pk_fma_f16 v25, v26, v81, v30 op_sel_hi:[1,0,1]
	v_pk_fma_f16 v22, v26, v81, v22 op_sel:[0,1,0]
	v_pk_fma_f16 v24, v27, v80, v24 op_sel_hi:[1,0,1]
	;; [unrolled: 2-line block ×3, first 2 shown]
	v_add_u32_e32 v18, 0x800, v41
	v_pk_fma_f16 v30, v27, v81, v45 op_sel_hi:[1,0,1]
	v_pk_fma_f16 v27, v27, v81, v23 op_sel:[0,1,0]
	v_pk_fma_f16 v45, v28, v83, v25 op_sel_hi:[1,0,1]
	v_pk_fma_f16 v50, v28, v83, v22 op_sel:[0,1,0]
	v_pk_fma_f16 v52, v29, v82, v24 op_sel_hi:[1,0,1]
	ds_read2_b64 v[22:25], v18 offset1:32
	ds_read_b128 v[46:49], v65 offset:64
	v_pk_fma_f16 v19, v28, v82, v19 op_sel:[0,1,0]
	v_pk_fma_f16 v53, v29, v82, v26 op_sel:[0,1,0]
	v_pk_fma_f16 v30, v29, v83, v30 op_sel_hi:[1,0,1]
	v_pk_fma_f16 v72, v29, v83, v27 op_sel:[0,1,0]
	ds_read_b128 v[26:29], v65 offset:80
	s_waitcnt lgkmcnt(1)
	v_pk_fma_f16 v31, v22, v46, v31 op_sel_hi:[1,0,1]
	v_pk_fma_f16 v19, v22, v46, v19 op_sel:[0,1,0]
	v_pk_fma_f16 v45, v22, v47, v45 op_sel_hi:[1,0,1]
	v_pk_fma_f16 v22, v22, v47, v50 op_sel:[0,1,0]
	;; [unrolled: 2-line block ×4, first 2 shown]
	ds_read2_b64 v[72:75], v18 offset0:64 offset1:96
	v_pk_fma_f16 v31, v24, v48, v31 op_sel_hi:[1,0,1]
	v_pk_fma_f16 v19, v24, v48, v19 op_sel:[0,1,0]
	v_pk_fma_f16 v45, v24, v49, v45 op_sel_hi:[1,0,1]
	v_pk_fma_f16 v22, v24, v49, v22 op_sel:[0,1,0]
	;; [unrolled: 2-line block ×4, first 2 shown]
	s_waitcnt lgkmcnt(0)
	v_pk_fma_f16 v25, v72, v26, v31 op_sel_hi:[1,0,1]
	v_pk_fma_f16 v22, v72, v27, v22 op_sel:[0,1,0]
	v_pk_fma_f16 v24, v73, v26, v24 op_sel_hi:[1,0,1]
	v_pk_fma_f16 v19, v72, v26, v19 op_sel:[0,1,0]
	;; [unrolled: 2-line block ×5, first 2 shown]
	v_pk_fma_f16 v52, v75, v28, v24 op_sel_hi:[1,0,1]
	ds_read2_b64 v[22:25], v18 offset0:128 offset1:160
	ds_read_b128 v[46:49], v65 offset:96
	v_pk_fma_f16 v19, v74, v28, v19 op_sel:[0,1,0]
	v_pk_fma_f16 v31, v74, v29, v31 op_sel_hi:[1,0,1]
	v_pk_fma_f16 v53, v75, v28, v26 op_sel:[0,1,0]
	v_pk_fma_f16 v30, v75, v29, v30 op_sel_hi:[1,0,1]
	v_pk_fma_f16 v72, v75, v29, v27 op_sel:[0,1,0]
	ds_read_b128 v[26:29], v65 offset:112
	s_waitcnt lgkmcnt(1)
	v_pk_fma_f16 v45, v22, v46, v45 op_sel_hi:[1,0,1]
	v_pk_fma_f16 v19, v22, v46, v19 op_sel:[0,1,0]
	v_pk_fma_f16 v31, v22, v47, v31 op_sel_hi:[1,0,1]
	v_pk_fma_f16 v22, v22, v47, v50 op_sel:[0,1,0]
	;; [unrolled: 2-line block ×4, first 2 shown]
	ds_read2_b64 v[72:75], v18 offset0:192 offset1:224
	v_pk_fma_f16 v19, v24, v48, v19 op_sel:[0,1,0]
	v_pk_fma_f16 v45, v24, v48, v45 op_sel_hi:[1,0,1]
	v_pk_fma_f16 v31, v24, v49, v31 op_sel_hi:[1,0,1]
	v_pk_fma_f16 v22, v24, v49, v22 op_sel:[0,1,0]
	v_pk_fma_f16 v24, v25, v48, v50 op_sel_hi:[1,0,1]
	s_waitcnt lgkmcnt(0)
	v_pk_fma_f16 v19, v72, v26, v19 op_sel:[0,1,0]
	v_pk_fma_f16 v46, v25, v48, v46 op_sel:[0,1,0]
	v_pk_fma_f16 v30, v25, v49, v30 op_sel_hi:[1,0,1]
	v_pk_fma_f16 v23, v25, v49, v23 op_sel:[0,1,0]
	v_pk_fma_f16 v25, v72, v26, v45 op_sel_hi:[1,0,1]
	v_pk_fma_f16 v22, v72, v27, v22 op_sel:[0,1,0]
	v_pk_fma_f16 v24, v73, v26, v24 op_sel_hi:[1,0,1]
	v_pk_fma_f16 v50, v74, v28, v19 op_sel:[0,1,0]
	v_add_u32_e32 v19, 0x1000, v41
	v_pk_fma_f16 v31, v72, v27, v31 op_sel_hi:[1,0,1]
	v_pk_fma_f16 v26, v73, v26, v46 op_sel:[0,1,0]
	v_pk_fma_f16 v30, v73, v27, v30 op_sel_hi:[1,0,1]
	v_pk_fma_f16 v27, v73, v27, v23 op_sel:[0,1,0]
	;; [unrolled: 2-line block ×3, first 2 shown]
	v_pk_fma_f16 v53, v75, v28, v24 op_sel_hi:[1,0,1]
	ds_read2_b64 v[22:25], v19 offset1:32
	ds_read_b128 v[46:49], v65 offset:128
	v_pk_fma_f16 v31, v74, v29, v31 op_sel_hi:[1,0,1]
	v_pk_fma_f16 v72, v75, v28, v26 op_sel:[0,1,0]
	v_pk_fma_f16 v30, v75, v29, v30 op_sel_hi:[1,0,1]
	v_pk_fma_f16 v73, v75, v29, v27 op_sel:[0,1,0]
	ds_read_b128 v[26:29], v65 offset:144
	s_waitcnt lgkmcnt(1)
	v_pk_fma_f16 v45, v22, v46, v45 op_sel_hi:[1,0,1]
	v_pk_fma_f16 v50, v22, v46, v50 op_sel:[0,1,0]
	v_pk_fma_f16 v31, v22, v47, v31 op_sel_hi:[1,0,1]
	v_pk_fma_f16 v22, v22, v47, v52 op_sel:[0,1,0]
	;; [unrolled: 2-line block ×4, first 2 shown]
	ds_read2_b64 v[72:75], v19 offset0:64 offset1:96
	v_pk_fma_f16 v45, v24, v48, v45 op_sel_hi:[1,0,1]
	v_pk_fma_f16 v47, v24, v48, v50 op_sel:[0,1,0]
	v_pk_fma_f16 v31, v24, v49, v31 op_sel_hi:[1,0,1]
	v_pk_fma_f16 v22, v24, v49, v22 op_sel:[0,1,0]
	;; [unrolled: 2-line block ×4, first 2 shown]
	s_waitcnt lgkmcnt(0)
	v_pk_fma_f16 v25, v72, v26, v45 op_sel_hi:[1,0,1]
	v_pk_fma_f16 v22, v72, v27, v22 op_sel:[0,1,0]
	v_pk_fma_f16 v24, v73, v26, v24 op_sel_hi:[1,0,1]
	v_pk_fma_f16 v45, v72, v26, v47 op_sel:[0,1,0]
	;; [unrolled: 2-line block ×5, first 2 shown]
	v_pk_fma_f16 v53, v75, v28, v24 op_sel_hi:[1,0,1]
	ds_read2_b64 v[22:25], v19 offset0:128 offset1:160
	ds_read_b128 v[46:49], v65 offset:160
	s_mul_hi_i32 s43, s42, s8
	s_mul_i32 s42, s42, s8
	s_lshl_b64 s[42:43], s[42:43], 2
	v_pk_fma_f16 v45, v74, v28, v45 op_sel:[0,1,0]
	v_pk_fma_f16 v31, v74, v29, v31 op_sel_hi:[1,0,1]
	v_pk_fma_f16 v72, v75, v28, v26 op_sel:[0,1,0]
	v_pk_fma_f16 v30, v75, v29, v30 op_sel_hi:[1,0,1]
	v_pk_fma_f16 v73, v75, v29, v27 op_sel:[0,1,0]
	s_add_u32 s42, s18, s42
	s_waitcnt lgkmcnt(0)
	v_pk_fma_f16 v50, v22, v46, v50 op_sel_hi:[1,0,1]
	v_pk_fma_f16 v45, v22, v46, v45 op_sel:[0,1,0]
	v_pk_fma_f16 v31, v22, v47, v31 op_sel_hi:[1,0,1]
	v_pk_fma_f16 v22, v22, v47, v52 op_sel:[0,1,0]
	;; [unrolled: 2-line block ×4, first 2 shown]
	s_addc_u32 s43, s19, s43
	v_pk_fma_f16 v47, v24, v48, v50 op_sel_hi:[1,0,1]
	v_pk_fma_f16 v45, v24, v48, v45 op_sel:[0,1,0]
	v_pk_fma_f16 v50, v24, v49, v31 op_sel_hi:[1,0,1]
	v_pk_fma_f16 v53, v24, v49, v22 op_sel:[0,1,0]
	;; [unrolled: 2-line block ×4, first 2 shown]
	v_mov_b32_e32 v24, s43
	v_add_co_u32_e32 v25, vcc, s42, v6
	v_addc_co_u32_e32 v30, vcc, v24, v7, vcc
	ds_read_b128 v[26:29], v65 offset:176
	ds_read2_b64 v[72:75], v19 offset0:192 offset1:224
	v_add_co_u32_e32 v24, vcc, v25, v70
	v_addc_co_u32_e32 v25, vcc, 0, v30, vcc
	v_mov_b32_e32 v30, s43
	v_add_co_u32_e32 v31, vcc, s42, v16
	v_addc_co_u32_e32 v104, vcc, v30, v17, vcc
	v_add_u32_e32 v22, 0x1800, v41
	v_add_co_u32_e32 v30, vcc, v31, v70
	s_waitcnt lgkmcnt(0)
	v_pk_fma_f16 v114, v72, v26, v47 op_sel_hi:[1,0,1]
	ds_read2_b64 v[46:49], v22 offset1:32
	ds_read2_b64 v[76:79], v22 offset0:64 offset1:96
	ds_read_b128 v[80:83], v65 offset:192
	ds_read_b128 v[84:87], v65 offset:208
	ds_read2_b64 v[88:91], v22 offset0:128 offset1:160
	ds_read2_b64 v[92:95], v22 offset0:192 offset1:224
	ds_read_b128 v[96:99], v65 offset:224
	ds_read_b128 v[100:103], v65 offset:240
	s_waitcnt lgkmcnt(0)
	s_barrier
	v_addc_co_u32_e32 v31, vcc, 0, v104, vcc
	global_load_dwordx4 v[104:107], v[24:25], off
	global_load_dwordx4 v[108:111], v[30:31], off
	v_pk_fma_f16 v24, v72, v26, v45 op_sel:[0,1,0]
	v_pk_fma_f16 v25, v72, v27, v50 op_sel_hi:[1,0,1]
	v_pk_fma_f16 v30, v72, v27, v53 op_sel:[0,1,0]
	v_pk_fma_f16 v31, v73, v26, v52 op_sel_hi:[1,0,1]
	;; [unrolled: 2-line block ×11, first 2 shown]
	v_pk_fma_f16 v27, v48, v82, v27 op_sel_hi:[1,0,1]
	v_pk_fma_f16 v24, v48, v82, v24 op_sel:[0,1,0]
	v_pk_fma_f16 v25, v48, v83, v25 op_sel_hi:[1,0,1]
	v_pk_fma_f16 v29, v48, v83, v29 op_sel:[0,1,0]
	v_pk_fma_f16 v30, v49, v82, v30 op_sel_hi:[1,0,1]
	v_pk_fma_f16 v26, v49, v82, v26 op_sel:[0,1,0]
	v_pk_fma_f16 v28, v49, v83, v28 op_sel_hi:[1,0,1]
	v_pk_fma_f16 v27, v76, v84, v27 op_sel_hi:[1,0,1]
	v_pk_fma_f16 v24, v76, v84, v24 op_sel:[0,1,0]
	v_pk_fma_f16 v25, v76, v85, v25 op_sel_hi:[1,0,1]
	v_pk_fma_f16 v29, v76, v85, v29 op_sel:[0,1,0]
	v_pk_fma_f16 v30, v77, v84, v30 op_sel_hi:[1,0,1]
	v_pk_fma_f16 v26, v77, v84, v26 op_sel:[0,1,0]
	v_pk_fma_f16 v28, v77, v85, v28 op_sel_hi:[1,0,1]
	;; [unrolled: 7-line block ×6, first 2 shown]
	v_pk_fma_f16 v23, v47, v81, v23 op_sel:[0,1,0]
	v_pk_fma_f16 v45, v94, v102, v27 op_sel_hi:[1,0,1]
	v_pk_fma_f16 v50, v94, v102, v24 op_sel:[0,1,0]
	v_pk_fma_f16 v52, v94, v103, v25 op_sel_hi:[1,0,1]
	;; [unrolled: 2-line block ×4, first 2 shown]
	s_waitcnt vmcnt(1)
	ds_write_b128 v66, v[104:107]
	s_waitcnt vmcnt(0)
	ds_write_b128 v67, v[108:111]
	s_waitcnt lgkmcnt(0)
	s_barrier
	ds_read2_b64 v[24:27], v41 offset1:32
	ds_read_b128 v[28:31], v65 offset:256
	v_pk_fma_f16 v23, v49, v83, v23 op_sel:[0,1,0]
	v_pk_fma_f16 v23, v77, v85, v23 op_sel:[0,1,0]
	;; [unrolled: 1-line block ×4, first 2 shown]
	ds_read_b128 v[46:49], v65 offset:272
	ds_read_b128 v[72:75], v65 offset:288
	;; [unrolled: 1-line block ×3, first 2 shown]
	s_waitcnt lgkmcnt(3)
	v_pk_fma_f16 v45, v24, v28, v45 op_sel_hi:[1,0,1]
	v_pk_fma_f16 v50, v24, v28, v50 op_sel:[0,1,0]
	v_pk_fma_f16 v52, v24, v29, v52 op_sel_hi:[1,0,1]
	v_pk_fma_f16 v24, v24, v29, v53 op_sel:[0,1,0]
	v_pk_fma_f16 v53, v25, v28, v80 op_sel_hi:[1,0,1]
	v_pk_fma_f16 v28, v25, v28, v81 op_sel:[0,1,0]
	v_pk_fma_f16 v84, v25, v29, v82 op_sel_hi:[1,0,1]
	ds_read2_b64 v[80:83], v41 offset0:64 offset1:96
	v_pk_fma_f16 v23, v91, v99, v23 op_sel:[0,1,0]
	v_pk_fma_f16 v23, v93, v101, v23 op_sel:[0,1,0]
	;; [unrolled: 1-line block ×4, first 2 shown]
	v_pk_fma_f16 v25, v26, v30, v45 op_sel_hi:[1,0,1]
	v_pk_fma_f16 v29, v26, v30, v50 op_sel:[0,1,0]
	v_pk_fma_f16 v24, v26, v31, v24 op_sel:[0,1,0]
	v_pk_fma_f16 v45, v26, v31, v52 op_sel_hi:[1,0,1]
	v_pk_fma_f16 v26, v27, v30, v53 op_sel_hi:[1,0,1]
	v_pk_fma_f16 v28, v27, v30, v28 op_sel:[0,1,0]
	v_pk_fma_f16 v30, v27, v31, v84 op_sel_hi:[1,0,1]
	v_pk_fma_f16 v23, v27, v31, v23 op_sel:[0,1,0]
	s_waitcnt lgkmcnt(0)
	v_pk_fma_f16 v25, v80, v46, v25 op_sel_hi:[1,0,1]
	v_pk_fma_f16 v27, v80, v46, v29 op_sel:[0,1,0]
	v_pk_fma_f16 v24, v80, v47, v24 op_sel:[0,1,0]
	v_pk_fma_f16 v29, v80, v47, v45 op_sel_hi:[1,0,1]
	v_pk_fma_f16 v31, v81, v46, v26 op_sel_hi:[1,0,1]
	v_pk_fma_f16 v28, v81, v46, v28 op_sel:[0,1,0]
	v_pk_fma_f16 v30, v81, v47, v30 op_sel_hi:[1,0,1]
	v_pk_fma_f16 v23, v81, v47, v23 op_sel:[0,1,0]
	;; [unrolled: 2-line block ×3, first 2 shown]
	v_pk_fma_f16 v47, v82, v49, v24 op_sel:[0,1,0]
	ds_read2_b64 v[24:27], v41 offset0:128 offset1:160
	v_pk_fma_f16 v29, v82, v49, v29 op_sel_hi:[1,0,1]
	v_pk_fma_f16 v31, v83, v48, v31 op_sel_hi:[1,0,1]
	v_pk_fma_f16 v28, v83, v48, v28 op_sel:[0,1,0]
	v_pk_fma_f16 v30, v83, v49, v30 op_sel_hi:[1,0,1]
	v_pk_fma_f16 v23, v83, v49, v23 op_sel:[0,1,0]
	s_waitcnt lgkmcnt(0)
	v_pk_fma_f16 v45, v24, v72, v45 op_sel_hi:[1,0,1]
	v_pk_fma_f16 v46, v24, v72, v46 op_sel:[0,1,0]
	v_pk_fma_f16 v29, v24, v73, v29 op_sel_hi:[1,0,1]
	v_pk_fma_f16 v24, v24, v73, v47 op_sel:[0,1,0]
	;; [unrolled: 2-line block ×5, first 2 shown]
	v_pk_fma_f16 v46, v26, v75, v29 op_sel_hi:[1,0,1]
	ds_read2_b64 v[28:31], v41 offset0:192 offset1:224
	v_pk_fma_f16 v24, v26, v75, v24 op_sel:[0,1,0]
	v_pk_fma_f16 v26, v27, v74, v47 op_sel_hi:[1,0,1]
	v_pk_fma_f16 v47, v27, v74, v48 op_sel:[0,1,0]
	v_pk_fma_f16 v48, v27, v75, v49 op_sel_hi:[1,0,1]
	v_pk_fma_f16 v23, v27, v75, v23 op_sel:[0,1,0]
	s_waitcnt lgkmcnt(0)
	v_pk_fma_f16 v25, v28, v76, v25 op_sel_hi:[1,0,1]
	v_pk_fma_f16 v27, v28, v76, v45 op_sel:[0,1,0]
	v_pk_fma_f16 v24, v28, v77, v24 op_sel:[0,1,0]
	v_pk_fma_f16 v26, v29, v76, v26 op_sel_hi:[1,0,1]
	v_pk_fma_f16 v45, v28, v77, v46 op_sel_hi:[1,0,1]
	v_pk_fma_f16 v28, v29, v76, v47 op_sel:[0,1,0]
	v_pk_fma_f16 v50, v29, v77, v48 op_sel_hi:[1,0,1]
	v_pk_fma_f16 v52, v30, v78, v25 op_sel_hi:[1,0,1]
	v_pk_fma_f16 v53, v30, v78, v27 op_sel:[0,1,0]
	v_pk_fma_f16 v72, v30, v79, v24 op_sel:[0,1,0]
	v_pk_fma_f16 v73, v31, v78, v26 op_sel_hi:[1,0,1]
	ds_read2_b64 v[24:27], v18 offset1:32
	ds_read_b128 v[46:49], v65 offset:320
	v_pk_fma_f16 v23, v29, v77, v23 op_sel:[0,1,0]
	v_pk_fma_f16 v45, v30, v79, v45 op_sel_hi:[1,0,1]
	v_pk_fma_f16 v74, v31, v78, v28 op_sel:[0,1,0]
	v_pk_fma_f16 v50, v31, v79, v50 op_sel_hi:[1,0,1]
	v_pk_fma_f16 v23, v31, v79, v23 op_sel:[0,1,0]
	ds_read_b128 v[28:31], v65 offset:336
	s_waitcnt lgkmcnt(1)
	v_pk_fma_f16 v52, v24, v46, v52 op_sel_hi:[1,0,1]
	v_pk_fma_f16 v53, v24, v46, v53 op_sel:[0,1,0]
	v_pk_fma_f16 v45, v24, v47, v45 op_sel_hi:[1,0,1]
	v_pk_fma_f16 v24, v24, v47, v72 op_sel:[0,1,0]
	;; [unrolled: 2-line block ×3, first 2 shown]
	ds_read2_b64 v[72:75], v18 offset0:64 offset1:96
	v_pk_fma_f16 v50, v25, v47, v50 op_sel_hi:[1,0,1]
	v_pk_fma_f16 v23, v25, v47, v23 op_sel:[0,1,0]
	v_pk_fma_f16 v25, v26, v48, v52 op_sel_hi:[1,0,1]
	v_pk_fma_f16 v47, v26, v48, v53 op_sel:[0,1,0]
	;; [unrolled: 2-line block ×5, first 2 shown]
	s_waitcnt lgkmcnt(0)
	v_pk_fma_f16 v25, v72, v28, v25 op_sel_hi:[1,0,1]
	v_pk_fma_f16 v27, v72, v28, v47 op_sel:[0,1,0]
	v_pk_fma_f16 v24, v72, v29, v24 op_sel:[0,1,0]
	v_pk_fma_f16 v26, v73, v28, v26 op_sel_hi:[1,0,1]
	v_pk_fma_f16 v45, v72, v29, v45 op_sel_hi:[1,0,1]
	v_pk_fma_f16 v28, v73, v28, v46 op_sel:[0,1,0]
	v_pk_fma_f16 v50, v73, v29, v48 op_sel_hi:[1,0,1]
	v_pk_fma_f16 v23, v73, v29, v23 op_sel:[0,1,0]
	v_pk_fma_f16 v52, v74, v30, v25 op_sel_hi:[1,0,1]
	v_pk_fma_f16 v53, v74, v30, v27 op_sel:[0,1,0]
	v_pk_fma_f16 v72, v74, v31, v24 op_sel:[0,1,0]
	v_pk_fma_f16 v73, v75, v30, v26 op_sel_hi:[1,0,1]
	ds_read2_b64 v[24:27], v18 offset0:128 offset1:160
	ds_read_b128 v[46:49], v65 offset:352
	v_pk_fma_f16 v45, v74, v31, v45 op_sel_hi:[1,0,1]
	v_pk_fma_f16 v74, v75, v30, v28 op_sel:[0,1,0]
	v_pk_fma_f16 v50, v75, v31, v50 op_sel_hi:[1,0,1]
	v_pk_fma_f16 v23, v75, v31, v23 op_sel:[0,1,0]
	ds_read_b128 v[28:31], v65 offset:368
	s_waitcnt lgkmcnt(1)
	v_pk_fma_f16 v52, v24, v46, v52 op_sel_hi:[1,0,1]
	v_pk_fma_f16 v53, v24, v46, v53 op_sel:[0,1,0]
	v_pk_fma_f16 v45, v24, v47, v45 op_sel_hi:[1,0,1]
	v_pk_fma_f16 v24, v24, v47, v72 op_sel:[0,1,0]
	;; [unrolled: 2-line block ×3, first 2 shown]
	ds_read2_b64 v[72:75], v18 offset0:192 offset1:224
	v_pk_fma_f16 v50, v25, v47, v50 op_sel_hi:[1,0,1]
	v_pk_fma_f16 v23, v25, v47, v23 op_sel:[0,1,0]
	v_pk_fma_f16 v25, v26, v48, v52 op_sel_hi:[1,0,1]
	v_pk_fma_f16 v47, v26, v48, v53 op_sel:[0,1,0]
	v_pk_fma_f16 v24, v26, v49, v24 op_sel:[0,1,0]
	v_pk_fma_f16 v45, v26, v49, v45 op_sel_hi:[1,0,1]
	v_pk_fma_f16 v18, v27, v48, v76 op_sel_hi:[1,0,1]
	v_pk_fma_f16 v26, v27, v48, v46 op_sel:[0,1,0]
	v_pk_fma_f16 v46, v27, v49, v50 op_sel_hi:[1,0,1]
	v_pk_fma_f16 v23, v27, v49, v23 op_sel:[0,1,0]
	s_waitcnt lgkmcnt(0)
	v_pk_fma_f16 v25, v72, v28, v25 op_sel_hi:[1,0,1]
	v_pk_fma_f16 v27, v72, v28, v47 op_sel:[0,1,0]
	v_pk_fma_f16 v24, v72, v29, v24 op_sel:[0,1,0]
	v_pk_fma_f16 v45, v72, v29, v45 op_sel_hi:[1,0,1]
	v_pk_fma_f16 v18, v73, v28, v18 op_sel_hi:[1,0,1]
	v_pk_fma_f16 v28, v73, v28, v26 op_sel:[0,1,0]
	v_pk_fma_f16 v50, v73, v29, v46 op_sel_hi:[1,0,1]
	v_pk_fma_f16 v52, v74, v30, v25 op_sel_hi:[1,0,1]
	v_pk_fma_f16 v53, v74, v30, v27 op_sel:[0,1,0]
	v_pk_fma_f16 v72, v74, v31, v24 op_sel:[0,1,0]
	ds_read2_b64 v[24:27], v19 offset1:32
	ds_read_b128 v[46:49], v65 offset:384
	v_pk_fma_f16 v23, v73, v29, v23 op_sel:[0,1,0]
	v_pk_fma_f16 v45, v74, v31, v45 op_sel_hi:[1,0,1]
	v_pk_fma_f16 v18, v75, v30, v18 op_sel_hi:[1,0,1]
	v_pk_fma_f16 v73, v75, v30, v28 op_sel:[0,1,0]
	v_pk_fma_f16 v50, v75, v31, v50 op_sel_hi:[1,0,1]
	v_pk_fma_f16 v23, v75, v31, v23 op_sel:[0,1,0]
	ds_read_b128 v[28:31], v65 offset:400
	s_waitcnt lgkmcnt(1)
	v_pk_fma_f16 v52, v24, v46, v52 op_sel_hi:[1,0,1]
	v_pk_fma_f16 v53, v24, v46, v53 op_sel:[0,1,0]
	v_pk_fma_f16 v45, v24, v47, v45 op_sel_hi:[1,0,1]
	v_pk_fma_f16 v24, v24, v47, v72 op_sel:[0,1,0]
	;; [unrolled: 2-line block ×3, first 2 shown]
	ds_read2_b64 v[72:75], v19 offset0:64 offset1:96
	v_pk_fma_f16 v50, v25, v47, v50 op_sel_hi:[1,0,1]
	v_pk_fma_f16 v23, v25, v47, v23 op_sel:[0,1,0]
	v_pk_fma_f16 v25, v26, v48, v52 op_sel_hi:[1,0,1]
	v_pk_fma_f16 v47, v26, v48, v53 op_sel:[0,1,0]
	v_pk_fma_f16 v24, v26, v49, v24 op_sel:[0,1,0]
	v_pk_fma_f16 v45, v26, v49, v45 op_sel_hi:[1,0,1]
	v_pk_fma_f16 v18, v27, v48, v18 op_sel_hi:[1,0,1]
	v_pk_fma_f16 v26, v27, v48, v46 op_sel:[0,1,0]
	v_pk_fma_f16 v46, v27, v49, v50 op_sel_hi:[1,0,1]
	v_pk_fma_f16 v23, v27, v49, v23 op_sel:[0,1,0]
	s_waitcnt lgkmcnt(0)
	v_pk_fma_f16 v25, v72, v28, v25 op_sel_hi:[1,0,1]
	v_pk_fma_f16 v27, v72, v28, v47 op_sel:[0,1,0]
	v_pk_fma_f16 v24, v72, v29, v24 op_sel:[0,1,0]
	v_pk_fma_f16 v45, v72, v29, v45 op_sel_hi:[1,0,1]
	v_pk_fma_f16 v18, v73, v28, v18 op_sel_hi:[1,0,1]
	v_pk_fma_f16 v28, v73, v28, v26 op_sel:[0,1,0]
	v_pk_fma_f16 v50, v73, v29, v46 op_sel_hi:[1,0,1]
	v_pk_fma_f16 v52, v74, v30, v25 op_sel_hi:[1,0,1]
	v_pk_fma_f16 v53, v74, v30, v27 op_sel:[0,1,0]
	v_pk_fma_f16 v72, v74, v31, v24 op_sel:[0,1,0]
	ds_read2_b64 v[24:27], v19 offset0:128 offset1:160
	ds_read_b128 v[46:49], v65 offset:416
	v_pk_fma_f16 v23, v73, v29, v23 op_sel:[0,1,0]
	v_pk_fma_f16 v45, v74, v31, v45 op_sel_hi:[1,0,1]
	v_pk_fma_f16 v18, v75, v30, v18 op_sel_hi:[1,0,1]
	v_pk_fma_f16 v73, v75, v30, v28 op_sel:[0,1,0]
	v_pk_fma_f16 v50, v75, v31, v50 op_sel_hi:[1,0,1]
	v_pk_fma_f16 v23, v75, v31, v23 op_sel:[0,1,0]
	ds_read_b128 v[28:31], v65 offset:432
	s_waitcnt lgkmcnt(1)
	v_pk_fma_f16 v52, v24, v46, v52 op_sel_hi:[1,0,1]
	v_pk_fma_f16 v53, v24, v46, v53 op_sel:[0,1,0]
	v_pk_fma_f16 v45, v24, v47, v45 op_sel_hi:[1,0,1]
	v_pk_fma_f16 v24, v24, v47, v72 op_sel:[0,1,0]
	;; [unrolled: 2-line block ×3, first 2 shown]
	ds_read2_b64 v[72:75], v19 offset0:192 offset1:224
	v_pk_fma_f16 v50, v25, v47, v50 op_sel_hi:[1,0,1]
	v_pk_fma_f16 v23, v25, v47, v23 op_sel:[0,1,0]
	v_pk_fma_f16 v25, v26, v48, v52 op_sel_hi:[1,0,1]
	v_pk_fma_f16 v47, v26, v48, v53 op_sel:[0,1,0]
	v_pk_fma_f16 v24, v26, v49, v24 op_sel:[0,1,0]
	v_pk_fma_f16 v45, v26, v49, v45 op_sel_hi:[1,0,1]
	v_pk_fma_f16 v18, v27, v48, v18 op_sel_hi:[1,0,1]
	v_pk_fma_f16 v19, v27, v48, v46 op_sel:[0,1,0]
	v_pk_fma_f16 v26, v27, v49, v50 op_sel_hi:[1,0,1]
	v_pk_fma_f16 v23, v27, v49, v23 op_sel:[0,1,0]
	s_waitcnt lgkmcnt(0)
	v_pk_fma_f16 v25, v72, v28, v25 op_sel_hi:[1,0,1]
	v_pk_fma_f16 v27, v72, v28, v47 op_sel:[0,1,0]
	v_pk_fma_f16 v24, v72, v29, v24 op_sel:[0,1,0]
	v_pk_fma_f16 v18, v73, v28, v18 op_sel_hi:[1,0,1]
	v_pk_fma_f16 v19, v73, v28, v19 op_sel:[0,1,0]
	v_pk_fma_f16 v28, v73, v29, v26 op_sel_hi:[1,0,1]
	v_pk_fma_f16 v50, v74, v30, v25 op_sel_hi:[1,0,1]
	v_pk_fma_f16 v52, v74, v30, v27 op_sel:[0,1,0]
	v_pk_fma_f16 v53, v74, v31, v24 op_sel:[0,1,0]
	ds_read2_b64 v[24:27], v22 offset1:32
	ds_read_b128 v[46:49], v65 offset:448
	v_pk_fma_f16 v45, v72, v29, v45 op_sel_hi:[1,0,1]
	v_pk_fma_f16 v23, v73, v29, v23 op_sel:[0,1,0]
	v_pk_fma_f16 v18, v75, v30, v18 op_sel_hi:[1,0,1]
	v_pk_fma_f16 v19, v75, v30, v19 op_sel:[0,1,0]
	v_pk_fma_f16 v72, v75, v31, v28 op_sel_hi:[1,0,1]
	v_pk_fma_f16 v45, v74, v31, v45 op_sel_hi:[1,0,1]
	v_pk_fma_f16 v23, v75, v31, v23 op_sel:[0,1,0]
	ds_read_b128 v[28:31], v65 offset:464
	s_waitcnt lgkmcnt(1)
	v_pk_fma_f16 v50, v24, v46, v50 op_sel_hi:[1,0,1]
	v_pk_fma_f16 v52, v24, v46, v52 op_sel:[0,1,0]
	v_pk_fma_f16 v18, v25, v46, v18 op_sel_hi:[1,0,1]
	v_pk_fma_f16 v19, v25, v46, v19 op_sel:[0,1,0]
	v_pk_fma_f16 v46, v25, v47, v72 op_sel_hi:[1,0,1]
	ds_read2_b64 v[72:75], v22 offset0:64 offset1:96
	v_pk_fma_f16 v45, v24, v47, v45 op_sel_hi:[1,0,1]
	v_pk_fma_f16 v24, v24, v47, v53 op_sel:[0,1,0]
	v_pk_fma_f16 v23, v25, v47, v23 op_sel:[0,1,0]
	v_pk_fma_f16 v25, v26, v48, v50 op_sel_hi:[1,0,1]
	v_pk_fma_f16 v47, v26, v48, v52 op_sel:[0,1,0]
	v_pk_fma_f16 v24, v26, v49, v24 op_sel:[0,1,0]
	v_pk_fma_f16 v45, v26, v49, v45 op_sel_hi:[1,0,1]
	v_pk_fma_f16 v18, v27, v48, v18 op_sel_hi:[1,0,1]
	v_pk_fma_f16 v19, v27, v48, v19 op_sel:[0,1,0]
	v_pk_fma_f16 v26, v27, v49, v46 op_sel_hi:[1,0,1]
	v_pk_fma_f16 v23, v27, v49, v23 op_sel:[0,1,0]
	s_waitcnt lgkmcnt(0)
	v_pk_fma_f16 v25, v72, v28, v25 op_sel_hi:[1,0,1]
	v_pk_fma_f16 v27, v72, v28, v47 op_sel:[0,1,0]
	v_pk_fma_f16 v24, v72, v29, v24 op_sel:[0,1,0]
	v_pk_fma_f16 v18, v73, v28, v18 op_sel_hi:[1,0,1]
	v_pk_fma_f16 v19, v73, v28, v19 op_sel:[0,1,0]
	v_pk_fma_f16 v28, v73, v29, v26 op_sel_hi:[1,0,1]
	v_pk_fma_f16 v50, v74, v30, v25 op_sel_hi:[1,0,1]
	v_pk_fma_f16 v52, v74, v30, v27 op_sel:[0,1,0]
	v_pk_fma_f16 v53, v74, v31, v24 op_sel:[0,1,0]
	ds_read2_b64 v[24:27], v22 offset0:128 offset1:160
	ds_read_b128 v[46:49], v65 offset:480
	v_pk_fma_f16 v45, v72, v29, v45 op_sel_hi:[1,0,1]
	v_pk_fma_f16 v23, v73, v29, v23 op_sel:[0,1,0]
	v_pk_fma_f16 v45, v74, v31, v45 op_sel_hi:[1,0,1]
	v_pk_fma_f16 v18, v75, v30, v18 op_sel_hi:[1,0,1]
	v_pk_fma_f16 v19, v75, v30, v19 op_sel:[0,1,0]
	v_pk_fma_f16 v72, v75, v31, v28 op_sel_hi:[1,0,1]
	v_pk_fma_f16 v23, v75, v31, v23 op_sel:[0,1,0]
	s_waitcnt lgkmcnt(0)
	v_pk_fma_f16 v50, v24, v46, v50 op_sel_hi:[1,0,1]
	v_pk_fma_f16 v52, v24, v46, v52 op_sel:[0,1,0]
	v_pk_fma_f16 v45, v24, v47, v45 op_sel_hi:[1,0,1]
	v_pk_fma_f16 v24, v24, v47, v53 op_sel:[0,1,0]
	ds_read_b128 v[28:31], v65 offset:496
	v_pk_fma_f16 v18, v25, v46, v18 op_sel_hi:[1,0,1]
	v_pk_fma_f16 v19, v25, v46, v19 op_sel:[0,1,0]
	v_pk_fma_f16 v46, v25, v47, v72 op_sel_hi:[1,0,1]
	v_pk_fma_f16 v47, v25, v47, v23 op_sel:[0,1,0]
	;; [unrolled: 2-line block ×4, first 2 shown]
	ds_read2_b64 v[22:25], v22 offset0:192 offset1:224
	s_waitcnt lgkmcnt(0)
	s_barrier
	s_load_dword s42, s[10:11], 0x4
	v_pk_fma_f16 v18, v27, v48, v18 op_sel_hi:[1,0,1]
	v_pk_fma_f16 v19, v27, v48, v19 op_sel:[0,1,0]
	v_pk_fma_f16 v46, v27, v49, v46 op_sel_hi:[1,0,1]
	v_pk_fma_f16 v27, v27, v49, v47 op_sel:[0,1,0]
	s_waitcnt lgkmcnt(0)
	s_lshl_b32 s42, s42, 6
	v_pk_fma_f16 v47, v22, v28, v50 op_sel_hi:[1,0,1]
	v_pk_fma_f16 v48, v22, v28, v52 op_sel:[0,1,0]
	v_pk_fma_f16 v45, v22, v29, v45 op_sel_hi:[1,0,1]
	v_pk_fma_f16 v22, v22, v29, v26 op_sel:[0,1,0]
	;; [unrolled: 2-line block ×4, first 2 shown]
	s_add_i32 s20, s42, s20
	v_pk_fma_f16 v49, v24, v30, v47 op_sel_hi:[1,0,1]
	v_pk_fma_f16 v47, v24, v30, v48 op_sel:[0,1,0]
	v_pk_fma_f16 v45, v24, v31, v45 op_sel_hi:[1,0,1]
	v_pk_fma_f16 v50, v24, v31, v22 op_sel:[0,1,0]
	v_pk_fma_f16 v52, v25, v30, v18 op_sel_hi:[1,0,1]
	v_pk_fma_f16 v48, v25, v30, v19 op_sel:[0,1,0]
	v_pk_fma_f16 v53, v25, v31, v26 op_sel_hi:[1,0,1]
	s_cmp_lt_i32 s20, s17
	v_pk_fma_f16 v46, v25, v31, v23 op_sel:[0,1,0]
	s_cbranch_scc0 .LBB56_28
; %bb.26:                               ;   in Loop: Header=BB56_8 Depth=1
	v_mov_b32_e32 v18, v12
	v_mov_b32_e32 v19, v13
	;; [unrolled: 1-line block ×4, first 2 shown]
	s_branch .LBB56_8
.LBB56_27:
	s_mov_b32 s41, s40
	s_mov_b32 s42, s40
	;; [unrolled: 1-line block ×3, first 2 shown]
	v_pk_mov_b32 v[12:13], s[40:41], s[40:41] op_sel:[0,1]
	v_pk_mov_b32 v[14:15], s[42:43], s[42:43] op_sel:[0,1]
	v_mov_b32_e32 v10, v11
	v_mov_b32_e32 v9, v11
	;; [unrolled: 1-line block ×10, first 2 shown]
.LBB56_28:
	s_cmp_gt_i32 s44, s20
	s_cbranch_scc1 .LBB56_30
; %bb.29:
	v_mbcnt_hi_u32_b32 v22, -1, v56
	v_and_b32_e32 v2, 0x60, v22
	v_add_u32_e32 v23, 32, v2
	v_xor_b32_e32 v26, 16, v22
	v_xor_b32_e32 v27, 8, v22
	;; [unrolled: 1-line block ×5, first 2 shown]
	s_cbranch_execz .LBB56_31
	s_branch .LBB56_71
.LBB56_30:
                                        ; implicit-def: $vgpr22
                                        ; implicit-def: $vgpr23
                                        ; implicit-def: $vgpr26
                                        ; implicit-def: $vgpr27
                                        ; implicit-def: $vgpr28
                                        ; implicit-def: $vgpr25
                                        ; implicit-def: $vgpr24
.LBB56_31:
	s_mul_hi_i32 s7, s20, s12
	s_mul_i32 s6, s20, s12
	v_add_u32_e32 v6, v1, v38
	s_sub_i32 s21, s44, s20
	s_lshl_b64 s[6:7], s[6:7], 2
	v_mul_lo_u32 v4, s12, v6
	s_add_u32 s10, s13, s6
	v_ashrrev_i32_e32 v5, 31, v4
	s_addc_u32 s11, s16, s7
	v_lshlrev_b32_e32 v7, 2, v0
	v_lshlrev_b64 v[0:1], 2, v[4:5]
	v_mov_b32_e32 v2, s11
	v_add_co_u32_e32 v0, vcc, s10, v0
	v_addc_co_u32_e32 v1, vcc, v2, v1, vcc
	s_mov_b64 s[6:7], src_private_base
	v_add_co_u32_e32 v22, vcc, v0, v7
	v_mov_b32_e32 v24, 0
	v_addc_co_u32_e32 v23, vcc, 0, v1, vcc
	v_mov_b32_e32 v28, s7
	v_cmp_gt_i32_e64 s[6:7], s21, v6
	v_mov_b32_e32 v29, 0
	buffer_store_dword v24, off, s[0:3], 0
	buffer_store_dword v24, off, s[0:3], 0 offset:8
	buffer_store_dword v24, off, s[0:3], 0 offset:4
	;; [unrolled: 1-line block ×3, first 2 shown]
	v_cndmask_b32_e64 v1, v28, v23, s[6:7]
	v_cndmask_b32_e64 v0, v29, v22, s[6:7]
	flat_load_dwordx4 v[0:3], v[0:1]
	v_lshl_add_u32 v4, s12, 5, v4
	v_ashrrev_i32_e32 v5, 31, v4
	v_lshlrev_b64 v[4:5], 2, v[4:5]
	v_mov_b32_e32 v16, s11
	v_add_co_u32_e32 v4, vcc, s10, v4
	v_addc_co_u32_e32 v5, vcc, v16, v5, vcc
	s_movk_i32 s13, 0x90
	v_add_co_u32_e32 v30, vcc, v4, v7
	v_mad_u32_u24 v27, v6, s13, v7
	v_add_u32_e32 v6, 32, v6
	v_addc_co_u32_e32 v31, vcc, 0, v5, vcc
	v_cmp_gt_i32_e32 vcc, s21, v6
	v_cndmask_b32_e32 v5, v28, v31, vcc
	v_cndmask_b32_e32 v4, v29, v30, vcc
	buffer_store_dword v24, off, s[0:3], 0
	buffer_store_dword v24, off, s[0:3], 0 offset:8
	buffer_store_dword v24, off, s[0:3], 0 offset:4
	;; [unrolled: 1-line block ×3, first 2 shown]
	v_lshlrev_b32_e32 v25, 10, v42
	v_mul_u32_u24_e32 v26, 0x90, v39
	v_mov_b32_e32 v6, 0
	v_mov_b32_e32 v7, 0
	s_movk_i32 s12, 0x80
	v_add_co_u32_e64 v22, s[10:11], s12, v22
	v_addc_co_u32_e64 v23, s[10:11], 0, v23, s[10:11]
	v_cndmask_b32_e64 v22, v29, v22, s[6:7]
	v_cndmask_b32_e64 v23, v28, v23, s[6:7]
	s_cmp_lg_u64 s[34:35], 0
	s_waitcnt vmcnt(0) lgkmcnt(0)
	ds_write_b128 v27, v[0:3]
	flat_load_dwordx4 v[16:19], v[4:5]
	v_mov_b32_e32 v0, 0
	v_mov_b32_e32 v1, 0
	;; [unrolled: 1-line block ×6, first 2 shown]
	s_waitcnt vmcnt(0) lgkmcnt(0)
	ds_write_b128 v27, v[16:19] offset:4608
	s_waitcnt lgkmcnt(0)
	s_barrier
	ds_read_b128 v[16:19], v25 offset:9216
	ds_read_b128 v[58:61], v26
	ds_read_b128 v[62:65], v26 offset:4608
	ds_read_b128 v[66:69], v25 offset:9472
	;; [unrolled: 1-line block ×4, first 2 shown]
	s_waitcnt lgkmcnt(4)
	;;#ASMSTART
	v_dot2_f32_f16 v0, v58, v16, v0
	;;#ASMEND
	;;#ASMSTART
	v_dot2_f32_f16 v0, v59, v17, v0
	;;#ASMEND
	;;#ASMSTART
	v_dot2_f32_f16 v0, v60, v18, v0
	;;#ASMEND
	;;#ASMSTART
	v_dot2_f32_f16 v0, v61, v19, v0
	;;#ASMEND
	s_waitcnt lgkmcnt(2)
	;;#ASMSTART
	v_dot2_f32_f16 v1, v58, v66, v1
	;;#ASMEND
	;;#ASMSTART
	v_dot2_f32_f16 v1, v59, v67, v1
	;;#ASMEND
	;;#ASMSTART
	v_dot2_f32_f16 v1, v60, v68, v1
	;;#ASMEND
	;;#ASMSTART
	v_dot2_f32_f16 v1, v61, v69, v1
	;;#ASMEND
	;; [unrolled: 13-line block ×4, first 2 shown]
	;;#ASMSTART
	v_dot2_f32_f16 v4, v62, v16, v4
	;;#ASMEND
	;;#ASMSTART
	v_dot2_f32_f16 v4, v63, v17, v4
	;;#ASMEND
	;; [unrolled: 3-line block ×16, first 2 shown]
	ds_read_b128 v[16:19], v25 offset:9232
	ds_read_b128 v[58:61], v26 offset:16
	;; [unrolled: 1-line block ×6, first 2 shown]
	s_waitcnt lgkmcnt(4)
	;;#ASMSTART
	v_dot2_f32_f16 v0, v58, v16, v0
	;;#ASMEND
	;;#ASMSTART
	v_dot2_f32_f16 v0, v59, v17, v0
	;;#ASMEND
	;;#ASMSTART
	v_dot2_f32_f16 v0, v60, v18, v0
	;;#ASMEND
	;;#ASMSTART
	v_dot2_f32_f16 v0, v61, v19, v0
	;;#ASMEND
	s_waitcnt lgkmcnt(2)
	;;#ASMSTART
	v_dot2_f32_f16 v1, v58, v66, v1
	;;#ASMEND
	;;#ASMSTART
	v_dot2_f32_f16 v1, v59, v67, v1
	;;#ASMEND
	;;#ASMSTART
	v_dot2_f32_f16 v1, v60, v68, v1
	;;#ASMEND
	;;#ASMSTART
	v_dot2_f32_f16 v1, v61, v69, v1
	;;#ASMEND
	;; [unrolled: 13-line block ×4, first 2 shown]
	;;#ASMSTART
	v_dot2_f32_f16 v4, v62, v16, v4
	;;#ASMEND
	;;#ASMSTART
	v_dot2_f32_f16 v4, v63, v17, v4
	;;#ASMEND
	;; [unrolled: 3-line block ×16, first 2 shown]
	ds_read_b128 v[16:19], v25 offset:9248
	ds_read_b128 v[58:61], v26 offset:32
	;; [unrolled: 1-line block ×6, first 2 shown]
	s_waitcnt lgkmcnt(4)
	;;#ASMSTART
	v_dot2_f32_f16 v0, v58, v16, v0
	;;#ASMEND
	;;#ASMSTART
	v_dot2_f32_f16 v0, v59, v17, v0
	;;#ASMEND
	;;#ASMSTART
	v_dot2_f32_f16 v0, v60, v18, v0
	;;#ASMEND
	;;#ASMSTART
	v_dot2_f32_f16 v0, v61, v19, v0
	;;#ASMEND
	s_waitcnt lgkmcnt(2)
	;;#ASMSTART
	v_dot2_f32_f16 v1, v58, v66, v1
	;;#ASMEND
	;;#ASMSTART
	v_dot2_f32_f16 v1, v59, v67, v1
	;;#ASMEND
	;;#ASMSTART
	v_dot2_f32_f16 v1, v60, v68, v1
	;;#ASMEND
	;;#ASMSTART
	v_dot2_f32_f16 v1, v61, v69, v1
	;;#ASMEND
	s_waitcnt lgkmcnt(1)
	;;#ASMSTART
	v_dot2_f32_f16 v2, v58, v70, v2
	;;#ASMEND
	;;#ASMSTART
	v_dot2_f32_f16 v2, v59, v71, v2
	;;#ASMEND
	;;#ASMSTART
	v_dot2_f32_f16 v2, v60, v72, v2
	;;#ASMEND
	;;#ASMSTART
	v_dot2_f32_f16 v2, v61, v73, v2
	;;#ASMEND
	s_waitcnt lgkmcnt(0)
	;;#ASMSTART
	v_dot2_f32_f16 v3, v58, v74, v3
	;;#ASMEND
	;;#ASMSTART
	v_dot2_f32_f16 v3, v59, v75, v3
	;;#ASMEND
	;;#ASMSTART
	v_dot2_f32_f16 v3, v60, v76, v3
	;;#ASMEND
	;;#ASMSTART
	v_dot2_f32_f16 v3, v61, v77, v3
	;;#ASMEND
	;;#ASMSTART
	v_dot2_f32_f16 v4, v62, v16, v4
	;;#ASMEND
	;;#ASMSTART
	v_dot2_f32_f16 v4, v63, v17, v4
	;;#ASMEND
	;; [unrolled: 3-line block ×16, first 2 shown]
	ds_read_b128 v[16:19], v25 offset:9264
	ds_read_b128 v[58:61], v26 offset:48
	;; [unrolled: 1-line block ×6, first 2 shown]
	s_waitcnt lgkmcnt(4)
	;;#ASMSTART
	v_dot2_f32_f16 v0, v58, v16, v0
	;;#ASMEND
	;;#ASMSTART
	v_dot2_f32_f16 v0, v59, v17, v0
	;;#ASMEND
	;;#ASMSTART
	v_dot2_f32_f16 v0, v60, v18, v0
	;;#ASMEND
	;;#ASMSTART
	v_dot2_f32_f16 v0, v61, v19, v0
	;;#ASMEND
	s_waitcnt lgkmcnt(2)
	;;#ASMSTART
	v_dot2_f32_f16 v1, v58, v66, v1
	;;#ASMEND
	;;#ASMSTART
	v_dot2_f32_f16 v1, v59, v67, v1
	;;#ASMEND
	;;#ASMSTART
	v_dot2_f32_f16 v1, v60, v68, v1
	;;#ASMEND
	;;#ASMSTART
	v_dot2_f32_f16 v1, v61, v69, v1
	;;#ASMEND
	;; [unrolled: 13-line block ×4, first 2 shown]
	;;#ASMSTART
	v_dot2_f32_f16 v4, v62, v16, v4
	;;#ASMEND
	;;#ASMSTART
	v_dot2_f32_f16 v4, v63, v17, v4
	;;#ASMEND
	;; [unrolled: 3-line block ×16, first 2 shown]
	ds_read_b128 v[16:19], v25 offset:9280
	ds_read_b128 v[58:61], v26 offset:64
	;; [unrolled: 1-line block ×6, first 2 shown]
	s_waitcnt lgkmcnt(4)
	;;#ASMSTART
	v_dot2_f32_f16 v0, v58, v16, v0
	;;#ASMEND
	;;#ASMSTART
	v_dot2_f32_f16 v0, v59, v17, v0
	;;#ASMEND
	;;#ASMSTART
	v_dot2_f32_f16 v0, v60, v18, v0
	;;#ASMEND
	;;#ASMSTART
	v_dot2_f32_f16 v0, v61, v19, v0
	;;#ASMEND
	s_waitcnt lgkmcnt(2)
	;;#ASMSTART
	v_dot2_f32_f16 v1, v58, v66, v1
	;;#ASMEND
	;;#ASMSTART
	v_dot2_f32_f16 v1, v59, v67, v1
	;;#ASMEND
	;;#ASMSTART
	v_dot2_f32_f16 v1, v60, v68, v1
	;;#ASMEND
	;;#ASMSTART
	v_dot2_f32_f16 v1, v61, v69, v1
	;;#ASMEND
	;; [unrolled: 13-line block ×4, first 2 shown]
	;;#ASMSTART
	v_dot2_f32_f16 v4, v62, v16, v4
	;;#ASMEND
	;;#ASMSTART
	v_dot2_f32_f16 v4, v63, v17, v4
	;;#ASMEND
	;; [unrolled: 3-line block ×16, first 2 shown]
	ds_read_b128 v[16:19], v25 offset:9296
	ds_read_b128 v[58:61], v26 offset:80
	ds_read_b128 v[62:65], v26 offset:4688
	ds_read_b128 v[66:69], v25 offset:9552
	ds_read_b128 v[70:73], v25 offset:9808
	ds_read_b128 v[74:77], v25 offset:10064
	s_waitcnt lgkmcnt(4)
	;;#ASMSTART
	v_dot2_f32_f16 v0, v58, v16, v0
	;;#ASMEND
	;;#ASMSTART
	v_dot2_f32_f16 v0, v59, v17, v0
	;;#ASMEND
	;;#ASMSTART
	v_dot2_f32_f16 v0, v60, v18, v0
	;;#ASMEND
	;;#ASMSTART
	v_dot2_f32_f16 v0, v61, v19, v0
	;;#ASMEND
	s_waitcnt lgkmcnt(2)
	;;#ASMSTART
	v_dot2_f32_f16 v1, v58, v66, v1
	;;#ASMEND
	;;#ASMSTART
	v_dot2_f32_f16 v1, v59, v67, v1
	;;#ASMEND
	;;#ASMSTART
	v_dot2_f32_f16 v1, v60, v68, v1
	;;#ASMEND
	;;#ASMSTART
	v_dot2_f32_f16 v1, v61, v69, v1
	;;#ASMEND
	;; [unrolled: 13-line block ×4, first 2 shown]
	;;#ASMSTART
	v_dot2_f32_f16 v4, v62, v16, v4
	;;#ASMEND
	;;#ASMSTART
	v_dot2_f32_f16 v4, v63, v17, v4
	;;#ASMEND
	;; [unrolled: 3-line block ×16, first 2 shown]
	ds_read_b128 v[16:19], v25 offset:9312
	ds_read_b128 v[58:61], v26 offset:96
	;; [unrolled: 1-line block ×6, first 2 shown]
	s_waitcnt lgkmcnt(4)
	;;#ASMSTART
	v_dot2_f32_f16 v0, v58, v16, v0
	;;#ASMEND
	;;#ASMSTART
	v_dot2_f32_f16 v0, v59, v17, v0
	;;#ASMEND
	;;#ASMSTART
	v_dot2_f32_f16 v0, v60, v18, v0
	;;#ASMEND
	;;#ASMSTART
	v_dot2_f32_f16 v0, v61, v19, v0
	;;#ASMEND
	s_waitcnt lgkmcnt(2)
	;;#ASMSTART
	v_dot2_f32_f16 v1, v58, v66, v1
	;;#ASMEND
	;;#ASMSTART
	v_dot2_f32_f16 v1, v59, v67, v1
	;;#ASMEND
	;;#ASMSTART
	v_dot2_f32_f16 v1, v60, v68, v1
	;;#ASMEND
	;;#ASMSTART
	v_dot2_f32_f16 v1, v61, v69, v1
	;;#ASMEND
	;; [unrolled: 13-line block ×4, first 2 shown]
	;;#ASMSTART
	v_dot2_f32_f16 v4, v62, v16, v4
	;;#ASMEND
	;;#ASMSTART
	v_dot2_f32_f16 v4, v63, v17, v4
	;;#ASMEND
	;; [unrolled: 3-line block ×16, first 2 shown]
	ds_read_b128 v[16:19], v25 offset:9328
	ds_read_b128 v[58:61], v26 offset:112
	;; [unrolled: 1-line block ×6, first 2 shown]
	s_waitcnt lgkmcnt(4)
	;;#ASMSTART
	v_dot2_f32_f16 v0, v58, v16, v0
	;;#ASMEND
	;;#ASMSTART
	v_dot2_f32_f16 v0, v59, v17, v0
	;;#ASMEND
	;;#ASMSTART
	v_dot2_f32_f16 v0, v60, v18, v0
	;;#ASMEND
	;;#ASMSTART
	v_dot2_f32_f16 v0, v61, v19, v0
	;;#ASMEND
	s_waitcnt lgkmcnt(2)
	;;#ASMSTART
	v_dot2_f32_f16 v1, v58, v66, v1
	;;#ASMEND
	;;#ASMSTART
	v_dot2_f32_f16 v1, v59, v67, v1
	;;#ASMEND
	;;#ASMSTART
	v_dot2_f32_f16 v1, v60, v68, v1
	;;#ASMEND
	;;#ASMSTART
	v_dot2_f32_f16 v1, v61, v69, v1
	;;#ASMEND
	;; [unrolled: 13-line block ×4, first 2 shown]
	;;#ASMSTART
	v_dot2_f32_f16 v4, v62, v16, v4
	;;#ASMEND
	;;#ASMSTART
	v_dot2_f32_f16 v4, v63, v17, v4
	;;#ASMEND
	;;#ASMSTART
	v_dot2_f32_f16 v4, v64, v18, v4
	;;#ASMEND
	;;#ASMSTART
	v_dot2_f32_f16 v4, v65, v19, v4
	;;#ASMEND
	;;#ASMSTART
	v_dot2_f32_f16 v5, v62, v66, v5
	;;#ASMEND
	;;#ASMSTART
	v_dot2_f32_f16 v5, v63, v67, v5
	;;#ASMEND
	;;#ASMSTART
	v_dot2_f32_f16 v5, v64, v68, v5
	;;#ASMEND
	;;#ASMSTART
	v_dot2_f32_f16 v5, v65, v69, v5
	;;#ASMEND
	;;#ASMSTART
	v_dot2_f32_f16 v6, v62, v70, v6
	;;#ASMEND
	;;#ASMSTART
	v_dot2_f32_f16 v6, v63, v71, v6
	;;#ASMEND
	;;#ASMSTART
	v_dot2_f32_f16 v6, v64, v72, v6
	;;#ASMEND
	;;#ASMSTART
	v_dot2_f32_f16 v6, v65, v73, v6
	;;#ASMEND
	;;#ASMSTART
	v_dot2_f32_f16 v7, v62, v74, v7
	;;#ASMEND
	;;#ASMSTART
	v_dot2_f32_f16 v7, v63, v75, v7
	;;#ASMEND
	;;#ASMSTART
	v_dot2_f32_f16 v7, v64, v76, v7
	;;#ASMEND
	;;#ASMSTART
	v_dot2_f32_f16 v7, v65, v77, v7
	;;#ASMEND
	s_barrier
	buffer_store_dword v24, off, s[0:3], 0
	buffer_store_dword v24, off, s[0:3], 0 offset:8
	buffer_store_dword v24, off, s[0:3], 0 offset:4
	;; [unrolled: 1-line block ×3, first 2 shown]
	flat_load_dwordx4 v[16:19], v[22:23]
	v_add_co_u32_e64 v22, s[6:7], s12, v30
	v_addc_co_u32_e64 v23, s[6:7], 0, v31, s[6:7]
	v_cndmask_b32_e32 v23, v28, v23, vcc
	v_cndmask_b32_e32 v22, v29, v22, vcc
	buffer_store_dword v24, off, s[0:3], 0
	buffer_store_dword v24, off, s[0:3], 0 offset:8
	buffer_store_dword v24, off, s[0:3], 0 offset:4
	;; [unrolled: 1-line block ×3, first 2 shown]
	s_cselect_b64 s[6:7], -1, 0
	v_cmp_gt_i32_e64 s[12:13], s21, v39
	s_waitcnt vmcnt(0) lgkmcnt(0)
	ds_write_b128 v27, v[16:19]
	flat_load_dwordx4 v[16:19], v[22:23]
	v_cndmask_b32_e64 v23, 0, 1, s[6:7]
	v_add_u32_e32 v22, s20, v57
	v_cmp_ne_u32_e64 s[6:7], 1, v23
	s_waitcnt vmcnt(0) lgkmcnt(0)
	ds_write_b128 v27, v[16:19] offset:4608
	s_waitcnt lgkmcnt(0)
	s_barrier
	ds_read_b128 v[16:19], v25 offset:9344
	ds_read_b128 v[28:31], v26
	ds_read_b128 v[58:61], v26 offset:4608
	ds_read_b128 v[62:65], v25 offset:9600
	;; [unrolled: 1-line block ×4, first 2 shown]
	s_waitcnt lgkmcnt(4)
	;;#ASMSTART
	v_dot2_f32_f16 v0, v28, v16, v0
	;;#ASMEND
	;;#ASMSTART
	v_dot2_f32_f16 v0, v29, v17, v0
	;;#ASMEND
	;;#ASMSTART
	v_dot2_f32_f16 v0, v30, v18, v0
	;;#ASMEND
	;;#ASMSTART
	v_dot2_f32_f16 v0, v31, v19, v0
	;;#ASMEND
	s_waitcnt lgkmcnt(2)
	;;#ASMSTART
	v_dot2_f32_f16 v1, v28, v62, v1
	;;#ASMEND
	;;#ASMSTART
	v_dot2_f32_f16 v1, v29, v63, v1
	;;#ASMEND
	;;#ASMSTART
	v_dot2_f32_f16 v1, v30, v64, v1
	;;#ASMEND
	;;#ASMSTART
	v_dot2_f32_f16 v1, v31, v65, v1
	;;#ASMEND
	;; [unrolled: 13-line block ×4, first 2 shown]
	;;#ASMSTART
	v_dot2_f32_f16 v4, v58, v16, v4
	;;#ASMEND
	;;#ASMSTART
	v_dot2_f32_f16 v4, v59, v17, v4
	;;#ASMEND
	;; [unrolled: 3-line block ×16, first 2 shown]
	ds_read_b128 v[16:19], v25 offset:9360
	ds_read_b128 v[28:31], v26 offset:16
	;; [unrolled: 1-line block ×6, first 2 shown]
	s_waitcnt lgkmcnt(4)
	;;#ASMSTART
	v_dot2_f32_f16 v0, v28, v16, v0
	;;#ASMEND
	;;#ASMSTART
	v_dot2_f32_f16 v0, v29, v17, v0
	;;#ASMEND
	;;#ASMSTART
	v_dot2_f32_f16 v0, v30, v18, v0
	;;#ASMEND
	;;#ASMSTART
	v_dot2_f32_f16 v0, v31, v19, v0
	;;#ASMEND
	s_waitcnt lgkmcnt(2)
	;;#ASMSTART
	v_dot2_f32_f16 v1, v28, v62, v1
	;;#ASMEND
	;;#ASMSTART
	v_dot2_f32_f16 v1, v29, v63, v1
	;;#ASMEND
	;;#ASMSTART
	v_dot2_f32_f16 v1, v30, v64, v1
	;;#ASMEND
	;;#ASMSTART
	v_dot2_f32_f16 v1, v31, v65, v1
	;;#ASMEND
	;; [unrolled: 13-line block ×4, first 2 shown]
	;;#ASMSTART
	v_dot2_f32_f16 v4, v58, v16, v4
	;;#ASMEND
	;;#ASMSTART
	v_dot2_f32_f16 v4, v59, v17, v4
	;;#ASMEND
	;; [unrolled: 3-line block ×16, first 2 shown]
	ds_read_b128 v[16:19], v25 offset:9376
	ds_read_b128 v[28:31], v26 offset:32
	;; [unrolled: 1-line block ×6, first 2 shown]
	s_waitcnt lgkmcnt(4)
	;;#ASMSTART
	v_dot2_f32_f16 v0, v28, v16, v0
	;;#ASMEND
	;;#ASMSTART
	v_dot2_f32_f16 v0, v29, v17, v0
	;;#ASMEND
	;;#ASMSTART
	v_dot2_f32_f16 v0, v30, v18, v0
	;;#ASMEND
	;;#ASMSTART
	v_dot2_f32_f16 v0, v31, v19, v0
	;;#ASMEND
	s_waitcnt lgkmcnt(2)
	;;#ASMSTART
	v_dot2_f32_f16 v1, v28, v62, v1
	;;#ASMEND
	;;#ASMSTART
	v_dot2_f32_f16 v1, v29, v63, v1
	;;#ASMEND
	;;#ASMSTART
	v_dot2_f32_f16 v1, v30, v64, v1
	;;#ASMEND
	;;#ASMSTART
	v_dot2_f32_f16 v1, v31, v65, v1
	;;#ASMEND
	;; [unrolled: 13-line block ×4, first 2 shown]
	;;#ASMSTART
	v_dot2_f32_f16 v4, v58, v16, v4
	;;#ASMEND
	;;#ASMSTART
	v_dot2_f32_f16 v4, v59, v17, v4
	;;#ASMEND
	;; [unrolled: 3-line block ×16, first 2 shown]
	ds_read_b128 v[16:19], v25 offset:9392
	ds_read_b128 v[28:31], v26 offset:48
	;; [unrolled: 1-line block ×6, first 2 shown]
	s_waitcnt lgkmcnt(4)
	;;#ASMSTART
	v_dot2_f32_f16 v0, v28, v16, v0
	;;#ASMEND
	;;#ASMSTART
	v_dot2_f32_f16 v0, v29, v17, v0
	;;#ASMEND
	;;#ASMSTART
	v_dot2_f32_f16 v0, v30, v18, v0
	;;#ASMEND
	;;#ASMSTART
	v_dot2_f32_f16 v0, v31, v19, v0
	;;#ASMEND
	s_waitcnt lgkmcnt(2)
	;;#ASMSTART
	v_dot2_f32_f16 v1, v28, v62, v1
	;;#ASMEND
	;;#ASMSTART
	v_dot2_f32_f16 v1, v29, v63, v1
	;;#ASMEND
	;;#ASMSTART
	v_dot2_f32_f16 v1, v30, v64, v1
	;;#ASMEND
	;;#ASMSTART
	v_dot2_f32_f16 v1, v31, v65, v1
	;;#ASMEND
	;; [unrolled: 13-line block ×4, first 2 shown]
	;;#ASMSTART
	v_dot2_f32_f16 v4, v58, v16, v4
	;;#ASMEND
	;;#ASMSTART
	v_dot2_f32_f16 v4, v59, v17, v4
	;;#ASMEND
	;; [unrolled: 3-line block ×16, first 2 shown]
	ds_read_b128 v[16:19], v25 offset:9408
	ds_read_b128 v[28:31], v26 offset:64
	;; [unrolled: 1-line block ×6, first 2 shown]
	s_waitcnt lgkmcnt(4)
	;;#ASMSTART
	v_dot2_f32_f16 v0, v28, v16, v0
	;;#ASMEND
	;;#ASMSTART
	v_dot2_f32_f16 v0, v29, v17, v0
	;;#ASMEND
	;;#ASMSTART
	v_dot2_f32_f16 v0, v30, v18, v0
	;;#ASMEND
	;;#ASMSTART
	v_dot2_f32_f16 v0, v31, v19, v0
	;;#ASMEND
	s_waitcnt lgkmcnt(2)
	;;#ASMSTART
	v_dot2_f32_f16 v1, v28, v62, v1
	;;#ASMEND
	;;#ASMSTART
	v_dot2_f32_f16 v1, v29, v63, v1
	;;#ASMEND
	;;#ASMSTART
	v_dot2_f32_f16 v1, v30, v64, v1
	;;#ASMEND
	;;#ASMSTART
	v_dot2_f32_f16 v1, v31, v65, v1
	;;#ASMEND
	;; [unrolled: 13-line block ×4, first 2 shown]
	;;#ASMSTART
	v_dot2_f32_f16 v4, v58, v16, v4
	;;#ASMEND
	;;#ASMSTART
	v_dot2_f32_f16 v4, v59, v17, v4
	;;#ASMEND
	;; [unrolled: 3-line block ×16, first 2 shown]
	ds_read_b128 v[16:19], v25 offset:9424
	ds_read_b128 v[28:31], v26 offset:80
	;; [unrolled: 1-line block ×6, first 2 shown]
	s_waitcnt lgkmcnt(4)
	;;#ASMSTART
	v_dot2_f32_f16 v0, v28, v16, v0
	;;#ASMEND
	;;#ASMSTART
	v_dot2_f32_f16 v0, v29, v17, v0
	;;#ASMEND
	;;#ASMSTART
	v_dot2_f32_f16 v0, v30, v18, v0
	;;#ASMEND
	;;#ASMSTART
	v_dot2_f32_f16 v0, v31, v19, v0
	;;#ASMEND
	s_waitcnt lgkmcnt(2)
	;;#ASMSTART
	v_dot2_f32_f16 v1, v28, v62, v1
	;;#ASMEND
	;;#ASMSTART
	v_dot2_f32_f16 v1, v29, v63, v1
	;;#ASMEND
	;;#ASMSTART
	v_dot2_f32_f16 v1, v30, v64, v1
	;;#ASMEND
	;;#ASMSTART
	v_dot2_f32_f16 v1, v31, v65, v1
	;;#ASMEND
	;; [unrolled: 13-line block ×4, first 2 shown]
	;;#ASMSTART
	v_dot2_f32_f16 v4, v58, v16, v4
	;;#ASMEND
	;;#ASMSTART
	v_dot2_f32_f16 v4, v59, v17, v4
	;;#ASMEND
	;; [unrolled: 3-line block ×16, first 2 shown]
	ds_read_b128 v[16:19], v25 offset:9440
	ds_read_b128 v[28:31], v26 offset:96
	;; [unrolled: 1-line block ×6, first 2 shown]
	s_waitcnt lgkmcnt(4)
	;;#ASMSTART
	v_dot2_f32_f16 v0, v28, v16, v0
	;;#ASMEND
	;;#ASMSTART
	v_dot2_f32_f16 v0, v29, v17, v0
	;;#ASMEND
	;;#ASMSTART
	v_dot2_f32_f16 v0, v30, v18, v0
	;;#ASMEND
	;;#ASMSTART
	v_dot2_f32_f16 v0, v31, v19, v0
	;;#ASMEND
	s_waitcnt lgkmcnt(2)
	;;#ASMSTART
	v_dot2_f32_f16 v1, v28, v62, v1
	;;#ASMEND
	;;#ASMSTART
	v_dot2_f32_f16 v1, v29, v63, v1
	;;#ASMEND
	;;#ASMSTART
	v_dot2_f32_f16 v1, v30, v64, v1
	;;#ASMEND
	;;#ASMSTART
	v_dot2_f32_f16 v1, v31, v65, v1
	;;#ASMEND
	;; [unrolled: 13-line block ×4, first 2 shown]
	;;#ASMSTART
	v_dot2_f32_f16 v4, v58, v16, v4
	;;#ASMEND
	;;#ASMSTART
	v_dot2_f32_f16 v4, v59, v17, v4
	;;#ASMEND
	;; [unrolled: 3-line block ×16, first 2 shown]
	ds_read_b128 v[16:19], v25 offset:9456
	ds_read_b128 v[28:31], v26 offset:112
	;; [unrolled: 1-line block ×6, first 2 shown]
	s_waitcnt lgkmcnt(4)
	;;#ASMSTART
	v_dot2_f32_f16 v0, v28, v16, v0
	;;#ASMEND
	;;#ASMSTART
	v_dot2_f32_f16 v0, v29, v17, v0
	;;#ASMEND
	;;#ASMSTART
	v_dot2_f32_f16 v0, v30, v18, v0
	;;#ASMEND
	;;#ASMSTART
	v_dot2_f32_f16 v0, v31, v19, v0
	;;#ASMEND
	s_waitcnt lgkmcnt(2)
	;;#ASMSTART
	v_dot2_f32_f16 v1, v28, v62, v1
	;;#ASMEND
	;;#ASMSTART
	v_dot2_f32_f16 v1, v29, v63, v1
	;;#ASMEND
	;;#ASMSTART
	v_dot2_f32_f16 v1, v30, v64, v1
	;;#ASMEND
	;;#ASMSTART
	v_dot2_f32_f16 v1, v31, v65, v1
	;;#ASMEND
	;; [unrolled: 13-line block ×4, first 2 shown]
	;;#ASMSTART
	v_dot2_f32_f16 v4, v58, v16, v4
	;;#ASMEND
	;;#ASMSTART
	v_dot2_f32_f16 v4, v59, v17, v4
	;;#ASMEND
	;; [unrolled: 3-line block ×14, first 2 shown]
	v_pk_mov_b32 v[18:19], v[14:15], v[14:15] op_sel:[0,1]
	;;#ASMSTART
	v_dot2_f32_f16 v7, v60, v72, v7
	;;#ASMEND
	v_pk_mov_b32 v[16:17], v[12:13], v[12:13] op_sel:[0,1]
	;;#ASMSTART
	v_dot2_f32_f16 v7, v61, v73, v7
	;;#ASMEND
	s_and_saveexec_b64 s[10:11], s[12:13]
	s_cbranch_execz .LBB56_35
; %bb.32:
	s_and_b64 vcc, exec, s[6:7]
	s_cbranch_vccnz .LBB56_34
; %bb.33:
	v_add_u32_e32 v16, v22, v39
	v_ashrrev_i32_e32 v17, 31, v16
	v_lshlrev_b64 v[16:17], 1, v[16:17]
	v_mov_b32_e32 v18, s35
	v_add_co_u32_e32 v16, vcc, s34, v16
	v_addc_co_u32_e32 v17, vcc, v18, v17, vcc
	flat_load_ushort v16, v[16:17]
	s_waitcnt vmcnt(0) lgkmcnt(0)
	v_cvt_f32_f16_e32 v16, v16
	v_mul_f32_e32 v24, v44, v16
.LBB56_34:
	v_add_f32_e32 v0, v0, v24
	v_add_f32_e32 v16, 0x40051340, v0
	v_max_f32_e32 v17, v12, v12
	v_max_f32_e32 v23, v17, v16
	v_pk_mov_b32 v[18:19], v[14:15], v[14:15] op_sel:[0,1]
	v_pk_mov_b32 v[16:17], v[12:13], v[12:13] op_sel:[0,1]
	v_mov_b32_e32 v16, v23
.LBB56_35:
	s_or_b64 exec, exec, s[10:11]
	v_add_u32_e32 v30, 32, v39
	v_cmp_gt_i32_e64 s[10:11], s21, v30
	s_and_saveexec_b64 s[16:17], s[10:11]
	s_cbranch_execz .LBB56_40
; %bb.36:
	s_and_b64 vcc, exec, s[6:7]
	s_cbranch_vccnz .LBB56_38
; %bb.37:
	v_ashrrev_i32_e32 v23, 31, v22
	v_add_co_u32_e32 v22, vcc, v22, v39
	v_addc_co_u32_e32 v23, vcc, 0, v23, vcc
	v_lshlrev_b64 v[22:23], 1, v[22:23]
	v_mov_b32_e32 v24, s35
	v_add_co_u32_e32 v22, vcc, s34, v22
	v_addc_co_u32_e32 v23, vcc, v24, v23, vcc
	flat_load_ushort v22, v[22:23] offset:64
	s_waitcnt vmcnt(0) lgkmcnt(0)
	v_cvt_f32_f16_e32 v22, v22
	v_mul_f32_e32 v22, v44, v22
	s_branch .LBB56_39
.LBB56_38:
	v_mov_b32_e32 v22, 0
.LBB56_39:
	v_add_f32_e32 v4, v4, v22
	v_add_f32_e32 v22, 0x40051340, v4
	v_max_f32_e32 v16, v16, v16
	v_max_f32_e32 v16, v16, v22
.LBB56_40:
	s_or_b64 exec, exec, s[16:17]
	v_mbcnt_hi_u32_b32 v22, -1, v56
	v_and_b32_e32 v23, 0x60, v22
	v_add_u32_e32 v23, 32, v23
	v_xor_b32_e32 v26, 16, v22
	v_cmp_lt_i32_e32 vcc, v26, v23
	v_cndmask_b32_e32 v24, v22, v26, vcc
	v_lshlrev_b32_e32 v57, 2, v24
	ds_bpermute_b32 v24, v57, v16
	v_xor_b32_e32 v27, 8, v22
	v_cmp_lt_i32_e32 vcc, v27, v23
	v_cndmask_b32_e32 v25, v22, v27, vcc
	v_max_f32_e32 v16, v16, v16
	s_waitcnt lgkmcnt(0)
	v_max_f32_e32 v24, v24, v24
	v_lshlrev_b32_e32 v58, 2, v25
	v_max_f32_e32 v16, v16, v24
	ds_bpermute_b32 v24, v58, v16
	v_xor_b32_e32 v28, 4, v22
	v_cmp_lt_i32_e32 vcc, v28, v23
	v_cndmask_b32_e32 v25, v22, v28, vcc
	v_lshlrev_b32_e32 v29, 2, v25
	s_waitcnt lgkmcnt(0)
	v_max_f32_e32 v24, v24, v24
	v_max_f32_e32 v16, v16, v24
	ds_bpermute_b32 v24, v29, v16
	v_xor_b32_e32 v25, 2, v22
	v_cmp_lt_i32_e32 vcc, v25, v23
	v_cndmask_b32_e32 v31, v22, v25, vcc
	v_lshlrev_b32_e32 v31, 2, v31
	s_waitcnt lgkmcnt(0)
	v_max_f32_e32 v24, v24, v24
	;; [unrolled: 8-line block ×3, first 2 shown]
	v_max_f32_e32 v16, v16, v59
	ds_bpermute_b32 v59, v56, v16
	v_mul_hi_u32 v60, s36, v55
	s_waitcnt lgkmcnt(0)
	v_max_f32_e32 v59, v59, v59
	v_max_f32_e32 v16, v16, v59
	v_add_u32_e32 v59, v55, v60
	v_lshrrev_b32_e32 v59, s37, v59
	v_mul_lo_u32 v59, v59, s38
	v_sub_u32_e32 v55, v55, v59
	v_mul_lo_u32 v55, v55, s23
	v_add_u32_e32 v55, s20, v55
	s_and_saveexec_b64 s[16:17], s[12:13]
	s_cbranch_execz .LBB56_45
; %bb.41:
	s_and_b64 vcc, exec, s[6:7]
	s_cbranch_vccnz .LBB56_43
; %bb.42:
	v_add_u32_e32 v60, v55, v39
	v_ashrrev_i32_e32 v61, 31, v60
	v_lshlrev_b64 v[60:61], 1, v[60:61]
	v_mov_b32_e32 v59, s35
	v_add_co_u32_e32 v60, vcc, s34, v60
	v_addc_co_u32_e32 v61, vcc, v59, v61, vcc
	flat_load_ushort v59, v[60:61]
	s_waitcnt vmcnt(0) lgkmcnt(0)
	v_cvt_f32_f16_e32 v59, v59
	v_mul_f32_e32 v59, v44, v59
	s_branch .LBB56_44
.LBB56_43:
	v_mov_b32_e32 v59, 0
.LBB56_44:
	v_add_f32_e32 v1, v1, v59
	v_add_f32_e32 v59, 0x40051340, v1
	v_max_f32_e32 v17, v17, v17
	v_max_f32_e32 v17, v17, v59
.LBB56_45:
	s_or_b64 exec, exec, s[16:17]
	s_and_saveexec_b64 s[16:17], s[10:11]
	s_cbranch_execz .LBB56_50
; %bb.46:
	s_and_b64 vcc, exec, s[6:7]
	s_cbranch_vccnz .LBB56_48
; %bb.47:
	v_ashrrev_i32_e32 v59, 31, v55
	v_add_co_u32_e32 v60, vcc, v55, v39
	v_addc_co_u32_e32 v61, vcc, 0, v59, vcc
	v_lshlrev_b64 v[60:61], 1, v[60:61]
	v_mov_b32_e32 v55, s35
	v_add_co_u32_e32 v60, vcc, s34, v60
	v_addc_co_u32_e32 v61, vcc, v55, v61, vcc
	flat_load_ushort v55, v[60:61] offset:64
	s_waitcnt vmcnt(0) lgkmcnt(0)
	v_cvt_f32_f16_e32 v55, v55
	v_mul_f32_e32 v55, v44, v55
	s_branch .LBB56_49
.LBB56_48:
	v_mov_b32_e32 v55, 0
.LBB56_49:
	v_add_f32_e32 v5, v5, v55
	v_add_f32_e32 v55, 0x40051340, v5
	v_max_f32_e32 v17, v17, v17
	v_max_f32_e32 v17, v17, v55
.LBB56_50:
	s_or_b64 exec, exec, s[16:17]
	ds_bpermute_b32 v55, v57, v17
	v_max_f32_e32 v17, v17, v17
	v_mul_hi_u32 v59, s36, v54
	v_add_u32_e32 v59, v54, v59
	v_lshrrev_b32_e32 v59, s37, v59
	s_waitcnt lgkmcnt(0)
	v_max_f32_e32 v55, v55, v55
	v_max_f32_e32 v17, v17, v55
	ds_bpermute_b32 v55, v58, v17
	v_mul_lo_u32 v59, v59, s38
	v_sub_u32_e32 v54, v54, v59
	v_mul_lo_u32 v54, v54, s23
	v_add_u32_e32 v54, s20, v54
	s_waitcnt lgkmcnt(0)
	v_max_f32_e32 v55, v55, v55
	v_max_f32_e32 v17, v17, v55
	ds_bpermute_b32 v55, v29, v17
	s_waitcnt lgkmcnt(0)
	v_max_f32_e32 v55, v55, v55
	v_max_f32_e32 v17, v17, v55
	ds_bpermute_b32 v55, v31, v17
	;; [unrolled: 4-line block ×3, first 2 shown]
	s_waitcnt lgkmcnt(0)
	v_max_f32_e32 v55, v55, v55
	v_max_f32_e32 v17, v17, v55
	s_and_saveexec_b64 s[16:17], s[12:13]
	s_cbranch_execz .LBB56_55
; %bb.51:
	s_and_b64 vcc, exec, s[6:7]
	s_cbranch_vccnz .LBB56_53
; %bb.52:
	v_add_u32_e32 v60, v54, v39
	v_ashrrev_i32_e32 v61, 31, v60
	v_lshlrev_b64 v[60:61], 1, v[60:61]
	v_mov_b32_e32 v55, s35
	v_add_co_u32_e32 v60, vcc, s34, v60
	v_addc_co_u32_e32 v61, vcc, v55, v61, vcc
	flat_load_ushort v55, v[60:61]
	s_waitcnt vmcnt(0) lgkmcnt(0)
	v_cvt_f32_f16_e32 v55, v55
	v_mul_f32_e32 v55, v44, v55
	s_branch .LBB56_54
.LBB56_53:
	v_mov_b32_e32 v55, 0
.LBB56_54:
	v_add_f32_e32 v2, v2, v55
	v_add_f32_e32 v55, 0x40051340, v2
	v_max_f32_e32 v18, v18, v18
	v_max_f32_e32 v18, v18, v55
.LBB56_55:
	s_or_b64 exec, exec, s[16:17]
	s_and_saveexec_b64 s[16:17], s[10:11]
	s_cbranch_execz .LBB56_60
; %bb.56:
	s_and_b64 vcc, exec, s[6:7]
	s_cbranch_vccnz .LBB56_58
; %bb.57:
	v_ashrrev_i32_e32 v55, 31, v54
	v_add_co_u32_e32 v54, vcc, v54, v39
	v_addc_co_u32_e32 v55, vcc, 0, v55, vcc
	v_lshlrev_b64 v[54:55], 1, v[54:55]
	v_mov_b32_e32 v59, s35
	v_add_co_u32_e32 v54, vcc, s34, v54
	v_addc_co_u32_e32 v55, vcc, v59, v55, vcc
	flat_load_ushort v54, v[54:55] offset:64
	s_waitcnt vmcnt(0) lgkmcnt(0)
	v_cvt_f32_f16_e32 v54, v54
	v_mul_f32_e32 v54, v44, v54
	s_branch .LBB56_59
.LBB56_58:
	v_mov_b32_e32 v54, 0
.LBB56_59:
	v_add_f32_e32 v6, v6, v54
	v_add_f32_e32 v54, 0x40051340, v6
	v_max_f32_e32 v18, v18, v18
	v_max_f32_e32 v18, v18, v54
.LBB56_60:
	s_or_b64 exec, exec, s[16:17]
	ds_bpermute_b32 v54, v57, v18
	v_max_f32_e32 v18, v18, v18
	v_mul_hi_u32 v55, s36, v51
	v_add_u32_e32 v55, v51, v55
	v_lshrrev_b32_e32 v55, s37, v55
	s_waitcnt lgkmcnt(0)
	v_max_f32_e32 v54, v54, v54
	v_max_f32_e32 v18, v18, v54
	ds_bpermute_b32 v54, v58, v18
	v_mul_lo_u32 v55, v55, s38
	v_sub_u32_e32 v51, v51, v55
	v_mul_lo_u32 v51, v51, s23
	v_add_u32_e32 v51, s20, v51
	s_waitcnt lgkmcnt(0)
	v_max_f32_e32 v54, v54, v54
	v_max_f32_e32 v18, v18, v54
	ds_bpermute_b32 v54, v29, v18
	s_waitcnt lgkmcnt(0)
	v_max_f32_e32 v54, v54, v54
	v_max_f32_e32 v18, v18, v54
	ds_bpermute_b32 v54, v31, v18
	s_waitcnt lgkmcnt(0)
	v_max_f32_e32 v54, v54, v54
	v_max_f32_e32 v18, v18, v54
	ds_bpermute_b32 v54, v56, v18
	s_waitcnt lgkmcnt(0)
	v_max_f32_e32 v54, v54, v54
	v_max_f32_e32 v18, v18, v54
	s_and_saveexec_b64 s[16:17], s[12:13]
	s_cbranch_execz .LBB56_65
; %bb.61:
	s_and_b64 vcc, exec, s[6:7]
	s_cbranch_vccnz .LBB56_63
; %bb.62:
	v_add_u32_e32 v54, v51, v39
	v_ashrrev_i32_e32 v55, 31, v54
	v_lshlrev_b64 v[54:55], 1, v[54:55]
	v_mov_b32_e32 v59, s35
	v_add_co_u32_e32 v54, vcc, s34, v54
	v_addc_co_u32_e32 v55, vcc, v59, v55, vcc
	flat_load_ushort v54, v[54:55]
	s_waitcnt vmcnt(0) lgkmcnt(0)
	v_cvt_f32_f16_e32 v54, v54
	v_mul_f32_e32 v54, v44, v54
	s_branch .LBB56_64
.LBB56_63:
	v_mov_b32_e32 v54, 0
.LBB56_64:
	v_add_f32_e32 v3, v3, v54
	v_add_f32_e32 v54, 0x40051340, v3
	v_max_f32_e32 v19, v19, v19
	v_max_f32_e32 v19, v19, v54
.LBB56_65:
	s_or_b64 exec, exec, s[16:17]
	s_and_saveexec_b64 s[12:13], s[10:11]
	s_cbranch_execz .LBB56_70
; %bb.66:
	s_and_b64 vcc, exec, s[6:7]
	s_cbranch_vccnz .LBB56_68
; %bb.67:
	v_ashrrev_i32_e32 v55, 31, v51
	v_add_co_u32_e32 v54, vcc, v51, v39
	v_addc_co_u32_e32 v55, vcc, 0, v55, vcc
	v_lshlrev_b64 v[54:55], 1, v[54:55]
	v_mov_b32_e32 v51, s35
	v_add_co_u32_e32 v54, vcc, s34, v54
	v_addc_co_u32_e32 v55, vcc, v51, v55, vcc
	flat_load_ushort v51, v[54:55] offset:64
	s_waitcnt vmcnt(0) lgkmcnt(0)
	v_cvt_f32_f16_e32 v51, v51
	v_mul_f32_e32 v44, v44, v51
	s_branch .LBB56_69
.LBB56_68:
	v_mov_b32_e32 v44, 0
.LBB56_69:
	v_add_f32_e32 v7, v7, v44
	v_add_f32_e32 v44, 0x40051340, v7
	v_max_f32_e32 v19, v19, v19
	v_max_f32_e32 v19, v19, v44
.LBB56_70:
	s_or_b64 exec, exec, s[12:13]
	ds_bpermute_b32 v44, v57, v19
	v_max_f32_e32 v19, v19, v19
	v_sub_f32_e32 v0, v0, v16
	s_mov_b32 s13, 0x3fb8aa3b
	s_mov_b32 s12, 0xc2ce8ed0
	s_waitcnt lgkmcnt(0)
	v_max_f32_e32 v44, v44, v44
	v_max_f32_e32 v19, v19, v44
	ds_bpermute_b32 v44, v58, v19
	s_mov_b32 s16, 0x42b17218
	v_cmp_ngt_f32_e32 vcc, s12, v0
	v_sub_f32_e32 v4, v4, v16
	v_mov_b32_e32 v58, 0x7f800000
	s_waitcnt lgkmcnt(0)
	v_max_f32_e32 v44, v44, v44
	v_max_f32_e32 v19, v19, v44
	ds_bpermute_b32 v29, v29, v19
	v_mul_f32_e32 v44, 0x3fb8aa3b, v0
	v_fma_f32 v51, v0, s13, -v44
	v_rndne_f32_e32 v54, v44
	v_fmac_f32_e32 v51, 0x32a5705f, v0
	s_waitcnt lgkmcnt(0)
	v_max_f32_e32 v29, v29, v29
	v_max_f32_e32 v19, v19, v29
	ds_bpermute_b32 v29, v31, v19
	v_sub_f32_e32 v31, v44, v54
	v_add_f32_e32 v31, v31, v51
	v_cvt_i32_f32_e32 v44, v54
	v_exp_f32_e32 v31, v31
	s_waitcnt lgkmcnt(0)
	v_max_f32_e32 v29, v29, v29
	v_max_f32_e32 v19, v19, v29
	ds_bpermute_b32 v29, v56, v19
	v_ldexp_f32 v31, v31, v44
	v_cndmask_b32_e32 v31, 0, v31, vcc
	v_cmp_nlt_f32_e32 vcc, s16, v0
	v_cndmask_b32_e32 v0, v58, v31, vcc
	s_waitcnt lgkmcnt(0)
	v_max_f32_e32 v29, v29, v29
	v_max_f32_e32 v19, v19, v29
	v_mul_f32_e32 v29, 0x3fb8aa3b, v4
	v_fma_f32 v31, v4, s13, -v29
	v_rndne_f32_e32 v44, v29
	v_fmac_f32_e32 v31, 0x32a5705f, v4
	v_sub_f32_e32 v29, v29, v44
	v_add_f32_e32 v29, v29, v31
	v_exp_f32_e32 v29, v29
	v_cvt_i32_f32_e32 v31, v44
	v_cmp_ngt_f32_e64 s[6:7], s12, v4
	v_sub_f32_e32 v1, v1, v17
	v_sub_f32_e32 v5, v5, v17
	v_ldexp_f32 v29, v29, v31
	v_cndmask_b32_e64 v29, 0, v29, s[6:7]
	v_cmp_nlt_f32_e64 s[6:7], s16, v4
	v_cndmask_b32_e64 v4, v58, v29, s[6:7]
	v_mul_f32_e32 v29, 0x3fb8aa3b, v1
	v_fma_f32 v31, v1, s13, -v29
	v_rndne_f32_e32 v44, v29
	v_fmac_f32_e32 v31, 0x32a5705f, v1
	v_sub_f32_e32 v29, v29, v44
	v_add_f32_e32 v29, v29, v31
	v_exp_f32_e32 v29, v29
	v_cvt_i32_f32_e32 v31, v44
	v_cmp_ngt_f32_e64 s[10:11], s12, v1
	v_sub_f32_e32 v2, v2, v18
	v_cmp_gt_u32_e32 vcc, s21, v39
	v_ldexp_f32 v29, v29, v31
	v_mul_f32_e32 v31, 0x3fb8aa3b, v5
	v_fma_f32 v44, v5, s13, -v31
	v_rndne_f32_e32 v51, v31
	v_fmac_f32_e32 v44, 0x32a5705f, v5
	v_sub_f32_e32 v31, v31, v51
	v_add_f32_e32 v31, v31, v44
	v_exp_f32_e32 v31, v31
	v_cvt_i32_f32_e32 v44, v51
	v_cndmask_b32_e64 v29, 0, v29, s[10:11]
	v_cmp_nlt_f32_e64 s[10:11], s16, v1
	v_cndmask_b32_e64 v1, v58, v29, s[10:11]
	v_mul_f32_e32 v29, 0x3fb8aa3b, v2
	v_cndmask_b32_e32 v61, 0, v1, vcc
	v_ldexp_f32 v1, v31, v44
	v_fma_f32 v31, v2, s13, -v29
	v_rndne_f32_e32 v44, v29
	v_fmac_f32_e32 v31, 0x32a5705f, v2
	v_sub_f32_e32 v29, v29, v44
	v_add_f32_e32 v29, v29, v31
	v_exp_f32_e32 v29, v29
	v_cvt_i32_f32_e32 v31, v44
	v_cmp_ngt_f32_e64 s[10:11], s12, v5
	v_cndmask_b32_e64 v1, 0, v1, s[10:11]
	v_cmp_nlt_f32_e64 s[10:11], s16, v5
	v_cmp_gt_u32_e64 s[6:7], s21, v30
	v_cndmask_b32_e64 v1, v58, v1, s[10:11]
	v_sub_f32_e32 v6, v6, v18
	v_cndmask_b32_e64 v62, 0, v1, s[6:7]
	v_ldexp_f32 v1, v29, v31
	v_mul_f32_e32 v29, 0x3fb8aa3b, v6
	v_fma_f32 v31, v6, s13, -v29
	v_rndne_f32_e32 v44, v29
	v_fmac_f32_e32 v31, 0x32a5705f, v6
	v_sub_f32_e32 v29, v29, v44
	v_add_f32_e32 v29, v29, v31
	v_exp_f32_e32 v29, v29
	v_cvt_i32_f32_e32 v31, v44
	v_cmp_ngt_f32_e64 s[10:11], s12, v2
	v_sub_f32_e32 v3, v3, v19
	v_cndmask_b32_e64 v1, 0, v1, s[10:11]
	v_cmp_nlt_f32_e64 s[10:11], s16, v2
	v_ldexp_f32 v2, v29, v31
	v_mul_f32_e32 v29, 0x3fb8aa3b, v3
	v_fma_f32 v31, v3, s13, -v29
	v_rndne_f32_e32 v44, v29
	v_fmac_f32_e32 v31, 0x32a5705f, v3
	v_sub_f32_e32 v29, v29, v44
	v_add_f32_e32 v29, v29, v31
	v_exp_f32_e32 v29, v29
	v_cvt_i32_f32_e32 v31, v44
	v_cndmask_b32_e64 v1, v58, v1, s[10:11]
	v_cmp_ngt_f32_e64 s[10:11], s12, v6
	v_sub_f32_e32 v7, v7, v19
	v_cndmask_b32_e64 v2, 0, v2, s[10:11]
	v_cmp_nlt_f32_e64 s[10:11], s16, v6
	v_ldexp_f32 v6, v29, v31
	v_mul_f32_e32 v29, 0x3fb8aa3b, v7
	v_fma_f32 v31, v7, s13, -v29
	v_rndne_f32_e32 v44, v29
	v_fmac_f32_e32 v31, 0x32a5705f, v7
	v_sub_f32_e32 v29, v29, v44
	v_add_f32_e32 v29, v29, v31
	v_exp_f32_e32 v29, v29
	v_cvt_i32_f32_e32 v31, v44
	v_cndmask_b32_e64 v2, v58, v2, s[10:11]
	v_cmp_ngt_f32_e64 s[10:11], s12, v3
	v_cndmask_b32_e64 v6, 0, v6, s[10:11]
	v_cmp_nlt_f32_e64 s[10:11], s16, v3
	v_cndmask_b32_e64 v3, v58, v6, s[10:11]
	v_cndmask_b32_e32 v59, 0, v0, vcc
	v_cndmask_b32_e32 v63, 0, v1, vcc
	;; [unrolled: 1-line block ×3, first 2 shown]
	v_ldexp_f32 v6, v29, v31
	v_cmp_ngt_f32_e32 vcc, s12, v7
	v_cvt_f16_f32_e32 v0, v59
	v_cndmask_b32_e64 v60, 0, v4, s[6:7]
	v_cvt_f16_f32_e32 v51, v61
	v_cvt_f16_f32_e32 v1, v63
	;; [unrolled: 1-line block ×3, first 2 shown]
	v_cndmask_b32_e32 v6, 0, v6, vcc
	v_cmp_nlt_f32_e32 vcc, s16, v7
	v_cvt_f16_f32_e32 v4, v60
	v_cvt_f16_f32_e32 v5, v62
	v_cndmask_b32_e32 v6, v58, v6, vcc
	v_cndmask_b32_e64 v64, 0, v2, s[6:7]
	v_cndmask_b32_e64 v66, 0, v6, s[6:7]
	v_lshlrev_b32_e32 v29, 9, v42
	v_cvt_f16_f32_e32 v2, v64
	v_cvt_f16_f32_e32 v6, v66
	v_add_u32_e32 v7, 0x4400, v29
	v_add_u32_e32 v31, v7, v41
	v_pack_b32_f16 v1, v1, v3
	v_pack_b32_f16 v0, v0, v51
	v_lshl_add_u32 v51, v42, 1, v43
	s_mul_hi_i32 s11, s20, s8
	s_mul_i32 s10, s20, s8
	s_barrier
	ds_write_b64 v31, v[0:1]
	v_pack_b32_f16 v0, v4, v5
	s_mov_b64 s[6:7], src_private_base
	v_mul_lo_u32 v4, s8, v51
	s_lshl_b64 s[10:11], s[10:11], 2
	v_ashrrev_i32_e32 v5, 31, v4
	s_add_u32 s6, s18, s10
	v_lshl_add_u32 v3, v30, 3, v7
	v_pack_b32_f16 v1, v2, v6
	s_addc_u32 s10, s19, s11
	v_lshlrev_b64 v[6:7], 2, v[4:5]
	ds_write_b64 v3, v[0:1]
	v_mov_b32_e32 v0, s10
	v_add_co_u32_e32 v1, vcc, s6, v6
	v_lshlrev_b32_e32 v20, 2, v20
	v_addc_co_u32_e32 v0, vcc, v0, v7, vcc
	v_add_co_u32_e32 v2, vcc, v1, v20
	v_addc_co_u32_e32 v0, vcc, 0, v0, vcc
	v_mov_b32_e32 v30, 0
	v_mov_b32_e32 v31, s7
	v_cmp_gt_i32_e32 vcc, s21, v51
	v_mov_b32_e32 v42, 0
	buffer_store_dword v30, off, s[0:3], 0
	buffer_store_dword v30, off, s[0:3], 0 offset:8
	buffer_store_dword v30, off, s[0:3], 0 offset:4
	;; [unrolled: 1-line block ×3, first 2 shown]
	v_cndmask_b32_e32 v1, v31, v0, vcc
	v_cndmask_b32_e32 v0, v42, v2, vcc
	flat_load_dwordx4 v[0:3], v[0:1]
	v_lshl_add_u32 v4, s8, 4, v4
	v_ashrrev_i32_e32 v5, 31, v4
	v_lshl_or_b32 v44, v51, 8, v20
	v_lshlrev_b64 v[4:5], 2, v[4:5]
	v_add_u32_e32 v43, 16, v51
	s_waitcnt vmcnt(0) lgkmcnt(0)
	ds_write_b128 v44, v[0:3]
	v_mov_b32_e32 v0, s10
	v_add_co_u32_e32 v1, vcc, s6, v4
	v_addc_co_u32_e32 v0, vcc, v0, v5, vcc
	v_add_co_u32_e32 v2, vcc, v1, v20
	v_addc_co_u32_e32 v0, vcc, 0, v0, vcc
	v_cmp_gt_i32_e32 vcc, s21, v43
	buffer_store_dword v30, off, s[0:3], 0
	buffer_store_dword v30, off, s[0:3], 0 offset:8
	buffer_store_dword v30, off, s[0:3], 0 offset:4
	;; [unrolled: 1-line block ×3, first 2 shown]
	v_cndmask_b32_e32 v1, v31, v0, vcc
	v_cndmask_b32_e32 v0, v42, v2, vcc
	flat_load_dwordx4 v[54:57], v[0:1]
	v_sub_f32_e32 v1, v12, v16
	v_mul_f32_e32 v0, 0x3fb8aa3b, v1
	v_fma_f32 v2, v1, s13, -v0
	v_rndne_f32_e32 v3, v0
	v_fmac_f32_e32 v2, 0x32a5705f, v1
	v_sub_f32_e32 v0, v0, v3
	v_add_f32_e32 v0, v0, v2
	v_exp_f32_e32 v2, v0
	v_cvt_i32_f32_e32 v3, v3
	v_cmp_ngt_f32_e32 vcc, s12, v1
	v_add_f32_e32 v0, v59, v60
	s_or_b32 s6, s20, 32
	v_ldexp_f32 v2, v2, v3
	v_cndmask_b32_e32 v2, 0, v2, vcc
	v_cmp_nlt_f32_e32 vcc, s16, v1
	v_cndmask_b32_e32 v1, v58, v2, vcc
	v_sub_f32_e32 v2, v13, v17
	v_mul_f32_e32 v3, 0x3fb8aa3b, v2
	v_fma_f32 v12, v2, s13, -v3
	v_rndne_f32_e32 v13, v3
	v_fmac_f32_e32 v12, 0x32a5705f, v2
	v_sub_f32_e32 v3, v3, v13
	v_add_f32_e32 v3, v3, v12
	v_exp_f32_e32 v3, v3
	v_cvt_i32_f32_e32 v12, v13
	v_cmp_ngt_f32_e32 vcc, s12, v2
	v_cvt_f16_f32_e32 v68, v1
	v_fmac_f32_e32 v0, v8, v1
	v_ldexp_f32 v3, v3, v12
	v_cndmask_b32_e32 v3, 0, v3, vcc
	v_cmp_nlt_f32_e32 vcc, s16, v2
	v_cndmask_b32_e32 v2, v58, v3, vcc
	v_sub_f32_e32 v3, v14, v18
	v_mul_f32_e32 v12, 0x3fb8aa3b, v3
	v_fma_f32 v13, v3, s13, -v12
	v_rndne_f32_e32 v14, v12
	v_fmac_f32_e32 v13, 0x32a5705f, v3
	v_sub_f32_e32 v12, v12, v14
	v_add_f32_e32 v12, v12, v13
	v_exp_f32_e32 v12, v12
	v_cvt_i32_f32_e32 v13, v14
	v_cvt_f16_f32_e32 v69, v2
	v_add_f32_e32 v1, v61, v62
	v_fmac_f32_e32 v1, v9, v2
	v_ldexp_f32 v12, v12, v13
	v_sub_f32_e32 v13, v15, v19
	v_mul_f32_e32 v14, 0x3fb8aa3b, v13
	v_pk_mul_f16 v9, v69, v48 op_sel_hi:[0,1]
	v_fma_f32 v15, v13, s13, -v14
	v_rndne_f32_e32 v48, v14
	v_fmac_f32_e32 v15, 0x32a5705f, v13
	v_sub_f32_e32 v14, v14, v48
	v_add_f32_e32 v14, v14, v15
	v_exp_f32_e32 v14, v14
	v_cvt_i32_f32_e32 v15, v48
	v_cmp_ngt_f32_e32 vcc, s12, v3
	v_cndmask_b32_e32 v12, 0, v12, vcc
	v_cmp_nlt_f32_e32 vcc, s16, v3
	v_add_f32_e32 v2, v63, v64
	v_cndmask_b32_e32 v3, v58, v12, vcc
	v_fmac_f32_e32 v2, v10, v3
	v_cvt_f16_f32_e32 v10, v3
	v_ldexp_f32 v3, v14, v15
	v_cmp_ngt_f32_e32 vcc, s12, v13
	v_cndmask_b32_e32 v3, 0, v3, vcc
	v_cmp_nlt_f32_e32 vcc, s16, v13
	v_cndmask_b32_e32 v12, v58, v3, vcc
	v_add_f32_e32 v3, v65, v66
	v_fmac_f32_e32 v3, v11, v12
	v_lshl_or_b32 v11, v43, 8, v20
	v_pk_mul_f16 v8, v68, v52 op_sel_hi:[0,1]
	v_cvt_f16_f32_e32 v48, v12
	v_pk_mul_f16 v70, v10, v53 op_sel_hi:[0,1]
	s_mul_hi_i32 s7, s6, s8
	s_mul_i32 s6, s6, s8
	v_pk_mul_f16 v50, v48, v50 op_sel_hi:[0,1]
	v_pk_mul_f16 v46, v48, v46 op_sel_hi:[0,1]
	s_lshl_b64 s[6:7], s[6:7], 2
	s_add_u32 s6, s18, s6
	s_waitcnt vmcnt(0) lgkmcnt(0)
	ds_write_b128 v11, v[54:57]
	s_waitcnt lgkmcnt(0)
	s_barrier
	ds_read2_b64 v[12:15], v41 offset1:32
	ds_read_b128 v[52:55], v29 offset:17408
	ds_read_b128 v[56:59], v29 offset:17424
	;; [unrolled: 1-line block ×4, first 2 shown]
	s_addc_u32 s7, s19, s7
	v_mov_b32_e32 v124, s7
	v_add_co_u32_e32 v6, vcc, s6, v6
	s_waitcnt lgkmcnt(3)
	v_pk_mul_f16 v48, v12, v52 op_sel_hi:[1,0]
	v_pk_fma_f16 v48, v68, v49, v48 op_sel_hi:[0,1,1]
	v_pk_mul_f16 v49, v12, v52 op_sel:[0,1]
	v_pk_fma_f16 v47, v69, v47, v49 op_sel_hi:[0,1,1]
	v_pk_mul_f16 v49, v12, v53 op_sel_hi:[1,0]
	v_pk_fma_f16 v10, v10, v45, v49 op_sel_hi:[0,1,1]
	v_pk_fma_f16 v12, v12, v53, v50 op_sel:[0,1,0]
	v_pk_fma_f16 v8, v13, v52, v8 op_sel_hi:[1,0,1]
	v_pk_fma_f16 v9, v13, v52, v9 op_sel:[0,1,0]
	;; [unrolled: 2-line block ×4, first 2 shown]
	ds_read2_b64 v[46:49], v41 offset0:64 offset1:96
	v_pk_fma_f16 v10, v14, v55, v10 op_sel_hi:[1,0,1]
	v_pk_fma_f16 v12, v14, v55, v12 op_sel:[0,1,0]
	v_pk_fma_f16 v8, v15, v54, v8 op_sel_hi:[1,0,1]
	v_pk_fma_f16 v9, v15, v54, v9 op_sel:[0,1,0]
	v_pk_fma_f16 v14, v15, v55, v45 op_sel_hi:[1,0,1]
	v_pk_fma_f16 v13, v15, v55, v13 op_sel:[0,1,0]
	s_waitcnt lgkmcnt(0)
	v_pk_fma_f16 v15, v46, v56, v50 op_sel_hi:[1,0,1]
	v_pk_fma_f16 v45, v46, v56, v52 op_sel:[0,1,0]
	v_pk_fma_f16 v10, v46, v57, v10 op_sel_hi:[1,0,1]
	v_pk_fma_f16 v12, v46, v57, v12 op_sel:[0,1,0]
	v_pk_fma_f16 v8, v47, v56, v8 op_sel_hi:[1,0,1]
	v_pk_fma_f16 v9, v47, v56, v9 op_sel:[0,1,0]
	v_pk_fma_f16 v46, v47, v57, v14 op_sel_hi:[1,0,1]
	v_pk_fma_f16 v47, v47, v57, v13 op_sel:[0,1,0]
	v_pk_fma_f16 v50, v48, v58, v15 op_sel_hi:[1,0,1]
	v_pk_fma_f16 v45, v48, v58, v45 op_sel:[0,1,0]
	v_pk_fma_f16 v10, v48, v59, v10 op_sel_hi:[1,0,1]
	v_pk_fma_f16 v48, v48, v59, v12 op_sel:[0,1,0]
	ds_read2_b64 v[12:15], v41 offset0:128 offset1:160
	v_pk_fma_f16 v8, v49, v58, v8 op_sel_hi:[1,0,1]
	v_pk_fma_f16 v9, v49, v58, v9 op_sel:[0,1,0]
	v_pk_fma_f16 v46, v49, v59, v46 op_sel_hi:[1,0,1]
	v_pk_fma_f16 v47, v49, v59, v47 op_sel:[0,1,0]
	s_waitcnt lgkmcnt(0)
	v_pk_fma_f16 v49, v12, v60, v50 op_sel_hi:[1,0,1]
	v_pk_fma_f16 v45, v12, v60, v45 op_sel:[0,1,0]
	v_pk_fma_f16 v10, v12, v61, v10 op_sel_hi:[1,0,1]
	v_pk_fma_f16 v12, v12, v61, v48 op_sel:[0,1,0]
	;; [unrolled: 2-line block ×4, first 2 shown]
	v_pk_fma_f16 v52, v14, v62, v49 op_sel_hi:[1,0,1]
	ds_read2_b64 v[46:49], v41 offset0:192 offset1:224
	v_pk_fma_f16 v10, v14, v63, v10 op_sel_hi:[1,0,1]
	v_pk_fma_f16 v12, v14, v63, v12 op_sel:[0,1,0]
	v_pk_fma_f16 v45, v14, v62, v45 op_sel:[0,1,0]
	v_pk_fma_f16 v8, v15, v62, v8 op_sel_hi:[1,0,1]
	s_waitcnt lgkmcnt(0)
	v_pk_fma_f16 v10, v46, v65, v10 op_sel_hi:[1,0,1]
	v_pk_fma_f16 v9, v15, v62, v9 op_sel:[0,1,0]
	v_pk_fma_f16 v14, v15, v63, v50 op_sel_hi:[1,0,1]
	v_pk_fma_f16 v13, v15, v63, v13 op_sel:[0,1,0]
	;; [unrolled: 2-line block ×3, first 2 shown]
	v_pk_fma_f16 v56, v48, v67, v10 op_sel_hi:[1,0,1]
	v_add_u32_e32 v10, 0x800, v41
	v_pk_fma_f16 v45, v46, v64, v45 op_sel:[0,1,0]
	v_pk_fma_f16 v8, v47, v64, v8 op_sel_hi:[1,0,1]
	v_pk_fma_f16 v9, v47, v64, v9 op_sel:[0,1,0]
	v_pk_fma_f16 v46, v47, v65, v14 op_sel_hi:[1,0,1]
	;; [unrolled: 2-line block ×3, first 2 shown]
	v_pk_fma_f16 v57, v48, v67, v12 op_sel:[0,1,0]
	ds_read2_b64 v[12:15], v10 offset1:32
	ds_read_b128 v[52:55], v29 offset:17472
	v_pk_fma_f16 v45, v48, v66, v45 op_sel:[0,1,0]
	v_pk_fma_f16 v8, v49, v66, v8 op_sel_hi:[1,0,1]
	v_pk_fma_f16 v9, v49, v66, v9 op_sel:[0,1,0]
	v_pk_fma_f16 v58, v49, v67, v46 op_sel_hi:[1,0,1]
	v_pk_fma_f16 v59, v49, v67, v47 op_sel:[0,1,0]
	s_waitcnt lgkmcnt(0)
	v_pk_fma_f16 v56, v12, v53, v56 op_sel_hi:[1,0,1]
	ds_read_b128 v[46:49], v29 offset:17488
	v_pk_fma_f16 v50, v12, v52, v50 op_sel_hi:[1,0,1]
	v_pk_fma_f16 v45, v12, v52, v45 op_sel:[0,1,0]
	v_pk_fma_f16 v12, v12, v53, v57 op_sel:[0,1,0]
	v_pk_fma_f16 v8, v13, v52, v8 op_sel_hi:[1,0,1]
	v_pk_fma_f16 v9, v13, v52, v9 op_sel:[0,1,0]
	v_pk_fma_f16 v52, v13, v53, v58 op_sel_hi:[1,0,1]
	;; [unrolled: 2-line block ×3, first 2 shown]
	ds_read2_b64 v[56:59], v10 offset0:64 offset1:96
	v_pk_fma_f16 v50, v14, v54, v50 op_sel_hi:[1,0,1]
	v_pk_fma_f16 v12, v14, v55, v12 op_sel:[0,1,0]
	v_pk_fma_f16 v45, v14, v54, v45 op_sel:[0,1,0]
	v_pk_fma_f16 v8, v15, v54, v8 op_sel_hi:[1,0,1]
	v_pk_fma_f16 v9, v15, v54, v9 op_sel:[0,1,0]
	v_pk_fma_f16 v14, v15, v55, v52 op_sel_hi:[1,0,1]
	v_pk_fma_f16 v13, v15, v55, v13 op_sel:[0,1,0]
	s_waitcnt lgkmcnt(0)
	v_pk_fma_f16 v15, v56, v46, v50 op_sel_hi:[1,0,1]
	v_pk_fma_f16 v12, v56, v47, v12 op_sel:[0,1,0]
	v_pk_fma_f16 v45, v56, v46, v45 op_sel:[0,1,0]
	v_pk_fma_f16 v50, v56, v47, v53 op_sel_hi:[1,0,1]
	v_pk_fma_f16 v8, v57, v46, v8 op_sel_hi:[1,0,1]
	v_pk_fma_f16 v9, v57, v46, v9 op_sel:[0,1,0]
	v_pk_fma_f16 v46, v57, v47, v14 op_sel_hi:[1,0,1]
	v_pk_fma_f16 v47, v57, v47, v13 op_sel:[0,1,0]
	;; [unrolled: 2-line block ×3, first 2 shown]
	ds_read2_b64 v[12:15], v10 offset0:128 offset1:160
	ds_read_b128 v[52:55], v29 offset:17504
	v_addc_co_u32_e32 v7, vcc, v124, v7, vcc
	v_add_co_u32_e32 v6, vcc, v6, v20
	s_sub_i32 s8, s21, 32
	v_addc_co_u32_e32 v7, vcc, 0, v7, vcc
	v_pk_fma_f16 v129, v59, v48, v8 op_sel_hi:[1,0,1]
	v_pk_fma_f16 v130, v59, v48, v9 op_sel:[0,1,0]
	v_add_u32_e32 v9, 0x1000, v41
	v_add_u32_e32 v8, 0x1800, v41
	v_cmp_gt_i32_e32 vcc, s8, v51
	v_pk_fma_f16 v45, v58, v48, v45 op_sel:[0,1,0]
	v_pk_fma_f16 v50, v58, v49, v50 op_sel_hi:[1,0,1]
	v_pk_fma_f16 v131, v59, v49, v46 op_sel_hi:[1,0,1]
	v_pk_fma_f16 v132, v59, v49, v47 op_sel:[0,1,0]
	ds_read_b128 v[46:49], v29 offset:17520
	s_waitcnt lgkmcnt(1)
	v_pk_fma_f16 v133, v12, v52, v56 op_sel_hi:[1,0,1]
	ds_read2_b64 v[56:59], v10 offset0:192 offset1:224
	ds_read2_b64 v[60:63], v9 offset1:32
	ds_read2_b64 v[64:67], v9 offset0:64 offset1:96
	ds_read_b128 v[68:71], v29 offset:17536
	ds_read_b128 v[72:75], v29 offset:17552
	ds_read2_b64 v[76:79], v9 offset0:128 offset1:160
	ds_read2_b64 v[80:83], v9 offset0:192 offset1:224
	ds_read_b128 v[84:87], v29 offset:17568
	ds_read_b128 v[88:91], v29 offset:17584
	ds_read2_b64 v[92:95], v8 offset1:32
	ds_read2_b64 v[96:99], v8 offset0:64 offset1:96
	ds_read_b128 v[100:103], v29 offset:17600
	ds_read_b128 v[104:107], v29 offset:17616
	ds_read2_b64 v[108:111], v8 offset0:128 offset1:160
	ds_read2_b64 v[112:115], v8 offset0:192 offset1:224
	ds_read_b128 v[116:119], v29 offset:17632
	ds_read_b128 v[120:123], v29 offset:17648
	s_waitcnt lgkmcnt(0)
	s_barrier
	buffer_store_dword v30, off, s[0:3], 0
	buffer_store_dword v30, off, s[0:3], 0 offset:8
	buffer_store_dword v30, off, s[0:3], 0 offset:4
	;; [unrolled: 1-line block ×3, first 2 shown]
	v_cndmask_b32_e32 v7, v31, v7, vcc
	v_cndmask_b32_e32 v6, v42, v6, vcc
	flat_load_dwordx4 v[124:127], v[6:7]
	v_pk_fma_f16 v6, v12, v52, v45 op_sel:[0,1,0]
	v_pk_fma_f16 v6, v14, v54, v6 op_sel:[0,1,0]
	;; [unrolled: 1-line block ×6, first 2 shown]
	v_pk_fma_f16 v7, v12, v53, v50 op_sel_hi:[1,0,1]
	v_pk_fma_f16 v6, v64, v72, v6 op_sel:[0,1,0]
	v_pk_fma_f16 v12, v12, v53, v128 op_sel:[0,1,0]
	v_pk_fma_f16 v45, v13, v52, v129 op_sel_hi:[1,0,1]
	v_pk_fma_f16 v50, v13, v52, v130 op_sel:[0,1,0]
	v_pk_fma_f16 v51, v13, v53, v131 op_sel_hi:[1,0,1]
	;; [unrolled: 2-line block ×11, first 2 shown]
	v_pk_fma_f16 v47, v78, v86, v6 op_sel:[0,1,0]
	v_mov_b32_e32 v6, s7
	v_add_co_u32_e32 v4, vcc, s6, v4
	v_pk_fma_f16 v7, v60, v69, v7 op_sel_hi:[1,0,1]
	v_addc_co_u32_e32 v5, vcc, v6, v5, vcc
	v_pk_fma_f16 v7, v62, v71, v7 op_sel_hi:[1,0,1]
	v_add_co_u32_e32 v4, vcc, v4, v20
	v_pk_fma_f16 v7, v64, v73, v7 op_sel_hi:[1,0,1]
	v_addc_co_u32_e32 v5, vcc, 0, v5, vcc
	v_pk_fma_f16 v7, v66, v75, v7 op_sel_hi:[1,0,1]
	v_cmp_gt_i32_e32 vcc, s8, v43
	v_pk_fma_f16 v7, v76, v85, v7 op_sel_hi:[1,0,1]
	v_cndmask_b32_e32 v5, v31, v5, vcc
	v_cndmask_b32_e32 v4, v42, v4, vcc
	v_pk_fma_f16 v15, v58, v48, v15 op_sel_hi:[1,0,1]
	v_pk_fma_f16 v14, v59, v48, v14 op_sel_hi:[1,0,1]
	v_pk_fma_f16 v45, v59, v48, v45 op_sel:[0,1,0]
	v_pk_fma_f16 v48, v78, v87, v7 op_sel_hi:[1,0,1]
	v_pk_fma_f16 v12, v58, v49, v12 op_sel:[0,1,0]
	v_pk_fma_f16 v13, v59, v49, v13 op_sel:[0,1,0]
	v_pk_fma_f16 v15, v60, v68, v15 op_sel_hi:[1,0,1]
	v_pk_fma_f16 v12, v60, v69, v12 op_sel:[0,1,0]
	v_pk_fma_f16 v14, v61, v68, v14 op_sel_hi:[1,0,1]
	;; [unrolled: 2-line block ×8, first 2 shown]
	v_pk_fma_f16 v46, v59, v49, v46 op_sel_hi:[1,0,1]
	v_pk_fma_f16 v13, v67, v75, v13 op_sel:[0,1,0]
	v_pk_fma_f16 v15, v76, v84, v15 op_sel_hi:[1,0,1]
	v_pk_fma_f16 v12, v76, v85, v12 op_sel:[0,1,0]
	;; [unrolled: 2-line block ×5, first 2 shown]
	s_waitcnt vmcnt(0) lgkmcnt(0)
	ds_write_b128 v44, v[124:127]
	buffer_store_dword v30, off, s[0:3], 0
	buffer_store_dword v30, off, s[0:3], 0 offset:8
	buffer_store_dword v30, off, s[0:3], 0 offset:4
	;; [unrolled: 1-line block ×3, first 2 shown]
	flat_load_dwordx4 v[4:7], v[4:5]
	v_pk_fma_f16 v14, v79, v86, v14 op_sel_hi:[1,0,1]
	v_pk_fma_f16 v45, v63, v70, v45 op_sel:[0,1,0]
	v_pk_fma_f16 v46, v63, v71, v46 op_sel_hi:[1,0,1]
	v_pk_fma_f16 v13, v79, v87, v13 op_sel:[0,1,0]
	;; [unrolled: 2-line block ×39, first 2 shown]
	v_pk_fma_f16 v42, v109, v117, v42 op_sel_hi:[1,0,1]
	s_waitcnt vmcnt(0) lgkmcnt(0)
	ds_write_b128 v11, v[4:7]
	s_waitcnt lgkmcnt(0)
	s_barrier
	ds_read2_b64 v[4:7], v41 offset1:32
	ds_read_b128 v[12:15], v29 offset:17664
	v_pk_fma_f16 v20, v110, v118, v20 op_sel:[0,1,0]
	v_pk_fma_f16 v30, v110, v119, v30 op_sel_hi:[1,0,1]
	v_pk_fma_f16 v31, v111, v118, v31 op_sel:[0,1,0]
	v_pk_fma_f16 v42, v111, v119, v42 op_sel_hi:[1,0,1]
	;; [unrolled: 2-line block ×6, first 2 shown]
	v_pk_fma_f16 v11, v115, v123, v43 op_sel:[0,1,0]
	s_waitcnt lgkmcnt(0)
	v_pk_fma_f16 v54, v4, v12, v54 op_sel_hi:[1,0,1]
	ds_read_b128 v[42:45], v29 offset:17680
	ds_read_b128 v[46:49], v29 offset:17696
	;; [unrolled: 1-line block ×3, first 2 shown]
	v_pk_fma_f16 v20, v4, v12, v20 op_sel:[0,1,0]
	v_pk_fma_f16 v30, v4, v13, v30 op_sel_hi:[1,0,1]
	v_pk_fma_f16 v4, v4, v13, v55 op_sel:[0,1,0]
	v_pk_fma_f16 v58, v5, v12, v56 op_sel_hi:[1,0,1]
	;; [unrolled: 2-line block ×4, first 2 shown]
	ds_read2_b64 v[54:57], v41 offset0:64 offset1:96
	v_pk_fma_f16 v4, v6, v15, v4 op_sel:[0,1,0]
	v_pk_fma_f16 v13, v6, v14, v20 op_sel:[0,1,0]
	v_pk_fma_f16 v20, v6, v15, v30 op_sel_hi:[1,0,1]
	v_pk_fma_f16 v6, v7, v14, v58 op_sel_hi:[1,0,1]
	v_pk_fma_f16 v12, v7, v14, v12 op_sel:[0,1,0]
	v_pk_fma_f16 v14, v7, v15, v31 op_sel_hi:[1,0,1]
	v_pk_fma_f16 v5, v7, v15, v5 op_sel:[0,1,0]
	s_waitcnt lgkmcnt(0)
	v_pk_fma_f16 v7, v54, v42, v11 op_sel_hi:[1,0,1]
	v_pk_fma_f16 v4, v54, v43, v4 op_sel:[0,1,0]
	v_pk_fma_f16 v11, v54, v42, v13 op_sel:[0,1,0]
	v_pk_fma_f16 v13, v54, v43, v20 op_sel_hi:[1,0,1]
	v_pk_fma_f16 v15, v55, v42, v6 op_sel_hi:[1,0,1]
	v_pk_fma_f16 v20, v55, v43, v5 op_sel:[0,1,0]
	v_pk_fma_f16 v30, v56, v44, v7 op_sel_hi:[1,0,1]
	v_pk_fma_f16 v31, v56, v45, v4 op_sel:[0,1,0]
	ds_read2_b64 v[4:7], v41 offset0:128 offset1:160
	v_pk_fma_f16 v12, v55, v42, v12 op_sel:[0,1,0]
	v_pk_fma_f16 v14, v55, v43, v14 op_sel_hi:[1,0,1]
	v_pk_fma_f16 v13, v56, v45, v13 op_sel_hi:[1,0,1]
	v_pk_fma_f16 v11, v56, v44, v11 op_sel:[0,1,0]
	v_pk_fma_f16 v15, v57, v44, v15 op_sel_hi:[1,0,1]
	v_pk_fma_f16 v12, v57, v44, v12 op_sel:[0,1,0]
	;; [unrolled: 2-line block ×3, first 2 shown]
	s_waitcnt lgkmcnt(0)
	v_pk_fma_f16 v30, v4, v46, v30 op_sel_hi:[1,0,1]
	v_pk_fma_f16 v13, v4, v47, v13 op_sel_hi:[1,0,1]
	v_pk_fma_f16 v11, v4, v46, v11 op_sel:[0,1,0]
	v_pk_fma_f16 v4, v4, v47, v31 op_sel:[0,1,0]
	v_pk_fma_f16 v31, v5, v46, v15 op_sel_hi:[1,0,1]
	v_pk_fma_f16 v42, v5, v46, v12 op_sel:[0,1,0]
	v_pk_fma_f16 v43, v5, v47, v14 op_sel_hi:[1,0,1]
	;; [unrolled: 2-line block ×3, first 2 shown]
	v_pk_fma_f16 v30, v6, v49, v13 op_sel_hi:[1,0,1]
	ds_read2_b64 v[12:15], v41 offset0:192 offset1:224
	v_pk_fma_f16 v11, v6, v48, v11 op_sel:[0,1,0]
	v_pk_fma_f16 v4, v6, v49, v4 op_sel:[0,1,0]
	v_pk_fma_f16 v6, v7, v48, v31 op_sel_hi:[1,0,1]
	v_pk_fma_f16 v31, v7, v48, v42 op_sel:[0,1,0]
	v_pk_fma_f16 v41, v7, v49, v43 op_sel_hi:[1,0,1]
	v_pk_fma_f16 v5, v7, v49, v5 op_sel:[0,1,0]
	s_waitcnt lgkmcnt(0)
	v_pk_fma_f16 v7, v12, v50, v20 op_sel_hi:[1,0,1]
	v_pk_fma_f16 v4, v12, v51, v4 op_sel:[0,1,0]
	v_pk_fma_f16 v6, v13, v50, v6 op_sel_hi:[1,0,1]
	v_pk_fma_f16 v11, v12, v50, v11 op_sel:[0,1,0]
	v_pk_fma_f16 v20, v12, v51, v30 op_sel_hi:[1,0,1]
	v_pk_fma_f16 v12, v13, v50, v31 op_sel:[0,1,0]
	v_pk_fma_f16 v30, v13, v51, v41 op_sel_hi:[1,0,1]
	v_pk_fma_f16 v13, v13, v51, v5 op_sel:[0,1,0]
	v_pk_fma_f16 v31, v14, v52, v7 op_sel_hi:[1,0,1]
	v_pk_fma_f16 v41, v14, v53, v4 op_sel:[0,1,0]
	v_pk_fma_f16 v46, v15, v52, v6 op_sel_hi:[1,0,1]
	ds_read2_b64 v[4:7], v10 offset1:32
	ds_read_b128 v[42:45], v29 offset:17728
	v_pk_fma_f16 v11, v14, v52, v11 op_sel:[0,1,0]
	v_pk_fma_f16 v20, v14, v53, v20 op_sel_hi:[1,0,1]
	v_pk_fma_f16 v47, v15, v52, v12 op_sel:[0,1,0]
	v_pk_fma_f16 v30, v15, v53, v30 op_sel_hi:[1,0,1]
	v_pk_fma_f16 v48, v15, v53, v13 op_sel:[0,1,0]
	ds_read_b128 v[12:15], v29 offset:17744
	s_waitcnt lgkmcnt(1)
	v_pk_fma_f16 v31, v4, v42, v31 op_sel_hi:[1,0,1]
	v_pk_fma_f16 v11, v4, v42, v11 op_sel:[0,1,0]
	v_pk_fma_f16 v20, v4, v43, v20 op_sel_hi:[1,0,1]
	v_pk_fma_f16 v4, v4, v43, v41 op_sel:[0,1,0]
	;; [unrolled: 2-line block ×4, first 2 shown]
	ds_read2_b64 v[46:49], v10 offset0:64 offset1:96
	v_pk_fma_f16 v31, v6, v44, v31 op_sel_hi:[1,0,1]
	v_pk_fma_f16 v11, v6, v44, v11 op_sel:[0,1,0]
	v_pk_fma_f16 v20, v6, v45, v20 op_sel_hi:[1,0,1]
	v_pk_fma_f16 v4, v6, v45, v4 op_sel:[0,1,0]
	;; [unrolled: 2-line block ×4, first 2 shown]
	s_waitcnt lgkmcnt(0)
	v_pk_fma_f16 v7, v46, v12, v31 op_sel_hi:[1,0,1]
	v_pk_fma_f16 v4, v46, v13, v4 op_sel:[0,1,0]
	v_pk_fma_f16 v6, v47, v12, v6 op_sel_hi:[1,0,1]
	v_pk_fma_f16 v11, v46, v12, v11 op_sel:[0,1,0]
	;; [unrolled: 2-line block ×5, first 2 shown]
	v_pk_fma_f16 v46, v49, v14, v6 op_sel_hi:[1,0,1]
	ds_read2_b64 v[4:7], v10 offset0:128 offset1:160
	ds_read_b128 v[42:45], v29 offset:17760
	v_pk_fma_f16 v11, v48, v14, v11 op_sel:[0,1,0]
	v_pk_fma_f16 v20, v48, v15, v20 op_sel_hi:[1,0,1]
	v_pk_fma_f16 v47, v49, v14, v12 op_sel:[0,1,0]
	v_pk_fma_f16 v30, v49, v15, v30 op_sel_hi:[1,0,1]
	v_pk_fma_f16 v48, v49, v15, v13 op_sel:[0,1,0]
	ds_read_b128 v[12:15], v29 offset:17776
	s_waitcnt lgkmcnt(1)
	v_pk_fma_f16 v31, v4, v42, v31 op_sel_hi:[1,0,1]
	v_pk_fma_f16 v11, v4, v42, v11 op_sel:[0,1,0]
	v_pk_fma_f16 v20, v4, v43, v20 op_sel_hi:[1,0,1]
	v_pk_fma_f16 v4, v4, v43, v41 op_sel:[0,1,0]
	;; [unrolled: 2-line block ×4, first 2 shown]
	ds_read2_b64 v[46:49], v10 offset0:192 offset1:224
	v_pk_fma_f16 v31, v6, v44, v31 op_sel_hi:[1,0,1]
	v_pk_fma_f16 v11, v6, v44, v11 op_sel:[0,1,0]
	v_pk_fma_f16 v20, v6, v45, v20 op_sel_hi:[1,0,1]
	v_pk_fma_f16 v4, v6, v45, v4 op_sel:[0,1,0]
	;; [unrolled: 2-line block ×4, first 2 shown]
	s_waitcnt lgkmcnt(0)
	v_pk_fma_f16 v7, v46, v12, v31 op_sel_hi:[1,0,1]
	v_pk_fma_f16 v11, v46, v12, v11 op_sel:[0,1,0]
	v_pk_fma_f16 v20, v46, v13, v20 op_sel_hi:[1,0,1]
	v_pk_fma_f16 v4, v46, v13, v4 op_sel:[0,1,0]
	;; [unrolled: 2-line block ×6, first 2 shown]
	v_pk_fma_f16 v50, v49, v14, v6 op_sel_hi:[1,0,1]
	ds_read2_b64 v[4:7], v9 offset1:32
	ds_read_b128 v[10:13], v29 offset:17792
	v_pk_fma_f16 v14, v49, v14, v31 op_sel:[0,1,0]
	v_pk_fma_f16 v30, v49, v15, v30 op_sel_hi:[1,0,1]
	v_pk_fma_f16 v15, v49, v15, v41 op_sel:[0,1,0]
	ds_read_b128 v[42:45], v29 offset:17808
	s_waitcnt lgkmcnt(1)
	v_pk_fma_f16 v31, v4, v10, v46 op_sel_hi:[1,0,1]
	v_pk_fma_f16 v41, v4, v10, v47 op_sel:[0,1,0]
	v_pk_fma_f16 v20, v4, v11, v20 op_sel_hi:[1,0,1]
	v_pk_fma_f16 v4, v4, v11, v48 op_sel:[0,1,0]
	ds_read2_b64 v[46:49], v9 offset0:64 offset1:96
	v_pk_fma_f16 v50, v5, v10, v50 op_sel_hi:[1,0,1]
	v_pk_fma_f16 v10, v5, v10, v14 op_sel:[0,1,0]
	v_pk_fma_f16 v14, v5, v11, v30 op_sel_hi:[1,0,1]
	v_pk_fma_f16 v5, v5, v11, v15 op_sel:[0,1,0]
	;; [unrolled: 2-line block ×6, first 2 shown]
	s_waitcnt lgkmcnt(0)
	v_pk_fma_f16 v7, v46, v42, v11 op_sel_hi:[1,0,1]
	v_pk_fma_f16 v11, v46, v42, v15 op_sel:[0,1,0]
	v_pk_fma_f16 v13, v46, v43, v20 op_sel_hi:[1,0,1]
	v_pk_fma_f16 v4, v46, v43, v4 op_sel:[0,1,0]
	v_pk_fma_f16 v6, v47, v42, v6 op_sel_hi:[1,0,1]
	v_pk_fma_f16 v14, v47, v42, v10 op_sel:[0,1,0]
	v_pk_fma_f16 v15, v47, v43, v12 op_sel_hi:[1,0,1]
	v_pk_fma_f16 v20, v47, v43, v5 op_sel:[0,1,0]
	v_pk_fma_f16 v30, v48, v44, v7 op_sel_hi:[1,0,1]
	v_pk_fma_f16 v31, v48, v44, v11 op_sel:[0,1,0]
	v_pk_fma_f16 v41, v48, v45, v13 op_sel_hi:[1,0,1]
	v_pk_fma_f16 v46, v48, v45, v4 op_sel:[0,1,0]
	v_pk_fma_f16 v47, v49, v44, v6 op_sel_hi:[1,0,1]
	ds_read2_b64 v[4:7], v9 offset0:128 offset1:160
	ds_read_b128 v[10:13], v29 offset:17824
	v_pk_fma_f16 v14, v49, v44, v14 op_sel:[0,1,0]
	v_pk_fma_f16 v15, v49, v45, v15 op_sel_hi:[1,0,1]
	v_pk_fma_f16 v20, v49, v45, v20 op_sel:[0,1,0]
	ds_read_b128 v[42:45], v29 offset:17840
	s_waitcnt lgkmcnt(1)
	v_pk_fma_f16 v30, v4, v10, v30 op_sel_hi:[1,0,1]
	v_pk_fma_f16 v31, v4, v10, v31 op_sel:[0,1,0]
	v_pk_fma_f16 v41, v4, v11, v41 op_sel_hi:[1,0,1]
	v_pk_fma_f16 v4, v4, v11, v46 op_sel:[0,1,0]
	v_pk_fma_f16 v50, v5, v10, v47 op_sel_hi:[1,0,1]
	ds_read2_b64 v[46:49], v9 offset0:192 offset1:224
	v_pk_fma_f16 v10, v5, v10, v14 op_sel:[0,1,0]
	v_pk_fma_f16 v14, v5, v11, v15 op_sel_hi:[1,0,1]
	v_pk_fma_f16 v5, v5, v11, v20 op_sel:[0,1,0]
	v_pk_fma_f16 v11, v6, v12, v30 op_sel_hi:[1,0,1]
	;; [unrolled: 2-line block ×5, first 2 shown]
	v_pk_fma_f16 v5, v7, v13, v5 op_sel:[0,1,0]
	s_waitcnt lgkmcnt(0)
	v_pk_fma_f16 v7, v46, v42, v11 op_sel_hi:[1,0,1]
	v_pk_fma_f16 v11, v46, v42, v15 op_sel:[0,1,0]
	v_pk_fma_f16 v12, v46, v43, v20 op_sel_hi:[1,0,1]
	v_pk_fma_f16 v4, v46, v43, v4 op_sel:[0,1,0]
	v_pk_fma_f16 v6, v47, v42, v6 op_sel_hi:[1,0,1]
	v_pk_fma_f16 v14, v47, v43, v10 op_sel_hi:[1,0,1]
	v_pk_fma_f16 v15, v47, v43, v5 op_sel:[0,1,0]
	v_pk_fma_f16 v20, v48, v44, v7 op_sel_hi:[1,0,1]
	v_pk_fma_f16 v30, v48, v44, v11 op_sel:[0,1,0]
	;; [unrolled: 2-line block ×3, first 2 shown]
	v_pk_fma_f16 v46, v49, v44, v6 op_sel_hi:[1,0,1]
	ds_read2_b64 v[4:7], v8 offset1:32
	ds_read_b128 v[10:13], v29 offset:17856
	v_pk_fma_f16 v9, v47, v42, v9 op_sel:[0,1,0]
	v_pk_fma_f16 v9, v49, v44, v9 op_sel:[0,1,0]
	v_pk_fma_f16 v14, v49, v45, v14 op_sel_hi:[1,0,1]
	v_pk_fma_f16 v15, v49, v45, v15 op_sel:[0,1,0]
	ds_read_b128 v[42:45], v29 offset:17872
	s_waitcnt lgkmcnt(1)
	v_pk_fma_f16 v20, v4, v10, v20 op_sel_hi:[1,0,1]
	v_pk_fma_f16 v30, v4, v10, v30 op_sel:[0,1,0]
	v_pk_fma_f16 v31, v4, v11, v31 op_sel_hi:[1,0,1]
	v_pk_fma_f16 v4, v4, v11, v41 op_sel:[0,1,0]
	v_pk_fma_f16 v41, v5, v10, v46 op_sel_hi:[1,0,1]
	ds_read2_b64 v[46:49], v8 offset0:64 offset1:96
	v_pk_fma_f16 v9, v5, v10, v9 op_sel:[0,1,0]
	v_pk_fma_f16 v10, v5, v11, v14 op_sel_hi:[1,0,1]
	v_pk_fma_f16 v5, v5, v11, v15 op_sel:[0,1,0]
	v_pk_fma_f16 v11, v6, v12, v20 op_sel_hi:[1,0,1]
	;; [unrolled: 2-line block ×5, first 2 shown]
	v_pk_fma_f16 v5, v7, v13, v5 op_sel:[0,1,0]
	s_waitcnt lgkmcnt(0)
	v_pk_fma_f16 v7, v46, v42, v11 op_sel_hi:[1,0,1]
	v_pk_fma_f16 v11, v46, v42, v14 op_sel:[0,1,0]
	v_pk_fma_f16 v12, v46, v43, v15 op_sel_hi:[1,0,1]
	v_pk_fma_f16 v4, v46, v43, v4 op_sel:[0,1,0]
	;; [unrolled: 2-line block ×6, first 2 shown]
	v_pk_fma_f16 v42, v49, v44, v6 op_sel_hi:[1,0,1]
	ds_read2_b64 v[4:7], v8 offset0:128 offset1:160
	ds_read_b128 v[10:13], v29 offset:17888
	v_pk_fma_f16 v9, v49, v44, v9 op_sel:[0,1,0]
	v_pk_fma_f16 v14, v49, v45, v14 op_sel_hi:[1,0,1]
	v_pk_fma_f16 v15, v49, v45, v15 op_sel:[0,1,0]
	ds_read_b128 v[52:55], v29 offset:17904
	s_waitcnt lgkmcnt(1)
	v_pk_fma_f16 v20, v4, v10, v20 op_sel_hi:[1,0,1]
	v_pk_fma_f16 v29, v4, v10, v30 op_sel:[0,1,0]
	v_pk_fma_f16 v30, v4, v11, v31 op_sel_hi:[1,0,1]
	v_pk_fma_f16 v4, v4, v11, v41 op_sel:[0,1,0]
	;; [unrolled: 2-line block ×4, first 2 shown]
	ds_read2_b64 v[8:11], v8 offset0:192 offset1:224
	v_pk_fma_f16 v15, v6, v12, v20 op_sel_hi:[1,0,1]
	v_pk_fma_f16 v20, v6, v12, v29 op_sel:[0,1,0]
	v_pk_fma_f16 v29, v6, v13, v30 op_sel_hi:[1,0,1]
	v_pk_fma_f16 v4, v6, v13, v4 op_sel:[0,1,0]
	;; [unrolled: 2-line block ×4, first 2 shown]
	s_waitcnt lgkmcnt(0)
	v_pk_fma_f16 v7, v8, v52, v15 op_sel_hi:[1,0,1]
	v_pk_fma_f16 v13, v8, v52, v20 op_sel:[0,1,0]
	v_pk_fma_f16 v15, v8, v53, v29 op_sel_hi:[1,0,1]
	v_pk_fma_f16 v4, v8, v53, v4 op_sel:[0,1,0]
	;; [unrolled: 2-line block ×8, first 2 shown]
	v_pk_mov_b32 v[12:13], v[16:17], v[16:17] op_sel:[0,1]
	v_pk_mov_b32 v[10:11], v[2:3], v[2:3] op_sel:[0,1]
	v_pk_mov_b32 v[14:15], v[18:19], v[18:19] op_sel:[0,1]
	v_pk_mov_b32 v[8:9], v[0:1], v[0:1] op_sel:[0,1]
	s_barrier
.LBB56_71:
	v_cmp_lt_i32_e32 vcc, v26, v23
	v_cndmask_b32_e32 v0, v22, v26, vcc
	v_cmp_lt_i32_e32 vcc, v27, v23
	v_lshlrev_b32_e32 v3, 2, v0
	v_cndmask_b32_e32 v0, v22, v27, vcc
	v_cmp_lt_i32_e32 vcc, v28, v23
	v_lshlrev_b32_e32 v7, 2, v0
	v_cndmask_b32_e32 v0, v22, v28, vcc
	v_lshlrev_b32_e32 v16, 2, v0
	ds_bpermute_b32 v0, v3, v8
	ds_bpermute_b32 v1, v3, v9
	;; [unrolled: 1-line block ×4, first 2 shown]
	v_cmp_lt_i32_e32 vcc, v25, v23
	v_cndmask_b32_e32 v17, v22, v25, vcc
	s_waitcnt lgkmcnt(2)
	v_pk_add_f32 v[0:1], v[8:9], v[0:1]
	ds_bpermute_b32 v4, v7, v0
	s_waitcnt lgkmcnt(1)
	v_pk_add_f32 v[2:3], v[10:11], v[2:3]
	ds_bpermute_b32 v5, v7, v1
	ds_bpermute_b32 v6, v7, v2
	;; [unrolled: 1-line block ×3, first 2 shown]
	v_lshlrev_b32_e32 v8, 2, v17
	v_cmp_lt_i32_e32 vcc, v24, v23
	s_waitcnt lgkmcnt(2)
	v_pk_add_f32 v[0:1], v[0:1], v[4:5]
	ds_bpermute_b32 v4, v16, v0
	s_waitcnt lgkmcnt(1)
	v_pk_add_f32 v[2:3], v[2:3], v[6:7]
	ds_bpermute_b32 v5, v16, v1
	ds_bpermute_b32 v6, v16, v2
	;; [unrolled: 1-line block ×3, first 2 shown]
	v_cndmask_b32_e32 v9, v22, v24, vcc
	v_lshlrev_b32_e32 v9, 2, v9
	s_waitcnt lgkmcnt(2)
	v_pk_add_f32 v[0:1], v[0:1], v[4:5]
	ds_bpermute_b32 v4, v8, v0
	s_waitcnt lgkmcnt(1)
	v_pk_add_f32 v[2:3], v[2:3], v[6:7]
	ds_bpermute_b32 v5, v8, v1
	ds_bpermute_b32 v6, v8, v2
	;; [unrolled: 1-line block ×3, first 2 shown]
	s_cmp_eq_u64 s[24:25], 0
	s_cselect_b64 s[6:7], -1, 0
	s_waitcnt lgkmcnt(2)
	v_pk_add_f32 v[0:1], v[0:1], v[4:5]
	ds_bpermute_b32 v4, v9, v0
	s_waitcnt lgkmcnt(1)
	v_pk_add_f32 v[6:7], v[2:3], v[6:7]
	ds_bpermute_b32 v5, v9, v1
	ds_bpermute_b32 v8, v9, v6
	;; [unrolled: 1-line block ×3, first 2 shown]
	s_cmp_lg_u32 s9, 0
	s_cselect_b64 s[10:11], -1, 0
	s_or_b64 s[6:7], s[10:11], s[6:7]
	s_waitcnt lgkmcnt(2)
	v_pk_add_f32 v[2:3], v[0:1], v[4:5]
	s_waitcnt lgkmcnt(0)
	v_pk_add_f32 v[0:1], v[6:7], v[8:9]
	s_and_b64 vcc, exec, s[6:7]
	s_cbranch_vccnz .LBB56_73
; %bb.72:
	s_lshl_b64 s[6:7], s[14:15], 2
	s_add_u32 s6, s24, s6
	s_addc_u32 s7, s25, s7
	v_mov_b32_e32 v4, 0
	global_load_dword v16, v4, s[6:7]
	v_max_f32_e32 v4, v13, v13
	v_max_f32_e32 v6, v12, v12
	;; [unrolled: 1-line block ×4, first 2 shown]
	s_mov_b32 s8, 0x3fb8aa3b
	s_mov_b32 s6, 0xc2ce8ed0
	;; [unrolled: 1-line block ×3, first 2 shown]
	v_mov_b32_e32 v17, 0x7f800000
	s_waitcnt vmcnt(0)
	v_max_f32_e32 v9, v16, v16
	v_max_f32_e32 v5, v4, v9
	v_max_f32_e32 v4, v6, v9
	v_max_f32_e32 v7, v7, v9
	v_max_f32_e32 v6, v8, v9
	v_pk_add_f32 v[8:9], v[12:13], v[4:5] neg_lo:[0,1] neg_hi:[0,1]
	v_pk_add_f32 v[10:11], v[14:15], v[6:7] neg_lo:[0,1] neg_hi:[0,1]
	v_sub_f32_e32 v14, v16, v6
	v_sub_f32_e32 v15, v16, v7
	;; [unrolled: 1-line block ×4, first 2 shown]
	v_mul_f32_e32 v16, 0x3fb8aa3b, v9
	v_mul_f32_e32 v18, 0x3fb8aa3b, v8
	v_fma_f32 v24, v9, s8, -v16
	v_rndne_f32_e32 v25, v16
	v_mul_f32_e32 v19, 0x3fb8aa3b, v11
	v_fma_f32 v26, v8, s8, -v18
	v_rndne_f32_e32 v27, v18
	v_fmac_f32_e32 v24, 0x32a5705f, v9
	v_sub_f32_e32 v16, v16, v25
	v_mul_f32_e32 v20, 0x3fb8aa3b, v10
	v_fma_f32 v28, v11, s8, -v19
	v_rndne_f32_e32 v29, v19
	v_fmac_f32_e32 v26, 0x32a5705f, v8
	v_sub_f32_e32 v18, v18, v27
	v_add_f32_e32 v16, v16, v24
	v_fma_f32 v30, v10, s8, -v20
	v_rndne_f32_e32 v31, v20
	v_cvt_i32_f32_e32 v25, v25
	v_fmac_f32_e32 v28, 0x32a5705f, v11
	v_sub_f32_e32 v19, v19, v29
	v_add_f32_e32 v18, v18, v26
	v_exp_f32_e32 v16, v16
	v_cvt_i32_f32_e32 v27, v27
	v_fmac_f32_e32 v30, 0x32a5705f, v10
	v_sub_f32_e32 v20, v20, v31
	v_add_f32_e32 v19, v19, v28
	v_exp_f32_e32 v18, v18
	v_cvt_i32_f32_e32 v29, v29
	v_add_f32_e32 v20, v20, v30
	v_exp_f32_e32 v19, v19
	v_cvt_i32_f32_e32 v31, v31
	v_exp_f32_e32 v20, v20
	v_ldexp_f32 v16, v16, v25
	v_cmp_ngt_f32_e32 vcc, s6, v9
	v_ldexp_f32 v18, v18, v27
	v_cndmask_b32_e32 v16, 0, v16, vcc
	v_cmp_ngt_f32_e32 vcc, s6, v8
	v_ldexp_f32 v19, v19, v29
	v_cndmask_b32_e32 v18, 0, v18, vcc
	;; [unrolled: 3-line block ×3, first 2 shown]
	v_cmp_ngt_f32_e32 vcc, s6, v10
	v_cndmask_b32_e32 v20, 0, v20, vcc
	v_cmp_nlt_f32_e32 vcc, s7, v9
	v_cndmask_b32_e32 v9, v17, v16, vcc
	v_cmp_nlt_f32_e32 vcc, s7, v8
	v_cndmask_b32_e32 v8, v17, v18, vcc
	v_mul_f32_e32 v22, 0x3fb8aa3b, v13
	v_cvt_f16_f32_e32 v16, v8
	v_mul_f32_e32 v23, 0x3fb8aa3b, v12
	v_fma_f32 v41, v13, s8, -v22
	v_rndne_f32_e32 v42, v22
	v_cvt_f16_f32_e32 v18, v9
	v_fma_f32 v43, v12, s8, -v23
	v_rndne_f32_e32 v44, v23
	v_fmac_f32_e32 v41, 0x32a5705f, v13
	v_sub_f32_e32 v22, v22, v42
	v_cmp_nlt_f32_e32 vcc, s7, v11
	v_fmac_f32_e32 v43, 0x32a5705f, v12
	v_sub_f32_e32 v23, v23, v44
	v_add_f32_e32 v22, v22, v41
	v_cndmask_b32_e32 v11, v17, v19, vcc
	v_cmp_nlt_f32_e32 vcc, s7, v10
	v_cvt_i32_f32_e32 v42, v42
	v_exp_f32_e32 v22, v22
	v_cndmask_b32_e32 v10, v17, v20, vcc
	v_pk_mul_f16 v49, v16, v49 op_sel_hi:[0,1]
	v_pk_mul_f16 v52, v16, v52 op_sel_hi:[0,1]
	v_add_f32_e32 v16, v23, v43
	v_cvt_f16_f32_e32 v19, v10
	v_pk_mul_f16 v47, v18, v47 op_sel_hi:[0,1]
	v_pk_mul_f16 v48, v18, v48 op_sel_hi:[0,1]
	v_exp_f32_e32 v16, v16
	v_cvt_i32_f32_e32 v18, v44
	v_cvt_f16_f32_e32 v20, v11
	v_ldexp_f32 v22, v22, v42
	v_cmp_ngt_f32_e32 vcc, s6, v13
	v_pk_mul_f16 v45, v19, v45 op_sel_hi:[0,1]
	v_pk_mul_f16 v53, v19, v53 op_sel_hi:[0,1]
	v_cndmask_b32_e32 v19, 0, v22, vcc
	v_cmp_nlt_f32_e32 vcc, s7, v13
	v_ldexp_f32 v16, v16, v18
	v_mul_f32_e32 v18, 0x3fb8aa3b, v15
	v_pk_mul_f16 v50, v20, v50 op_sel_hi:[0,1]
	v_pk_mul_f16 v46, v20, v46 op_sel_hi:[0,1]
	v_cndmask_b32_e32 v13, v17, v19, vcc
	v_fma_f32 v19, v15, s8, -v18
	v_rndne_f32_e32 v20, v18
	v_fmac_f32_e32 v19, 0x32a5705f, v15
	v_sub_f32_e32 v18, v18, v20
	v_add_f32_e32 v18, v18, v19
	v_exp_f32_e32 v18, v18
	v_cvt_i32_f32_e32 v19, v20
	v_cmp_ngt_f32_e32 vcc, s6, v12
	v_cndmask_b32_e32 v16, 0, v16, vcc
	v_cmp_nlt_f32_e32 vcc, s7, v12
	v_cndmask_b32_e32 v12, v17, v16, vcc
	v_ldexp_f32 v16, v18, v19
	v_mul_f32_e32 v18, 0x3fb8aa3b, v14
	v_fma_f32 v19, v14, s8, -v18
	v_rndne_f32_e32 v20, v18
	v_fmac_f32_e32 v19, 0x32a5705f, v14
	v_sub_f32_e32 v18, v18, v20
	v_add_f32_e32 v18, v18, v19
	v_exp_f32_e32 v18, v18
	v_cvt_i32_f32_e32 v19, v20
	v_cmp_ngt_f32_e32 vcc, s6, v15
	v_cndmask_b32_e32 v16, 0, v16, vcc
	v_cmp_nlt_f32_e32 vcc, s7, v15
	v_cndmask_b32_e32 v15, v17, v16, vcc
	v_ldexp_f32 v16, v18, v19
	v_cmp_ngt_f32_e32 vcc, s6, v14
	v_cndmask_b32_e32 v16, 0, v16, vcc
	v_cmp_nlt_f32_e32 vcc, s7, v14
	v_cndmask_b32_e32 v14, v17, v16, vcc
	v_pk_fma_f32 v[0:1], v[0:1], v[10:11], v[14:15]
	v_pk_fma_f32 v[2:3], v[2:3], v[8:9], v[12:13]
	v_pk_mov_b32 v[14:15], v[6:7], v[6:7] op_sel:[0,1]
	v_pk_mov_b32 v[12:13], v[4:5], v[4:5] op_sel:[0,1]
.LBB56_73:
	v_cmp_gt_i32_e32 vcc, s38, v40
	s_and_saveexec_b64 s[6:7], vcc
	s_cbranch_execz .LBB56_93
; %bb.74:
	s_load_dword s8, s[4:5], 0xd4
	v_mov_b32_e32 v4, 1.0
	s_waitcnt lgkmcnt(0)
	s_cmp_lg_u32 s8, 1
	s_cselect_b64 s[6:7], -1, 0
	s_cmp_eq_u32 s8, 1
	s_cselect_b64 s[10:11], -1, 0
	s_and_b64 vcc, exec, s[6:7]
	s_cbranch_vccnz .LBB56_76
; %bb.75:
	v_div_scale_f32 v4, s[4:5], v2, v2, 1.0
	v_rcp_f32_e32 v5, v4
	v_div_scale_f32 v6, vcc, 1.0, v2, 1.0
	v_fma_f32 v7, -v4, v5, 1.0
	v_fmac_f32_e32 v5, v7, v5
	v_mul_f32_e32 v7, v6, v5
	v_fma_f32 v8, -v4, v7, v6
	v_fmac_f32_e32 v7, v8, v5
	v_fma_f32 v4, -v4, v7, v6
	v_div_fmas_f32 v4, v4, v5, v7
	v_div_fixup_f32 v4, v4, v2, 1.0
.LBB56_76:
	s_mul_i32 s12, s33, s38
	s_add_i32 s12, s12, s22
	v_add_u32_e32 v5, s12, v38
	v_mul_lo_u32 v5, v5, s39
	v_add_u32_e32 v5, s14, v5
	v_mul_lo_u32 v5, s8, v5
	v_add_u32_e32 v6, s9, v5
	v_cvt_f32_f16_sdwa v11, v49 dst_sel:DWORD dst_unused:UNUSED_PAD src0_sel:WORD_1
	v_cvt_f32_f16_e32 v10, v49
	v_cvt_f32_f16_sdwa v17, v52 dst_sel:DWORD dst_unused:UNUSED_PAD src0_sel:WORD_1
	v_cvt_f32_f16_e32 v16, v52
	v_lshl_add_u32 v8, v6, 7, v35
	v_mov_b32_e32 v9, 0
	v_lshlrev_b64 v[8:9], 2, v[8:9]
	v_cmp_eq_u32_e32 vcc, 0, v39
	v_mov_b32_e32 v5, s29
	v_add_co_u32_e64 v18, s[4:5], s28, v8
	v_addc_co_u32_e64 v19, s[4:5], v5, v9, s[4:5]
	v_pk_mul_f32 v[8:9], v[4:5], v[10:11] op_sel_hi:[0,1]
	v_pk_mul_f32 v[10:11], v[4:5], v[16:17] op_sel_hi:[0,1]
	s_and_b64 s[6:7], vcc, s[6:7]
	global_store_dwordx4 v[18:19], v[8:11], off
	s_and_saveexec_b64 s[4:5], s[6:7]
	s_cbranch_execz .LBB56_78
; %bb.77:
	v_ashrrev_i32_e32 v7, 31, v6
	v_lshlrev_b64 v[4:5], 3, v[6:7]
	v_mov_b32_e32 v6, s31
	v_add_co_u32_e32 v4, vcc, s30, v4
	v_addc_co_u32_e32 v5, vcc, v6, v5, vcc
	v_mov_b32_e32 v6, v12
	v_mov_b32_e32 v7, v2
	global_store_dwordx2 v[4:5], v[6:7], off
.LBB56_78:
	s_or_b64 exec, exec, s[4:5]
	v_cmp_gt_i32_e32 vcc, s38, v37
	s_and_b64 exec, exec, vcc
	s_cbranch_execz .LBB56_93
; %bb.79:
	v_cndmask_b32_e64 v2, 0, 1, s[10:11]
	v_cmp_ne_u32_e64 s[4:5], 1, v2
	s_andn2_b64 vcc, exec, s[10:11]
	v_mov_b32_e32 v2, 1.0
	s_cbranch_vccnz .LBB56_81
; %bb.80:
	v_div_scale_f32 v2, s[10:11], v3, v3, 1.0
	v_rcp_f32_e32 v4, v2
	v_div_scale_f32 v5, vcc, 1.0, v3, 1.0
	v_fma_f32 v6, -v2, v4, 1.0
	v_fmac_f32_e32 v4, v6, v4
	v_mul_f32_e32 v6, v5, v4
	v_fma_f32 v7, -v2, v6, v5
	v_fmac_f32_e32 v6, v7, v4
	v_fma_f32 v2, -v2, v6, v5
	v_div_fmas_f32 v2, v2, v4, v6
	v_div_fixup_f32 v2, v2, v3, 1.0
.LBB56_81:
	v_add_u32_e32 v4, s12, v36
	v_mul_lo_u32 v4, v4, s39
	v_add_u32_e32 v4, s14, v4
	v_mul_lo_u32 v4, s8, v4
	v_add_u32_e32 v4, s9, v4
	v_cvt_f32_f16_sdwa v9, v47 dst_sel:DWORD dst_unused:UNUSED_PAD src0_sel:WORD_1
	v_cvt_f32_f16_e32 v8, v47
	v_cvt_f32_f16_sdwa v11, v48 dst_sel:DWORD dst_unused:UNUSED_PAD src0_sel:WORD_1
	v_cvt_f32_f16_e32 v10, v48
	v_lshl_add_u32 v6, v4, 7, v35
	v_mov_b32_e32 v7, 0
	v_lshlrev_b64 v[6:7], 2, v[6:7]
	v_mov_b32_e32 v5, s29
	v_add_co_u32_e32 v16, vcc, s28, v6
	v_addc_co_u32_e32 v17, vcc, v5, v7, vcc
	v_pk_mul_f32 v[6:7], v[2:3], v[8:9] op_sel_hi:[0,1]
	v_pk_mul_f32 v[8:9], v[2:3], v[10:11] op_sel_hi:[0,1]
	global_store_dwordx4 v[16:17], v[6:9], off
	s_and_saveexec_b64 s[10:11], s[6:7]
	s_cbranch_execz .LBB56_83
; %bb.82:
	v_ashrrev_i32_e32 v5, 31, v4
	v_lshlrev_b64 v[4:5], 3, v[4:5]
	v_mov_b32_e32 v2, s31
	v_add_co_u32_e32 v4, vcc, s30, v4
	v_addc_co_u32_e32 v5, vcc, v2, v5, vcc
	v_mov_b32_e32 v2, v13
	global_store_dwordx2 v[4:5], v[2:3], off
.LBB56_83:
	s_or_b64 exec, exec, s[10:11]
	v_cmp_gt_i32_e32 vcc, s38, v34
	s_and_b64 exec, exec, vcc
	s_cbranch_execz .LBB56_93
; %bb.84:
	s_and_b64 vcc, exec, s[4:5]
	v_mov_b32_e32 v4, 1.0
	s_cbranch_vccnz .LBB56_86
; %bb.85:
	v_div_scale_f32 v2, s[10:11], v0, v0, 1.0
	v_rcp_f32_e32 v3, v2
	v_div_scale_f32 v4, vcc, 1.0, v0, 1.0
	v_fma_f32 v5, -v2, v3, 1.0
	v_fmac_f32_e32 v3, v5, v3
	v_mul_f32_e32 v5, v4, v3
	v_fma_f32 v6, -v2, v5, v4
	v_fmac_f32_e32 v5, v6, v3
	v_fma_f32 v2, -v2, v5, v4
	v_div_fmas_f32 v2, v2, v3, v5
	v_div_fixup_f32 v4, v2, v0, 1.0
.LBB56_86:
	v_add_u32_e32 v2, s12, v33
	v_mul_lo_u32 v2, v2, s39
	v_add_u32_e32 v2, s14, v2
	v_mul_lo_u32 v2, s8, v2
	v_add_u32_e32 v2, s9, v2
	v_cvt_f32_f16_sdwa v9, v45 dst_sel:DWORD dst_unused:UNUSED_PAD src0_sel:WORD_1
	v_cvt_f32_f16_e32 v8, v45
	v_cvt_f32_f16_sdwa v11, v53 dst_sel:DWORD dst_unused:UNUSED_PAD src0_sel:WORD_1
	v_cvt_f32_f16_e32 v10, v53
	v_lshl_add_u32 v6, v2, 7, v35
	v_mov_b32_e32 v7, 0
	v_lshlrev_b64 v[6:7], 2, v[6:7]
	v_mov_b32_e32 v3, s29
	v_add_co_u32_e32 v12, vcc, s28, v6
	v_addc_co_u32_e32 v13, vcc, v3, v7, vcc
	v_pk_mul_f32 v[6:7], v[4:5], v[8:9] op_sel_hi:[0,1]
	v_pk_mul_f32 v[8:9], v[4:5], v[10:11] op_sel_hi:[0,1]
	global_store_dwordx4 v[12:13], v[6:9], off
	s_and_saveexec_b64 s[10:11], s[6:7]
	s_cbranch_execz .LBB56_88
; %bb.87:
	v_ashrrev_i32_e32 v3, 31, v2
	v_lshlrev_b64 v[2:3], 3, v[2:3]
	v_mov_b32_e32 v4, s31
	v_add_co_u32_e32 v2, vcc, s30, v2
	v_addc_co_u32_e32 v3, vcc, v4, v3, vcc
	v_mov_b32_e32 v4, v14
	v_mov_b32_e32 v5, v0
	global_store_dwordx2 v[2:3], v[4:5], off
.LBB56_88:
	s_or_b64 exec, exec, s[10:11]
	v_cmp_gt_i32_e32 vcc, s38, v32
	s_and_b64 exec, exec, vcc
	s_cbranch_execz .LBB56_93
; %bb.89:
	s_and_b64 vcc, exec, s[4:5]
	v_mov_b32_e32 v0, 1.0
	s_cbranch_vccnz .LBB56_91
; %bb.90:
	v_div_scale_f32 v0, s[4:5], v1, v1, 1.0
	v_rcp_f32_e32 v2, v0
	v_div_scale_f32 v3, vcc, 1.0, v1, 1.0
	v_fma_f32 v4, -v0, v2, 1.0
	v_fmac_f32_e32 v2, v4, v2
	v_mul_f32_e32 v4, v3, v2
	v_fma_f32 v5, -v0, v4, v3
	v_fmac_f32_e32 v4, v5, v2
	v_fma_f32 v0, -v0, v4, v3
	v_div_fmas_f32 v0, v0, v2, v4
	v_div_fixup_f32 v0, v0, v1, 1.0
.LBB56_91:
	v_add_u32_e32 v2, s12, v21
	v_mul_lo_u32 v2, v2, s39
	v_add_u32_e32 v2, s14, v2
	v_mul_lo_u32 v2, s8, v2
	v_add_u32_e32 v2, s9, v2
	v_cvt_f32_f16_sdwa v7, v50 dst_sel:DWORD dst_unused:UNUSED_PAD src0_sel:WORD_1
	v_cvt_f32_f16_e32 v6, v50
	v_cvt_f32_f16_sdwa v9, v46 dst_sel:DWORD dst_unused:UNUSED_PAD src0_sel:WORD_1
	v_cvt_f32_f16_e32 v8, v46
	v_lshl_add_u32 v4, v2, 7, v35
	v_mov_b32_e32 v5, 0
	v_lshlrev_b64 v[4:5], 2, v[4:5]
	v_mov_b32_e32 v3, s29
	v_add_co_u32_e32 v10, vcc, s28, v4
	v_addc_co_u32_e32 v11, vcc, v3, v5, vcc
	v_pk_mul_f32 v[4:5], v[0:1], v[6:7] op_sel_hi:[0,1]
	v_pk_mul_f32 v[6:7], v[0:1], v[8:9] op_sel_hi:[0,1]
	global_store_dwordx4 v[10:11], v[4:7], off
	s_and_b64 exec, exec, s[6:7]
	s_cbranch_execz .LBB56_93
; %bb.92:
	v_ashrrev_i32_e32 v3, 31, v2
	v_lshlrev_b64 v[2:3], 3, v[2:3]
	v_mov_b32_e32 v0, s31
	v_add_co_u32_e32 v2, vcc, s30, v2
	v_addc_co_u32_e32 v3, vcc, v0, v3, vcc
	v_mov_b32_e32 v0, v15
	global_store_dwordx2 v[2:3], v[0:1], off
.LBB56_93:
	s_endpgm
	.section	.rodata,"a",@progbits
	.p2align	6, 0x0
	.amdhsa_kernel _ZL15flash_attn_tileILi128ELi128ELi32ELi1ELb0EEvPKcS1_S1_S1_S1_PKiPfP15HIP_vector_typeIfLj2EEffffjfiS5_IjLj3EEiiiiiiiiiiiliiliiiiil
		.amdhsa_group_segment_fixed_size 21504
		.amdhsa_private_segment_fixed_size 32
		.amdhsa_kernarg_size 464
		.amdhsa_user_sgpr_count 8
		.amdhsa_user_sgpr_private_segment_buffer 1
		.amdhsa_user_sgpr_dispatch_ptr 0
		.amdhsa_user_sgpr_queue_ptr 0
		.amdhsa_user_sgpr_kernarg_segment_ptr 1
		.amdhsa_user_sgpr_dispatch_id 0
		.amdhsa_user_sgpr_flat_scratch_init 1
		.amdhsa_user_sgpr_kernarg_preload_length 0
		.amdhsa_user_sgpr_kernarg_preload_offset 0
		.amdhsa_user_sgpr_private_segment_size 0
		.amdhsa_uses_dynamic_stack 0
		.amdhsa_system_sgpr_private_segment_wavefront_offset 1
		.amdhsa_system_sgpr_workgroup_id_x 1
		.amdhsa_system_sgpr_workgroup_id_y 1
		.amdhsa_system_sgpr_workgroup_id_z 1
		.amdhsa_system_sgpr_workgroup_info 0
		.amdhsa_system_vgpr_workitem_id 1
		.amdhsa_next_free_vgpr 134
		.amdhsa_next_free_sgpr 56
		.amdhsa_accum_offset 136
		.amdhsa_reserve_vcc 1
		.amdhsa_reserve_flat_scratch 1
		.amdhsa_float_round_mode_32 0
		.amdhsa_float_round_mode_16_64 0
		.amdhsa_float_denorm_mode_32 3
		.amdhsa_float_denorm_mode_16_64 3
		.amdhsa_dx10_clamp 1
		.amdhsa_ieee_mode 1
		.amdhsa_fp16_overflow 0
		.amdhsa_tg_split 0
		.amdhsa_exception_fp_ieee_invalid_op 0
		.amdhsa_exception_fp_denorm_src 0
		.amdhsa_exception_fp_ieee_div_zero 0
		.amdhsa_exception_fp_ieee_overflow 0
		.amdhsa_exception_fp_ieee_underflow 0
		.amdhsa_exception_fp_ieee_inexact 0
		.amdhsa_exception_int_div_zero 0
	.end_amdhsa_kernel
	.section	.text._ZL15flash_attn_tileILi128ELi128ELi32ELi1ELb0EEvPKcS1_S1_S1_S1_PKiPfP15HIP_vector_typeIfLj2EEffffjfiS5_IjLj3EEiiiiiiiiiiiliiliiiiil,"axG",@progbits,_ZL15flash_attn_tileILi128ELi128ELi32ELi1ELb0EEvPKcS1_S1_S1_S1_PKiPfP15HIP_vector_typeIfLj2EEffffjfiS5_IjLj3EEiiiiiiiiiiiliiliiiiil,comdat
.Lfunc_end56:
	.size	_ZL15flash_attn_tileILi128ELi128ELi32ELi1ELb0EEvPKcS1_S1_S1_S1_PKiPfP15HIP_vector_typeIfLj2EEffffjfiS5_IjLj3EEiiiiiiiiiiiliiliiiiil, .Lfunc_end56-_ZL15flash_attn_tileILi128ELi128ELi32ELi1ELb0EEvPKcS1_S1_S1_S1_PKiPfP15HIP_vector_typeIfLj2EEffffjfiS5_IjLj3EEiiiiiiiiiiiliiliiiiil
                                        ; -- End function
	.section	.AMDGPU.csdata,"",@progbits
; Kernel info:
; codeLenInByte = 31604
; NumSgprs: 62
; NumVgprs: 134
; NumAgprs: 0
; TotalNumVgprs: 134
; ScratchSize: 32
; MemoryBound: 0
; FloatMode: 240
; IeeeMode: 1
; LDSByteSize: 21504 bytes/workgroup (compile time only)
; SGPRBlocks: 7
; VGPRBlocks: 16
; NumSGPRsForWavesPerEU: 62
; NumVGPRsForWavesPerEU: 134
; AccumOffset: 136
; Occupancy: 3
; WaveLimiterHint : 1
; COMPUTE_PGM_RSRC2:SCRATCH_EN: 1
; COMPUTE_PGM_RSRC2:USER_SGPR: 8
; COMPUTE_PGM_RSRC2:TRAP_HANDLER: 0
; COMPUTE_PGM_RSRC2:TGID_X_EN: 1
; COMPUTE_PGM_RSRC2:TGID_Y_EN: 1
; COMPUTE_PGM_RSRC2:TGID_Z_EN: 1
; COMPUTE_PGM_RSRC2:TIDIG_COMP_CNT: 1
; COMPUTE_PGM_RSRC3_GFX90A:ACCUM_OFFSET: 33
; COMPUTE_PGM_RSRC3_GFX90A:TG_SPLIT: 0
	.section	.text._ZL33flash_attn_stream_k_fixup_uniformILi128ELi32ELi1EEvPfPK15HIP_vector_typeIfLj2EEiiiiiiS1_IjLj3EES5_S5_,"axG",@progbits,_ZL33flash_attn_stream_k_fixup_uniformILi128ELi32ELi1EEvPfPK15HIP_vector_typeIfLj2EEiiiiiiS1_IjLj3EES5_S5_,comdat
	.globl	_ZL33flash_attn_stream_k_fixup_uniformILi128ELi32ELi1EEvPfPK15HIP_vector_typeIfLj2EEiiiiiiS1_IjLj3EES5_S5_ ; -- Begin function _ZL33flash_attn_stream_k_fixup_uniformILi128ELi32ELi1EEvPfPK15HIP_vector_typeIfLj2EEiiiiiiS1_IjLj3EES5_S5_
	.p2align	8
	.type	_ZL33flash_attn_stream_k_fixup_uniformILi128ELi32ELi1EEvPfPK15HIP_vector_typeIfLj2EEiiiiiiS1_IjLj3EES5_S5_,@function
_ZL33flash_attn_stream_k_fixup_uniformILi128ELi32ELi1EEvPfPK15HIP_vector_typeIfLj2EEiiiiiiS1_IjLj3EES5_S5_: ; @_ZL33flash_attn_stream_k_fixup_uniformILi128ELi32ELi1EEvPfPK15HIP_vector_typeIfLj2EEiiiiiiS1_IjLj3EES5_S5_
; %bb.0:
	s_load_dwordx8 s[12:19], s[4:5], 0x1c
	s_load_dwordx2 s[10:11], s[4:5], 0x10
	s_load_dwordx4 s[0:3], s[4:5], 0x3c
	s_waitcnt lgkmcnt(0)
	s_mul_hi_u32 s9, s15, s6
	s_add_i32 s9, s6, s9
	s_lshr_b32 s9, s9, s16
	s_mul_i32 s15, s9, s17
	s_sub_i32 s15, s6, s15
	s_mul_hi_u32 s16, s15, s18
	s_add_i32 s16, s15, s16
	s_lshr_b32 s16, s16, s19
	s_mul_i32 s0, s16, s0
	s_sub_i32 s0, s15, s0
	;; [unrolled: 5-line block ×3, first 2 shown]
	s_lshl_b32 s0, s17, 5
	s_add_i32 s0, s0, s7
	s_cmp_lt_i32 s0, s10
	s_cselect_b64 s[0:1], -1, 0
	s_add_i32 s2, s15, s8
	s_cmp_lt_i32 s2, s13
	s_cselect_b64 s[2:3], -1, 0
	s_and_b64 s[0:1], s[0:1], s[2:3]
	s_andn2_b64 vcc, exec, s[0:1]
	s_cbranch_vccnz .LBB57_6
; %bb.1:
	s_load_dwordx4 s[0:3], s[4:5], 0x0
	s_mul_i32 s4, s9, s10
	s_add_i32 s4, s4, s7
	s_mul_i32 s4, s4, s11
	s_mul_i32 s16, s16, s13
	s_add_i32 s4, s4, s8
	s_add_i32 s4, s4, s16
	s_mul_i32 s5, s11, s17
	s_add_i32 s4, s4, s15
	s_lshl_b32 s5, s5, 12
	s_lshl_b32 s4, s4, 7
	s_add_i32 s5, s5, s4
	v_or_b32_e32 v2, s5, v0
	v_ashrrev_i32_e32 v3, 31, v2
	v_lshlrev_b64 v[2:3], 2, v[2:3]
	s_waitcnt lgkmcnt(0)
	v_mov_b32_e32 v1, s1
	v_add_co_u32_e32 v2, vcc, s0, v2
	v_addc_co_u32_e32 v3, vcc, v1, v3, vcc
	global_load_dword v8, v[2:3], off
	s_add_i32 s4, s7, s8
	s_mul_i32 s7, s6, s14
	s_add_i32 s5, s7, s14
	s_lshl_b32 s0, s5, 5
	s_add_i32 s0, s4, s0
	s_sub_i32 s0, s0, 32
	s_ashr_i32 s1, s0, 31
	s_lshl_b64 s[0:1], s[0:1], 3
	s_add_u32 s0, s2, s0
	s_addc_u32 s1, s3, s1
	s_load_dword s10, s[0:1], 0x4
	s_add_i32 s8, s5, -2
	s_cmp_lt_i32 s8, s7
	s_cbranch_scc1 .LBB57_4
; %bb.2:
	s_lshl_b32 s8, s12, 7
	s_ashr_i32 s9, s8, 31
	s_lshl_b64 s[8:9], s[8:9], 2
	s_add_u32 s8, s2, s8
	s_addc_u32 s11, s3, s9
	s_add_i32 s6, s6, 1
	s_add_i32 s9, s5, -1
	s_mul_i32 s5, s14, s6
	s_load_dword s0, s[0:1], 0x0
	s_lshl_b32 s1, s4, 7
	s_lshl_b32 s6, s5, 12
	s_add_i32 s1, s1, s6
	v_or_b32_e32 v0, s1, v0
	s_lshl_b32 s1, s5, 5
	s_add_i32 s1, s4, s1
	s_lshl_b32 s4, s12, 5
	s_add_i32 s1, s1, s4
	v_add_u32_e32 v0, 0xffffe000, v0
	s_sub_i32 s4, s1, 64
	s_waitcnt lgkmcnt(0)
	v_mov_b32_e32 v7, s10
	v_mov_b32_e32 v6, s0
	;; [unrolled: 1-line block ×3, first 2 shown]
	s_mov_b32 s6, 0x3fb8aa3b
	s_mov_b32 s10, 0xc2ce8ed0
	;; [unrolled: 1-line block ×3, first 2 shown]
	v_mov_b32_e32 v5, 0x7f800000
	s_mov_b32 s12, 0xc1a00000
.LBB57_3:                               ; =>This Inner Loop Header: Depth=1
	v_ashrrev_i32_e32 v1, 31, v0
	v_lshlrev_b64 v[10:11], 2, v[0:1]
	v_add_co_u32_e32 v10, vcc, s8, v10
	v_addc_co_u32_e32 v11, vcc, v4, v11, vcc
	global_load_dword v1, v[10:11], off
	s_ashr_i32 s5, s4, 31
	s_lshl_b64 s[0:1], s[4:5], 3
	s_add_u32 s0, s2, s0
	s_addc_u32 s1, s3, s1
	s_load_dwordx2 s[14:15], s[0:1], 0x0
	s_waitcnt vmcnt(1)
	v_mov_b32_e32 v9, v8
	v_max_f32_e32 v8, v6, v6
	v_mov_b32_e32 v10, v7
	s_add_i32 s9, s9, -1
	s_waitcnt lgkmcnt(0)
	v_max_f32_e64 v7, s14, s14
	v_max_f32_e32 v7, v8, v7
	v_sub_f32_e32 v11, s14, v7
	v_sub_f32_e32 v8, v6, v7
	v_mul_f32_e32 v12, 0x3fb8aa3b, v11
	v_mov_b32_e32 v6, v7
	v_mul_f32_e32 v7, 0x3fb8aa3b, v8
	v_fma_f32 v15, v11, s6, -v12
	v_rndne_f32_e32 v16, v12
	v_fma_f32 v13, v8, s6, -v7
	v_rndne_f32_e32 v14, v7
	v_fmac_f32_e32 v15, 0x32a5705f, v11
	v_sub_f32_e32 v12, v12, v16
	v_fmac_f32_e32 v13, 0x32a5705f, v8
	v_sub_f32_e32 v7, v7, v14
	v_add_f32_e32 v12, v12, v15
	v_cvt_i32_f32_e32 v16, v16
	v_add_f32_e32 v7, v7, v13
	v_exp_f32_e32 v12, v12
	v_cvt_i32_f32_e32 v14, v14
	v_exp_f32_e32 v7, v7
	v_cmp_ngt_f32_e32 vcc, s10, v11
	v_ldexp_f32 v12, v12, v16
	v_cmp_ngt_f32_e64 s[0:1], s10, v8
	v_ldexp_f32 v7, v7, v14
	v_cndmask_b32_e32 v12, 0, v12, vcc
	v_cmp_nlt_f32_e32 vcc, s11, v11
	v_cndmask_b32_e64 v7, 0, v7, s[0:1]
	v_cmp_nlt_f32_e64 s[0:1], s11, v8
	v_cndmask_b32_e32 v12, v5, v12, vcc
	v_cmp_le_f32_e32 vcc, s12, v11
	v_cndmask_b32_e64 v7, v5, v7, s[0:1]
	v_cmp_le_f32_e64 s[0:1], s12, v8
	v_cndmask_b32_e32 v8, 0, v12, vcc
	s_sub_i32 s4, s4, 32
	v_cndmask_b32_e64 v11, 0, v7, s[0:1]
	v_mul_f32_e32 v7, s15, v8
	v_add_u32_e32 v0, 0xfffff000, v0
	s_cmp_le_i32 s9, s7
	v_fmac_f32_e32 v7, v10, v11
	s_waitcnt vmcnt(0)
	v_mul_f32_e32 v8, v1, v8
	v_fmac_f32_e32 v8, v9, v11
	s_cbranch_scc0 .LBB57_3
	s_branch .LBB57_5
.LBB57_4:
	s_waitcnt lgkmcnt(0)
	v_mov_b32_e32 v7, s10
.LBB57_5:
	s_waitcnt vmcnt(0)
	v_div_scale_f32 v0, s[0:1], v7, v7, v8
	v_rcp_f32_e32 v1, v0
	v_div_scale_f32 v4, vcc, v8, v7, v8
	v_fma_f32 v5, -v0, v1, 1.0
	v_fmac_f32_e32 v1, v5, v1
	v_mul_f32_e32 v5, v4, v1
	v_fma_f32 v6, -v0, v5, v4
	v_fmac_f32_e32 v5, v6, v1
	v_fma_f32 v0, -v0, v5, v4
	v_div_fmas_f32 v0, v0, v1, v5
	v_div_fixup_f32 v0, v0, v7, v8
	global_store_dword v[2:3], v0, off
.LBB57_6:
	s_endpgm
	.section	.rodata,"a",@progbits
	.p2align	6, 0x0
	.amdhsa_kernel _ZL33flash_attn_stream_k_fixup_uniformILi128ELi32ELi1EEvPfPK15HIP_vector_typeIfLj2EEiiiiiiS1_IjLj3EES5_S5_
		.amdhsa_group_segment_fixed_size 0
		.amdhsa_private_segment_fixed_size 0
		.amdhsa_kernarg_size 76
		.amdhsa_user_sgpr_count 6
		.amdhsa_user_sgpr_private_segment_buffer 1
		.amdhsa_user_sgpr_dispatch_ptr 0
		.amdhsa_user_sgpr_queue_ptr 0
		.amdhsa_user_sgpr_kernarg_segment_ptr 1
		.amdhsa_user_sgpr_dispatch_id 0
		.amdhsa_user_sgpr_flat_scratch_init 0
		.amdhsa_user_sgpr_kernarg_preload_length 0
		.amdhsa_user_sgpr_kernarg_preload_offset 0
		.amdhsa_user_sgpr_private_segment_size 0
		.amdhsa_uses_dynamic_stack 0
		.amdhsa_system_sgpr_private_segment_wavefront_offset 0
		.amdhsa_system_sgpr_workgroup_id_x 1
		.amdhsa_system_sgpr_workgroup_id_y 1
		.amdhsa_system_sgpr_workgroup_id_z 1
		.amdhsa_system_sgpr_workgroup_info 0
		.amdhsa_system_vgpr_workitem_id 0
		.amdhsa_next_free_vgpr 17
		.amdhsa_next_free_sgpr 20
		.amdhsa_accum_offset 20
		.amdhsa_reserve_vcc 1
		.amdhsa_reserve_flat_scratch 0
		.amdhsa_float_round_mode_32 0
		.amdhsa_float_round_mode_16_64 0
		.amdhsa_float_denorm_mode_32 3
		.amdhsa_float_denorm_mode_16_64 3
		.amdhsa_dx10_clamp 1
		.amdhsa_ieee_mode 1
		.amdhsa_fp16_overflow 0
		.amdhsa_tg_split 0
		.amdhsa_exception_fp_ieee_invalid_op 0
		.amdhsa_exception_fp_denorm_src 0
		.amdhsa_exception_fp_ieee_div_zero 0
		.amdhsa_exception_fp_ieee_overflow 0
		.amdhsa_exception_fp_ieee_underflow 0
		.amdhsa_exception_fp_ieee_inexact 0
		.amdhsa_exception_int_div_zero 0
	.end_amdhsa_kernel
	.section	.text._ZL33flash_attn_stream_k_fixup_uniformILi128ELi32ELi1EEvPfPK15HIP_vector_typeIfLj2EEiiiiiiS1_IjLj3EES5_S5_,"axG",@progbits,_ZL33flash_attn_stream_k_fixup_uniformILi128ELi32ELi1EEvPfPK15HIP_vector_typeIfLj2EEiiiiiiS1_IjLj3EES5_S5_,comdat
.Lfunc_end57:
	.size	_ZL33flash_attn_stream_k_fixup_uniformILi128ELi32ELi1EEvPfPK15HIP_vector_typeIfLj2EEiiiiiiS1_IjLj3EES5_S5_, .Lfunc_end57-_ZL33flash_attn_stream_k_fixup_uniformILi128ELi32ELi1EEvPfPK15HIP_vector_typeIfLj2EEiiiiiiS1_IjLj3EES5_S5_
                                        ; -- End function
	.section	.AMDGPU.csdata,"",@progbits
; Kernel info:
; codeLenInByte = 836
; NumSgprs: 24
; NumVgprs: 17
; NumAgprs: 0
; TotalNumVgprs: 17
; ScratchSize: 0
; MemoryBound: 0
; FloatMode: 240
; IeeeMode: 1
; LDSByteSize: 0 bytes/workgroup (compile time only)
; SGPRBlocks: 2
; VGPRBlocks: 2
; NumSGPRsForWavesPerEU: 24
; NumVGPRsForWavesPerEU: 17
; AccumOffset: 20
; Occupancy: 8
; WaveLimiterHint : 0
; COMPUTE_PGM_RSRC2:SCRATCH_EN: 0
; COMPUTE_PGM_RSRC2:USER_SGPR: 6
; COMPUTE_PGM_RSRC2:TRAP_HANDLER: 0
; COMPUTE_PGM_RSRC2:TGID_X_EN: 1
; COMPUTE_PGM_RSRC2:TGID_Y_EN: 1
; COMPUTE_PGM_RSRC2:TGID_Z_EN: 1
; COMPUTE_PGM_RSRC2:TIDIG_COMP_CNT: 0
; COMPUTE_PGM_RSRC3_GFX90A:ACCUM_OFFSET: 4
; COMPUTE_PGM_RSRC3_GFX90A:TG_SPLIT: 0
	.section	.text._ZL33flash_attn_stream_k_fixup_generalILi128ELi32ELi1EEvPfPK15HIP_vector_typeIfLj2EEiiiiS1_IjLj3EES5_S5_S5_,"axG",@progbits,_ZL33flash_attn_stream_k_fixup_generalILi128ELi32ELi1EEvPfPK15HIP_vector_typeIfLj2EEiiiiS1_IjLj3EES5_S5_S5_,comdat
	.globl	_ZL33flash_attn_stream_k_fixup_generalILi128ELi32ELi1EEvPfPK15HIP_vector_typeIfLj2EEiiiiS1_IjLj3EES5_S5_S5_ ; -- Begin function _ZL33flash_attn_stream_k_fixup_generalILi128ELi32ELi1EEvPfPK15HIP_vector_typeIfLj2EEiiiiS1_IjLj3EES5_S5_S5_
	.p2align	8
	.type	_ZL33flash_attn_stream_k_fixup_generalILi128ELi32ELi1EEvPfPK15HIP_vector_typeIfLj2EEiiiiS1_IjLj3EES5_S5_S5_,@function
_ZL33flash_attn_stream_k_fixup_generalILi128ELi32ELi1EEvPfPK15HIP_vector_typeIfLj2EEiiiiS1_IjLj3EES5_S5_S5_: ; @_ZL33flash_attn_stream_k_fixup_generalILi128ELi32ELi1EEvPfPK15HIP_vector_typeIfLj2EEiiiiS1_IjLj3EES5_S5_S5_
; %bb.0:
	s_load_dwordx4 s[12:15], s[4:5], 0x10
	s_load_dword s9, s[4:5], 0x50
	s_mov_b32 s2, 0
	s_waitcnt lgkmcnt(0)
	s_mul_hi_i32 s3, s15, s6
	s_cmp_lg_u64 s[2:3], 0
	s_mul_i32 s2, s15, s6
	s_cbranch_scc0 .LBB58_21
; %bb.1:
	v_cvt_f32_u32_e32 v1, s9
	v_cvt_f32_ubyte0_e32 v2, 0
	s_sub_u32 s10, 0, s9
	s_subb_u32 s11, 0, 0
	v_madmk_f32 v1, v2, 0x4f800000, v1
	v_rcp_f32_e32 v1, v1
	v_mul_f32_e32 v1, 0x5f7ffffc, v1
	v_mul_f32_e32 v2, 0x2f800000, v1
	v_trunc_f32_e32 v2, v2
	v_madmk_f32 v1, v2, 0xcf800000, v1
	v_cvt_u32_f32_e32 v2, v2
	v_cvt_u32_f32_e32 v1, v1
	v_readfirstlane_b32 s16, v2
	v_readfirstlane_b32 s17, v1
	s_mul_i32 s18, s10, s16
	s_mul_hi_u32 s20, s10, s17
	s_mul_i32 s19, s11, s17
	s_add_i32 s18, s20, s18
	s_add_i32 s18, s18, s19
	s_mul_i32 s21, s10, s17
	s_mul_hi_u32 s19, s17, s18
	s_mul_i32 s20, s17, s18
	s_mul_hi_u32 s17, s17, s21
	s_add_u32 s17, s17, s20
	s_addc_u32 s19, 0, s19
	s_mul_hi_u32 s22, s16, s21
	s_mul_i32 s21, s16, s21
	s_add_u32 s17, s17, s21
	s_mul_hi_u32 s20, s16, s18
	s_addc_u32 s17, s19, s22
	s_addc_u32 s19, s20, 0
	s_mul_i32 s18, s16, s18
	s_add_u32 s17, s17, s18
	s_addc_u32 s18, 0, s19
	v_add_co_u32_e32 v1, vcc, s17, v1
	s_cmp_lg_u64 vcc, 0
	s_addc_u32 s16, s16, s18
	v_readfirstlane_b32 s18, v1
	s_mul_i32 s17, s10, s16
	s_mul_hi_u32 s19, s10, s18
	s_add_i32 s17, s19, s17
	s_mul_i32 s11, s11, s18
	s_add_i32 s17, s17, s11
	s_mul_i32 s10, s10, s18
	s_mul_hi_u32 s19, s16, s10
	s_mul_i32 s20, s16, s10
	s_mul_i32 s22, s18, s17
	s_mul_hi_u32 s10, s18, s10
	s_mul_hi_u32 s21, s18, s17
	s_add_u32 s10, s10, s22
	s_addc_u32 s18, 0, s21
	s_add_u32 s10, s10, s20
	s_mul_hi_u32 s11, s16, s17
	s_addc_u32 s10, s18, s19
	s_addc_u32 s11, s11, 0
	s_mul_i32 s17, s16, s17
	s_add_u32 s10, s10, s17
	s_addc_u32 s11, 0, s11
	v_add_co_u32_e32 v1, vcc, s10, v1
	s_cmp_lg_u64 vcc, 0
	s_addc_u32 s18, s16, s11
	s_ashr_i32 s10, s3, 31
	s_add_u32 s16, s2, s10
	s_mov_b32 s11, s10
	s_addc_u32 s17, s3, s10
	s_xor_b64 s[16:17], s[16:17], s[10:11]
	v_readfirstlane_b32 s20, v1
	s_mul_i32 s19, s16, s18
	s_mul_hi_u32 s21, s16, s20
	s_mul_hi_u32 s3, s16, s18
	s_add_u32 s19, s21, s19
	s_addc_u32 s3, 0, s3
	s_mul_hi_u32 s22, s17, s20
	s_mul_i32 s20, s17, s20
	s_add_u32 s19, s19, s20
	s_mul_hi_u32 s21, s17, s18
	s_addc_u32 s3, s3, s22
	s_addc_u32 s19, s21, 0
	s_mul_i32 s18, s17, s18
	s_add_u32 s3, s3, s18
	s_addc_u32 s18, 0, s19
	s_add_u32 s19, s3, 1
	s_addc_u32 s20, s18, 0
	s_add_u32 s21, s3, 2
	s_mul_i32 s23, s9, s18
	s_mul_hi_u32 s24, s9, s3
	s_addc_u32 s22, s18, 0
	s_add_i32 s24, s24, s23
	s_mul_i32 s23, s9, s3
	v_mov_b32_e32 v1, s23
	v_sub_co_u32_e32 v1, vcc, s16, v1
	s_cmp_lg_u64 vcc, 0
	s_subb_u32 s16, s17, s24
	v_subrev_co_u32_e32 v2, vcc, s9, v1
	s_cmp_lg_u64 vcc, 0
	s_subb_u32 s17, s16, 0
	v_readfirstlane_b32 s23, v2
	s_cmp_ge_u32 s23, s9
	s_cselect_b32 s23, -1, 0
	s_cmp_eq_u32 s17, 0
	s_cselect_b32 s17, s23, -1
	s_cmp_lg_u32 s17, 0
	s_cselect_b32 s17, s22, s20
	v_readfirstlane_b32 s20, v1
	s_cselect_b32 s19, s21, s19
	s_cmp_ge_u32 s20, s9
	s_cselect_b32 s20, -1, 0
	s_cmp_eq_u32 s16, 0
	s_cselect_b32 s16, s20, -1
	s_cmp_lg_u32 s16, 0
	s_cselect_b32 s17, s17, s18
	s_cselect_b32 s16, s19, s3
	s_xor_b64 s[16:17], s[16:17], s[10:11]
	s_sub_u32 s20, s16, s10
	s_load_dwordx4 s[16:19], s[4:5], 0x44
	s_cbranch_execnz .LBB58_3
.LBB58_2:
	v_cvt_f32_u32_e32 v1, s9
	s_sub_i32 s0, 0, s9
	v_rcp_iflag_f32_e32 v1, v1
	v_mul_f32_e32 v1, 0x4f7ffffe, v1
	v_cvt_u32_f32_e32 v1, v1
	v_readfirstlane_b32 s1, v1
	s_mul_i32 s0, s0, s1
	s_mul_hi_u32 s0, s1, s0
	s_add_i32 s1, s1, s0
	s_mul_hi_u32 s0, s2, s1
	s_mul_i32 s3, s0, s9
	s_sub_i32 s2, s2, s3
	s_add_i32 s1, s0, 1
	s_sub_i32 s3, s2, s9
	s_cmp_ge_u32 s2, s9
	s_cselect_b32 s0, s1, s0
	s_cselect_b32 s2, s3, s2
	s_add_i32 s1, s0, 1
	s_cmp_ge_u32 s2, s9
	s_cselect_b32 s20, s1, s0
.LBB58_3:
	s_add_i32 s0, s6, 1
	s_mul_hi_i32 s3, s15, s0
	s_mov_b32 s2, 0
	s_cmp_lg_u64 s[2:3], 0
	s_mul_i32 s2, s15, s0
	s_cbranch_scc0 .LBB58_22
; %bb.4:
	v_cvt_f32_u32_e32 v1, s9
	v_cvt_f32_ubyte0_e32 v2, 0
	s_sub_u32 s10, 0, s9
	s_subb_u32 s11, 0, 0
	v_madmk_f32 v1, v2, 0x4f800000, v1
	v_rcp_f32_e32 v1, v1
	v_mul_f32_e32 v1, 0x5f7ffffc, v1
	v_mul_f32_e32 v2, 0x2f800000, v1
	v_trunc_f32_e32 v2, v2
	v_madmk_f32 v1, v2, 0xcf800000, v1
	v_cvt_u32_f32_e32 v2, v2
	v_cvt_u32_f32_e32 v1, v1
	s_waitcnt lgkmcnt(0)
	v_readfirstlane_b32 s19, v2
	v_readfirstlane_b32 s21, v1
	s_mul_i32 s22, s10, s19
	s_mul_hi_u32 s24, s10, s21
	s_mul_i32 s23, s11, s21
	s_add_i32 s22, s24, s22
	s_add_i32 s22, s22, s23
	s_mul_i32 s25, s10, s21
	s_mul_hi_u32 s23, s21, s22
	s_mul_i32 s24, s21, s22
	s_mul_hi_u32 s21, s21, s25
	s_add_u32 s21, s21, s24
	s_addc_u32 s23, 0, s23
	s_mul_hi_u32 s26, s19, s25
	s_mul_i32 s25, s19, s25
	s_add_u32 s21, s21, s25
	s_mul_hi_u32 s24, s19, s22
	s_addc_u32 s21, s23, s26
	s_addc_u32 s23, s24, 0
	s_mul_i32 s22, s19, s22
	s_add_u32 s21, s21, s22
	s_addc_u32 s22, 0, s23
	v_add_co_u32_e32 v1, vcc, s21, v1
	s_cmp_lg_u64 vcc, 0
	s_addc_u32 s19, s19, s22
	v_readfirstlane_b32 s22, v1
	s_mul_i32 s21, s10, s19
	s_mul_hi_u32 s23, s10, s22
	s_add_i32 s21, s23, s21
	s_mul_i32 s11, s11, s22
	s_add_i32 s21, s21, s11
	s_mul_i32 s10, s10, s22
	s_mul_hi_u32 s23, s19, s10
	s_mul_i32 s24, s19, s10
	s_mul_i32 s26, s22, s21
	s_mul_hi_u32 s10, s22, s10
	s_mul_hi_u32 s25, s22, s21
	s_add_u32 s10, s10, s26
	s_addc_u32 s22, 0, s25
	s_add_u32 s10, s10, s24
	s_mul_hi_u32 s11, s19, s21
	s_addc_u32 s10, s22, s23
	s_addc_u32 s11, s11, 0
	s_mul_i32 s21, s19, s21
	s_add_u32 s10, s10, s21
	s_addc_u32 s11, 0, s11
	v_add_co_u32_e32 v1, vcc, s10, v1
	s_cmp_lg_u64 vcc, 0
	s_addc_u32 s19, s19, s11
	s_ashr_i32 s10, s3, 31
	s_add_u32 s22, s2, s10
	s_mov_b32 s11, s10
	s_addc_u32 s23, s3, s10
	s_xor_b64 s[22:23], s[22:23], s[10:11]
	v_readfirstlane_b32 s21, v1
	s_mul_i32 s11, s22, s19
	s_mul_hi_u32 s24, s22, s21
	s_mul_hi_u32 s3, s22, s19
	s_add_u32 s11, s24, s11
	s_addc_u32 s3, 0, s3
	s_mul_hi_u32 s25, s23, s21
	s_mul_i32 s21, s23, s21
	s_add_u32 s11, s11, s21
	s_mul_hi_u32 s24, s23, s19
	s_addc_u32 s3, s3, s25
	s_addc_u32 s11, s24, 0
	s_mul_i32 s19, s23, s19
	s_add_u32 s3, s3, s19
	s_addc_u32 s11, 0, s11
	s_mul_i32 s11, s9, s11
	s_mul_hi_u32 s24, s9, s3
	s_add_i32 s24, s24, s11
	s_mul_i32 s11, s9, s3
	v_mov_b32_e32 v1, s11
	s_add_u32 s19, s3, 1
	s_add_u32 s21, s3, 2
	v_sub_co_u32_e32 v1, vcc, s22, v1
	s_cmp_lg_u64 vcc, 0
	s_subb_u32 s11, s23, s24
	v_subrev_co_u32_e32 v2, vcc, s9, v1
	s_cmp_lg_u64 vcc, 0
	s_subb_u32 s22, s11, 0
	v_cmp_le_u32_e32 vcc, s9, v2
	s_cmp_eq_u32 s22, 0
	v_cndmask_b32_e64 v2, 0, -1, vcc
	s_cselect_b64 vcc, -1, 0
	v_cndmask_b32_e32 v2, -1, v2, vcc
	v_mov_b32_e32 v3, s19
	v_mov_b32_e32 v4, s21
	v_cmp_ne_u32_e32 vcc, 0, v2
	v_cndmask_b32_e32 v2, v3, v4, vcc
	v_cmp_le_u32_e32 vcc, s9, v1
	s_cmp_eq_u32 s11, 0
	v_cndmask_b32_e64 v1, 0, -1, vcc
	s_cselect_b64 vcc, -1, 0
	v_cndmask_b32_e32 v1, -1, v1, vcc
	v_mov_b32_e32 v3, s3
	v_cmp_ne_u32_e32 vcc, 0, v1
	v_cndmask_b32_e32 v1, v3, v2, vcc
	v_xor_b32_e32 v1, s10, v1
	v_subrev_co_u32_e32 v2, vcc, s10, v1
	s_cbranch_execnz .LBB58_6
.LBB58_5:
	v_cvt_f32_u32_e32 v1, s9
	s_sub_i32 s0, 0, s9
	s_mov_b32 s1, 0
	v_rcp_iflag_f32_e32 v1, v1
	v_mul_f32_e32 v1, 0x4f7ffffe, v1
	v_cvt_u32_f32_e32 v1, v1
	v_readfirstlane_b32 s3, v1
	s_mul_i32 s0, s0, s3
	s_mul_hi_u32 s0, s3, s0
	s_add_i32 s3, s3, s0
	s_mul_hi_u32 s0, s2, s3
	s_mul_i32 s10, s0, s9
	s_sub_i32 s2, s2, s10
	s_add_i32 s3, s0, 1
	s_sub_i32 s10, s2, s9
	s_cmp_ge_u32 s2, s9
	s_cselect_b32 s0, s3, s0
	s_cselect_b32 s2, s10, s2
	s_add_i32 s3, s0, 1
	s_cmp_ge_u32 s2, s9
	s_cselect_b32 s0, s3, s0
	v_pk_mov_b32 v[2:3], s[0:1], s[0:1] op_sel:[0,1]
.LBB58_6:
	s_waitcnt lgkmcnt(0)
	s_mul_hi_u32 s0, s20, s16
	s_add_i32 s0, s0, s20
	v_mul_hi_u32 v1, v2, s16
	s_lshr_b32 s19, s0, s17
	v_add_u32_e32 v1, v1, v2
	s_mul_i32 s0, s19, s18
	v_lshrrev_b32_e32 v1, s17, v1
	s_cmp_eq_u32 s0, s20
	v_cmp_eq_u32_e64 s[0:1], s19, v1
	v_mul_lo_u32 v1, v1, s18
	v_cmp_eq_u32_e32 vcc, s20, v2
	s_cselect_b64 s[10:11], -1, 0
	v_cmp_ne_u32_e64 s[2:3], v1, v2
	s_and_b64 s[0:1], s[0:1], s[2:3]
	s_or_b64 s[2:3], vcc, s[10:11]
	s_or_b64 s[0:1], s[2:3], s[0:1]
	s_and_b64 vcc, exec, s[0:1]
	s_cbranch_vccnz .LBB58_24
; %bb.7:
	s_load_dwordx8 s[24:31], s[4:5], 0x20
	s_load_dword s0, s[4:5], 0x40
	s_mov_b32 s10, 0
	s_waitcnt lgkmcnt(0)
	s_mul_hi_u32 s1, s20, s24
	s_add_i32 s1, s1, s20
	s_lshr_b32 s11, s1, s25
	s_mul_i32 s1, s11, s26
	s_sub_i32 s1, s20, s1
	s_mul_hi_u32 s2, s1, s27
	s_add_i32 s2, s1, s2
	s_lshr_b32 s25, s2, s28
	s_mul_i32 s2, s25, s29
	s_sub_i32 s1, s1, s2
	;; [unrolled: 5-line block ×3, first 2 shown]
	s_mul_hi_u32 s1, s0, s16
	s_add_i32 s0, s0, s1
	s_lshr_b32 s26, s0, s17
	s_lshl_b32 s0, s26, 5
	s_add_i32 s0, s0, s7
	s_cmp_lt_i32 s0, s12
	s_cselect_b64 s[0:1], -1, 0
	s_add_i32 s2, s24, s8
	s_cmp_lt_i32 s2, s14
	s_cselect_b64 s[2:3], -1, 0
	s_and_b64 s[0:1], s[0:1], s[2:3]
	s_andn2_b64 vcc, exec, s[0:1]
	s_cbranch_vccnz .LBB58_24
; %bb.8:
	s_load_dwordx4 s[0:3], s[4:5], 0x0
	s_lshl_b32 s4, s9, 7
	s_mov_b32 s5, s10
	s_add_i32 s21, s7, s8
	s_lshl_b64 s[4:5], s[4:5], 2
	s_waitcnt lgkmcnt(0)
	s_add_u32 s22, s2, s4
	s_mul_i32 s4, s11, s12
	s_addc_u32 s23, s3, s5
	s_add_i32 s4, s4, s7
	s_mul_i32 s4, s4, s13
	s_mul_i32 s25, s25, s14
	s_add_i32 s4, s4, s8
	s_add_i32 s4, s4, s25
	s_mul_i32 s5, s13, s26
	s_add_i32 s4, s4, s24
	s_lshl_b32 s5, s5, 12
	s_lshl_b32 s4, s4, 7
	s_add_i32 s5, s5, s4
	v_or_b32_e32 v2, s5, v0
	v_ashrrev_i32_e32 v3, 31, v2
	v_lshlrev_b64 v[2:3], 2, v[2:3]
	v_mov_b32_e32 v1, s1
	v_add_co_u32_e32 v2, vcc, s0, v2
	v_addc_co_u32_e32 v3, vcc, v1, v3, vcc
	global_load_dword v5, v[2:3], off
	v_lshl_or_b32 v4, s21, 7, v0
	v_cvt_f32_u32_e32 v0, s9
	v_cvt_f32_ubyte0_e32 v1, 0
	s_lshl_b32 s0, s6, 5
	s_add_i32 s0, s0, s21
	v_mac_f32_e32 v0, 0x4f800000, v1
	v_rcp_f32_e32 v0, v0
	v_cvt_f32_u32_e32 v1, s9
	s_ashr_i32 s1, s0, 31
	s_lshl_b64 s[0:1], s[0:1], 3
	v_mul_f32_e32 v0, 0x5f7ffffc, v0
	v_rcp_iflag_f32_e32 v1, v1
	s_add_u32 s0, s2, s0
	v_mul_f32_e32 v9, 0x2f800000, v0
	s_addc_u32 s1, s3, s1
	v_trunc_f32_e32 v10, v9
	s_load_dwordx2 s[0:1], s[0:1], 0x0
	v_mac_f32_e32 v0, 0xcf800000, v10
	v_cvt_u32_f32_e32 v9, v0
	v_mul_f32_e32 v0, 0x4f7ffffe, v1
	v_cvt_u32_f32_e32 v10, v10
	v_cvt_u32_f32_e32 v11, v0
	s_add_i32 s8, s6, -1
	s_waitcnt lgkmcnt(0)
	v_mov_b32_e32 v6, s1
	v_mov_b32_e32 v7, s0
	;; [unrolled: 1-line block ×3, first 2 shown]
	s_mov_b32 s6, 0x3fb8aa3b
	s_mov_b32 s7, 0xc2ce8ed0
	;; [unrolled: 1-line block ×4, first 2 shown]
	v_mov_b32_e32 v12, 0x7f800000
	s_mul_hi_i32 s11, s8, s15
	s_cmp_lg_u64 s[10:11], 0
	s_mul_i32 s4, s8, s15
	s_cbranch_scc0 .LBB58_15
.LBB58_9:
	s_sub_u32 s0, 0, s9
	v_readfirstlane_b32 s5, v9
	v_readfirstlane_b32 s24, v10
	s_subb_u32 s1, 0, 0
	s_mul_hi_u32 s20, s0, s5
	s_mul_i32 s25, s0, s24
	s_mul_i32 s14, s1, s5
	s_add_i32 s20, s20, s25
	s_add_i32 s20, s20, s14
	s_mul_i32 s26, s0, s5
	s_mul_hi_u32 s14, s5, s20
	s_mul_i32 s25, s5, s20
	s_mul_hi_u32 s5, s5, s26
	s_add_u32 s5, s5, s25
	s_addc_u32 s14, 0, s14
	s_mul_hi_u32 s27, s24, s26
	s_mul_i32 s26, s24, s26
	s_add_u32 s5, s5, s26
	s_mul_hi_u32 s25, s24, s20
	s_addc_u32 s5, s14, s27
	s_addc_u32 s14, s25, 0
	s_mul_i32 s20, s24, s20
	s_add_u32 s5, s5, s20
	s_addc_u32 s14, 0, s14
	v_add_co_u32_e32 v0, vcc, s5, v9
	s_cmp_lg_u64 vcc, 0
	s_addc_u32 s5, s24, s14
	v_readfirstlane_b32 s20, v0
	s_mul_i32 s14, s0, s5
	s_mul_hi_u32 s24, s0, s20
	s_add_i32 s14, s24, s14
	s_mul_i32 s1, s1, s20
	s_add_i32 s14, s14, s1
	s_mul_i32 s0, s0, s20
	s_mul_hi_u32 s24, s5, s0
	s_mul_i32 s25, s5, s0
	s_mul_i32 s27, s20, s14
	s_mul_hi_u32 s0, s20, s0
	s_mul_hi_u32 s26, s20, s14
	s_add_u32 s0, s0, s27
	s_addc_u32 s20, 0, s26
	s_add_u32 s0, s0, s25
	s_mul_hi_u32 s1, s5, s14
	s_addc_u32 s0, s20, s24
	s_addc_u32 s1, s1, 0
	s_mul_i32 s14, s5, s14
	s_add_u32 s0, s0, s14
	s_addc_u32 s1, 0, s1
	v_add_co_u32_e32 v0, vcc, s0, v0
	s_cmp_lg_u64 vcc, 0
	s_addc_u32 s5, s5, s1
	s_ashr_i32 s0, s11, 31
	s_add_u32 s24, s4, s0
	s_mov_b32 s1, s0
	s_addc_u32 s25, s11, s0
	s_xor_b64 s[24:25], s[24:25], s[0:1]
	v_readfirstlane_b32 s14, v0
	s_mul_i32 s11, s24, s5
	s_mul_hi_u32 s20, s24, s14
	s_mul_hi_u32 s1, s24, s5
	s_add_u32 s11, s20, s11
	s_addc_u32 s1, 0, s1
	s_mul_hi_u32 s26, s25, s14
	s_mul_i32 s14, s25, s14
	s_add_u32 s11, s11, s14
	s_mul_hi_u32 s20, s25, s5
	s_addc_u32 s1, s1, s26
	s_addc_u32 s11, s20, 0
	s_mul_i32 s5, s25, s5
	s_add_u32 s1, s1, s5
	s_addc_u32 s5, 0, s11
	s_mul_i32 s5, s9, s5
	s_mul_hi_u32 s20, s9, s1
	s_add_i32 s20, s20, s5
	s_mul_i32 s5, s9, s1
	v_mov_b32_e32 v0, s5
	s_add_u32 s11, s1, 1
	s_add_u32 s14, s1, 2
	v_sub_co_u32_e32 v0, vcc, s24, v0
	s_cmp_lg_u64 vcc, 0
	s_subb_u32 s5, s25, s20
	v_subrev_co_u32_e32 v1, vcc, s9, v0
	s_cmp_lg_u64 vcc, 0
	s_subb_u32 s20, s5, 0
	v_cmp_le_u32_e32 vcc, s9, v1
	s_cmp_eq_u32 s20, 0
	v_cndmask_b32_e64 v1, 0, -1, vcc
	s_cselect_b64 vcc, -1, 0
	v_cndmask_b32_e32 v1, -1, v1, vcc
	v_mov_b32_e32 v13, s11
	v_mov_b32_e32 v14, s14
	v_cmp_ne_u32_e32 vcc, 0, v1
	v_cndmask_b32_e32 v1, v13, v14, vcc
	v_cmp_le_u32_e32 vcc, s9, v0
	s_cmp_eq_u32 s5, 0
	v_cndmask_b32_e64 v0, 0, -1, vcc
	s_cselect_b64 vcc, -1, 0
	v_cndmask_b32_e32 v0, -1, v0, vcc
	v_mov_b32_e32 v13, s1
	v_cmp_ne_u32_e32 vcc, 0, v0
	v_cndmask_b32_e32 v0, v13, v1, vcc
	v_xor_b32_e32 v0, s0, v0
	v_subrev_co_u32_e32 v0, vcc, s0, v0
	s_cbranch_execnz .LBB58_11
.LBB58_10:
	s_sub_i32 s0, 0, s9
	v_mul_lo_u32 v0, s0, v11
	v_mul_hi_u32 v0, v11, v0
	v_add_u32_e32 v0, v11, v0
	v_mul_hi_u32 v0, s4, v0
	v_mul_lo_u32 v13, v0, s9
	v_sub_u32_e32 v13, s4, v13
	v_add_u32_e32 v1, 1, v0
	v_subrev_u32_e32 v14, s9, v13
	v_cmp_le_u32_e32 vcc, s9, v13
	v_cndmask_b32_e32 v13, v13, v14, vcc
	v_cndmask_b32_e32 v0, v0, v1, vcc
	v_add_u32_e32 v1, 1, v0
	v_cmp_le_u32_e32 vcc, s9, v13
	v_cndmask_b32_e32 v0, v0, v1, vcc
.LBB58_11:
	v_cmp_ne_u32_e32 vcc, v8, v0
	s_cbranch_vccz .LBB58_14
; %bb.12:
	s_add_i32 s0, s8, s9
	s_lshl_b32 s0, s0, 5
	v_mul_hi_u32 v1, v0, s16
	s_add_i32 s0, s0, s21
	s_mov_b32 s1, s10
	v_add_u32_e32 v1, v1, v0
	s_lshl_b64 s[0:1], s[0:1], 3
	v_lshrrev_b32_e32 v1, s17, v1
	s_add_u32 s4, s2, s0
	v_mul_lo_u32 v13, v1, s18
	s_addc_u32 s5, s3, s1
	v_cmp_eq_u32_e32 vcc, v13, v0
	v_cmp_gt_u32_e64 s[0:1], s19, v1
	s_or_b64 s[0:1], s[0:1], vcc
	s_and_b64 vcc, exec, s[0:1]
	s_cbranch_vccnz .LBB58_16
; %bb.13:
	s_add_i32 s11, s8, -1
	s_mov_b64 s[0:1], 0
	s_branch .LBB58_17
.LBB58_14:
                                        ; implicit-def: $sgpr0_sgpr1
                                        ; implicit-def: $vgpr14
                                        ; implicit-def: $vgpr1
                                        ; implicit-def: $vgpr13
                                        ; implicit-def: $sgpr11
                                        ; implicit-def: $vgpr0
	s_branch .LBB58_18
.LBB58_15:
                                        ; implicit-def: $vgpr0_vgpr1
	s_branch .LBB58_10
.LBB58_16:
	s_mov_b64 s[0:1], -1
	s_mov_b32 s11, s8
	v_mov_b32_e32 v0, v8
.LBB58_17:
	v_lshl_add_u32 v14, s8, 12, v4
	v_ashrrev_i32_e32 v15, 31, v14
	v_lshlrev_b64 v[14:15], 2, v[14:15]
	v_mov_b32_e32 v1, s23
	v_add_co_u32_e32 v14, vcc, s22, v14
	v_addc_co_u32_e32 v15, vcc, v1, v15, vcc
	global_load_dword v14, v[14:15], off
	s_load_dwordx2 s[4:5], s[4:5], 0x0
	v_max_f32_e32 v1, v7, v7
	s_waitcnt lgkmcnt(0)
	v_max_f32_e64 v13, s4, s4
	v_max_f32_e32 v1, v1, v13
	v_sub_f32_e32 v13, v7, v1
	v_sub_f32_e32 v15, s4, v1
	v_mul_f32_e32 v16, 0x3fb8aa3b, v13
	v_mul_f32_e32 v17, 0x3fb8aa3b, v15
	v_fma_f32 v18, v13, s6, -v16
	v_rndne_f32_e32 v19, v16
	v_fma_f32 v20, v15, s6, -v17
	v_rndne_f32_e32 v21, v17
	v_fmac_f32_e32 v18, 0x32a5705f, v13
	v_sub_f32_e32 v16, v16, v19
	v_fmac_f32_e32 v20, 0x32a5705f, v15
	v_sub_f32_e32 v17, v17, v21
	v_add_f32_e32 v16, v16, v18
	v_cvt_i32_f32_e32 v19, v19
	v_add_f32_e32 v17, v17, v20
	v_exp_f32_e32 v16, v16
	v_cvt_i32_f32_e32 v21, v21
	v_exp_f32_e32 v17, v17
	v_cmp_ngt_f32_e32 vcc, s7, v13
	v_ldexp_f32 v16, v16, v19
	v_cndmask_b32_e32 v16, 0, v16, vcc
	v_ldexp_f32 v17, v17, v21
	v_cmp_ngt_f32_e32 vcc, s7, v15
	v_cndmask_b32_e32 v17, 0, v17, vcc
	v_cmp_nlt_f32_e32 vcc, s12, v13
	v_cndmask_b32_e32 v16, v12, v16, vcc
	v_cmp_nlt_f32_e32 vcc, s12, v15
	v_cndmask_b32_e32 v17, v12, v17, vcc
	v_cmp_le_f32_e32 vcc, s13, v13
	v_cndmask_b32_e32 v16, 0, v16, vcc
	v_cmp_le_f32_e32 vcc, s13, v15
	v_cndmask_b32_e32 v15, 0, v17, vcc
	v_mul_f32_e32 v13, s5, v15
	v_fmac_f32_e32 v13, v6, v16
	s_waitcnt vmcnt(0)
	v_mul_f32_e32 v14, v14, v15
	v_fmac_f32_e32 v14, v5, v16
	s_cbranch_execnz .LBB58_19
.LBB58_18:
	s_add_i32 s11, s8, -1
	s_mov_b64 s[0:1], 0
	v_mov_b32_e32 v0, v8
	v_mov_b32_e32 v13, v6
	;; [unrolled: 1-line block ×3, first 2 shown]
	s_waitcnt vmcnt(0)
	v_mov_b32_e32 v14, v5
.LBB58_19:
	s_andn2_b64 vcc, exec, s[0:1]
	s_cbranch_vccz .LBB58_23
; %bb.20:
	v_mov_b32_e32 v8, v0
	s_mov_b32 s8, s11
	v_mov_b32_e32 v6, v13
	v_mov_b32_e32 v7, v1
	s_waitcnt vmcnt(0)
	v_mov_b32_e32 v5, v14
	s_mul_hi_i32 s11, s8, s15
	s_cmp_lg_u64 s[10:11], 0
	s_mul_i32 s4, s8, s15
	s_cbranch_scc1 .LBB58_9
	s_branch .LBB58_15
.LBB58_21:
                                        ; implicit-def: $sgpr20_sgpr21
	s_load_dwordx4 s[16:19], s[4:5], 0x44
	s_branch .LBB58_2
.LBB58_22:
                                        ; implicit-def: $vgpr2_vgpr3
	s_branch .LBB58_5
.LBB58_23:
	v_div_scale_f32 v0, s[0:1], v13, v13, v14
	v_rcp_f32_e32 v1, v0
	v_div_scale_f32 v4, vcc, v14, v13, v14
	s_waitcnt vmcnt(0)
	v_fma_f32 v5, -v0, v1, 1.0
	v_fmac_f32_e32 v1, v5, v1
	v_mul_f32_e32 v5, v4, v1
	v_fma_f32 v6, -v0, v5, v4
	v_fmac_f32_e32 v5, v6, v1
	v_fma_f32 v0, -v0, v5, v4
	v_div_fmas_f32 v0, v0, v1, v5
	v_div_fixup_f32 v0, v0, v13, v14
	global_store_dword v[2:3], v0, off
.LBB58_24:
	s_endpgm
	.section	.rodata,"a",@progbits
	.p2align	6, 0x0
	.amdhsa_kernel _ZL33flash_attn_stream_k_fixup_generalILi128ELi32ELi1EEvPfPK15HIP_vector_typeIfLj2EEiiiiS1_IjLj3EES5_S5_S5_
		.amdhsa_group_segment_fixed_size 0
		.amdhsa_private_segment_fixed_size 0
		.amdhsa_kernarg_size 336
		.amdhsa_user_sgpr_count 6
		.amdhsa_user_sgpr_private_segment_buffer 1
		.amdhsa_user_sgpr_dispatch_ptr 0
		.amdhsa_user_sgpr_queue_ptr 0
		.amdhsa_user_sgpr_kernarg_segment_ptr 1
		.amdhsa_user_sgpr_dispatch_id 0
		.amdhsa_user_sgpr_flat_scratch_init 0
		.amdhsa_user_sgpr_kernarg_preload_length 0
		.amdhsa_user_sgpr_kernarg_preload_offset 0
		.amdhsa_user_sgpr_private_segment_size 0
		.amdhsa_uses_dynamic_stack 0
		.amdhsa_system_sgpr_private_segment_wavefront_offset 0
		.amdhsa_system_sgpr_workgroup_id_x 1
		.amdhsa_system_sgpr_workgroup_id_y 1
		.amdhsa_system_sgpr_workgroup_id_z 1
		.amdhsa_system_sgpr_workgroup_info 0
		.amdhsa_system_vgpr_workitem_id 0
		.amdhsa_next_free_vgpr 22
		.amdhsa_next_free_sgpr 32
		.amdhsa_accum_offset 24
		.amdhsa_reserve_vcc 1
		.amdhsa_reserve_flat_scratch 0
		.amdhsa_float_round_mode_32 0
		.amdhsa_float_round_mode_16_64 0
		.amdhsa_float_denorm_mode_32 3
		.amdhsa_float_denorm_mode_16_64 3
		.amdhsa_dx10_clamp 1
		.amdhsa_ieee_mode 1
		.amdhsa_fp16_overflow 0
		.amdhsa_tg_split 0
		.amdhsa_exception_fp_ieee_invalid_op 0
		.amdhsa_exception_fp_denorm_src 0
		.amdhsa_exception_fp_ieee_div_zero 0
		.amdhsa_exception_fp_ieee_overflow 0
		.amdhsa_exception_fp_ieee_underflow 0
		.amdhsa_exception_fp_ieee_inexact 0
		.amdhsa_exception_int_div_zero 0
	.end_amdhsa_kernel
	.section	.text._ZL33flash_attn_stream_k_fixup_generalILi128ELi32ELi1EEvPfPK15HIP_vector_typeIfLj2EEiiiiS1_IjLj3EES5_S5_S5_,"axG",@progbits,_ZL33flash_attn_stream_k_fixup_generalILi128ELi32ELi1EEvPfPK15HIP_vector_typeIfLj2EEiiiiS1_IjLj3EES5_S5_S5_,comdat
.Lfunc_end58:
	.size	_ZL33flash_attn_stream_k_fixup_generalILi128ELi32ELi1EEvPfPK15HIP_vector_typeIfLj2EEiiiiS1_IjLj3EES5_S5_S5_, .Lfunc_end58-_ZL33flash_attn_stream_k_fixup_generalILi128ELi32ELi1EEvPfPK15HIP_vector_typeIfLj2EEiiiiS1_IjLj3EES5_S5_S5_
                                        ; -- End function
	.section	.AMDGPU.csdata,"",@progbits
; Kernel info:
; codeLenInByte = 2816
; NumSgprs: 36
; NumVgprs: 22
; NumAgprs: 0
; TotalNumVgprs: 22
; ScratchSize: 0
; MemoryBound: 0
; FloatMode: 240
; IeeeMode: 1
; LDSByteSize: 0 bytes/workgroup (compile time only)
; SGPRBlocks: 4
; VGPRBlocks: 2
; NumSGPRsForWavesPerEU: 36
; NumVGPRsForWavesPerEU: 22
; AccumOffset: 24
; Occupancy: 8
; WaveLimiterHint : 0
; COMPUTE_PGM_RSRC2:SCRATCH_EN: 0
; COMPUTE_PGM_RSRC2:USER_SGPR: 6
; COMPUTE_PGM_RSRC2:TRAP_HANDLER: 0
; COMPUTE_PGM_RSRC2:TGID_X_EN: 1
; COMPUTE_PGM_RSRC2:TGID_Y_EN: 1
; COMPUTE_PGM_RSRC2:TGID_Z_EN: 1
; COMPUTE_PGM_RSRC2:TIDIG_COMP_CNT: 0
; COMPUTE_PGM_RSRC3_GFX90A:ACCUM_OFFSET: 5
; COMPUTE_PGM_RSRC3_GFX90A:TG_SPLIT: 0
	.section	.text._ZL15flash_attn_tileILi128ELi128ELi16ELi1ELb0EEvPKcS1_S1_S1_S1_PKiPfP15HIP_vector_typeIfLj2EEffffjfiS5_IjLj3EEiiiiiiiiiiiliiliiiiil,"axG",@progbits,_ZL15flash_attn_tileILi128ELi128ELi16ELi1ELb0EEvPKcS1_S1_S1_S1_PKiPfP15HIP_vector_typeIfLj2EEffffjfiS5_IjLj3EEiiiiiiiiiiiliiliiiiil,comdat
	.globl	_ZL15flash_attn_tileILi128ELi128ELi16ELi1ELb0EEvPKcS1_S1_S1_S1_PKiPfP15HIP_vector_typeIfLj2EEffffjfiS5_IjLj3EEiiiiiiiiiiiliiliiiiil ; -- Begin function _ZL15flash_attn_tileILi128ELi128ELi16ELi1ELb0EEvPKcS1_S1_S1_S1_PKiPfP15HIP_vector_typeIfLj2EEffffjfiS5_IjLj3EEiiiiiiiiiiiliiliiiiil
	.p2align	8
	.type	_ZL15flash_attn_tileILi128ELi128ELi16ELi1ELb0EEvPKcS1_S1_S1_S1_PKiPfP15HIP_vector_typeIfLj2EEffffjfiS5_IjLj3EEiiiiiiiiiiiliiliiiiil,@function
_ZL15flash_attn_tileILi128ELi128ELi16ELi1ELb0EEvPKcS1_S1_S1_S1_PKiPfP15HIP_vector_typeIfLj2EEffffjfiS5_IjLj3EEiiiiiiiiiiiliiliiiiil: ; @_ZL15flash_attn_tileILi128ELi128ELi16ELi1ELb0EEvPKcS1_S1_S1_S1_PKiPfP15HIP_vector_typeIfLj2EEffffjfiS5_IjLj3EEiiiiiiiiiiiliiliiiiil
; %bb.0:
	s_load_dwordx4 s[28:31], s[6:7], 0x5c
	s_load_dwordx2 s[42:43], s[6:7], 0x80
	s_load_dwordx16 s[12:27], s[6:7], 0x0
	s_load_dwordx2 s[44:45], s[6:7], 0xb8
	s_mov_b64 s[40:41], 0
	s_waitcnt lgkmcnt(0)
	v_cvt_f32_u32_e32 v1, s31
	s_sub_i32 s0, 0, s31
	v_rcp_iflag_f32_e32 v1, v1
	v_mul_f32_e32 v1, 0x4f7ffffe, v1
	v_cvt_u32_f32_e32 v1, v1
	v_readfirstlane_b32 s1, v1
	s_mul_i32 s0, s0, s1
	s_mul_hi_u32 s0, s1, s0
	s_add_i32 s1, s1, s0
	s_mul_hi_u32 s0, s10, s1
	s_mul_i32 s1, s0, s31
	s_sub_i32 s1, s10, s1
	s_add_i32 s2, s0, 1
	s_sub_i32 s3, s1, s31
	s_cmp_ge_u32 s1, s31
	s_cselect_b32 s0, s2, s0
	s_cselect_b32 s1, s3, s1
	s_add_i32 s2, s0, 1
	s_cmp_ge_u32 s1, s31
	s_cselect_b32 s33, s2, s0
	s_abs_i32 s0, s43
	v_cvt_f32_u32_e32 v1, s0
	s_mul_i32 s3, s33, s31
	s_sub_i32 s11, 0, s0
	s_sub_i32 s34, s10, s3
	v_rcp_iflag_f32_e32 v1, v1
	s_abs_i32 s2, s31
	s_xor_b32 s1, s31, s43
	s_ashr_i32 s1, s1, 31
	v_mul_f32_e32 v1, 0x4f7ffffe, v1
	v_cvt_u32_f32_e32 v1, v1
	v_readfirstlane_b32 s3, v1
	s_mul_i32 s11, s11, s3
	s_mul_hi_u32 s10, s3, s11
	s_add_i32 s3, s3, s10
	s_mul_hi_u32 s3, s2, s3
	s_mul_i32 s10, s3, s0
	s_sub_i32 s2, s2, s10
	s_add_i32 s11, s3, 1
	s_sub_i32 s10, s2, s0
	s_cmp_ge_u32 s2, s0
	s_cselect_b32 s3, s11, s3
	s_cselect_b32 s2, s10, s2
	s_add_i32 s10, s3, 1
	s_cmp_ge_u32 s2, s0
	s_cselect_b32 s0, s10, s3
	s_xor_b32 s0, s0, s1
	s_sub_i32 s47, s0, s1
	s_abs_i32 s43, s47
	v_cvt_f32_u32_e32 v1, s43
	s_sub_i32 s0, 0, s43
	s_abs_i32 s46, s34
	v_rcp_iflag_f32_e32 v1, v1
	v_mul_f32_e32 v1, 0x4f7ffffe, v1
	v_cvt_u32_f32_e32 v1, v1
	v_readfirstlane_b32 s1, v1
	s_mul_i32 s0, s0, s1
	s_mul_hi_u32 s0, s1, s0
	s_add_i32 s0, s1, s0
	s_cmp_eq_u64 s[18:19], 0
	s_cbranch_scc1 .LBB59_2
; %bb.1:
	s_abs_i32 s1, s44
	v_cvt_f32_u32_e32 v1, s1
	s_sub_i32 s35, 0, s1
	s_abs_i32 s11, s33
	s_ashr_i32 s10, s33, 31
	v_rcp_iflag_f32_e32 v1, v1
	s_load_dwordx2 s[2:3], s[6:7], 0xc8
	v_mul_f32_e32 v1, 0x4f7ffffe, v1
	v_cvt_u32_f32_e32 v1, v1
	v_readfirstlane_b32 s36, v1
	s_mul_i32 s35, s35, s36
	s_mul_hi_u32 s35, s36, s35
	s_add_i32 s36, s36, s35
	s_mul_hi_u32 s35, s11, s36
	s_mul_i32 s35, s35, s1
	s_sub_i32 s11, s11, s35
	s_sub_i32 s35, s11, s1
	s_cmp_ge_u32 s11, s1
	s_cselect_b32 s11, s35, s11
	s_sub_i32 s35, s11, s1
	s_cmp_ge_u32 s11, s1
	s_cselect_b32 s1, s35, s11
	s_xor_b32 s1, s1, s10
	s_sub_i32 s1, s1, s10
	s_ashr_i32 s10, s1, 31
	s_waitcnt lgkmcnt(0)
	s_mul_i32 s3, s1, s3
	s_mul_hi_u32 s11, s1, s2
	s_add_i32 s3, s11, s3
	s_mul_i32 s10, s10, s2
	s_add_i32 s3, s3, s10
	s_mul_i32 s1, s1, s2
	s_add_u32 s40, s18, s1
	s_addc_u32 s41, s19, s3
.LBB59_2:
	s_load_dwordx4 s[36:39], s[6:7], 0x40
	s_mul_hi_u32 s18, s46, s0
	s_load_dword s0, s[6:7], 0x50
	v_mov_b32_e32 v42, 1.0
	s_waitcnt lgkmcnt(0)
	v_cmp_le_f32_e64 s[2:3], s37, 0
	s_and_b64 vcc, exec, s[2:3]
	s_cbranch_vccnz .LBB59_4
; %bb.3:
	s_sub_i32 s1, s34, s0
	s_lshl_b32 s1, s1, 1
	s_add_i32 s2, s34, 1
	s_or_b32 s3, s1, 1
	s_cmp_lt_u32 s34, s0
	s_cselect_b64 vcc, -1, 0
	s_and_b64 s[0:1], vcc, exec
	v_mov_b32_e32 v1, s39
	v_mov_b32_e32 v2, s38
	s_cselect_b32 s0, s2, s3
	v_cndmask_b32_e32 v18, v1, v2, vcc
	v_cvt_f32_i32_e32 v1, s0
	v_cmp_neq_f32_e32 vcc, 1.0, v18
	s_mov_b32 s0, 0x3f2aaaab
	s_movk_i32 s2, 0x204
	v_cndmask_b32_e32 v19, 1.0, v1, vcc
	v_cmp_eq_f32_e32 vcc, 0, v19
	v_cndmask_b32_e64 v20, |v18|, 1.0, vcc
	v_frexp_mant_f32_e32 v1, v20
	v_cmp_gt_f32_e64 s[0:1], s0, v1
	v_cndmask_b32_e64 v2, 1.0, 2.0, s[0:1]
	v_mul_f32_e32 v1, v1, v2
	v_add_f32_e32 v2, 1.0, v1
	v_rcp_f32_e32 v10, v2
	v_add_f32_e32 v3, -1.0, v2
	v_sub_f32_e32 v5, v1, v3
	v_add_f32_e32 v3, -1.0, v1
	v_mul_f32_e32 v1, v3, v10
	v_mul_f32_e32 v4, v2, v1
	v_fma_f32 v6, v1, v2, -v4
	v_fmac_f32_e32 v6, v1, v5
	v_add_f32_e32 v2, v4, v6
	v_sub_f32_e32 v5, v3, v2
	v_pk_add_f32 v[8:9], v[2:3], v[4:5] neg_lo:[0,1] neg_hi:[0,1]
	v_mov_b32_e32 v7, v2
	v_pk_add_f32 v[2:3], v[8:9], v[6:7] neg_lo:[0,1] neg_hi:[0,1]
	v_add_f32_e32 v2, v2, v3
	v_add_f32_e32 v2, v5, v2
	v_mul_f32_e32 v3, v10, v2
	v_add_f32_e32 v2, v1, v3
	v_sub_f32_e32 v1, v2, v1
	v_sub_f32_e32 v1, v3, v1
	v_mul_f32_e32 v3, v2, v2
	v_fma_f32 v5, v2, v2, -v3
	v_add_f32_e32 v4, v1, v1
	v_fmac_f32_e32 v5, v2, v4
	v_add_f32_e32 v4, v3, v5
	v_mov_b32_e32 v6, 0x3e91f4c4
	v_fmac_f32_e32 v6, 0x3e76c4e1, v4
	v_mov_b32_e32 v7, 0x3ecccdef
	v_fmac_f32_e32 v7, v4, v6
	v_sub_f32_e32 v3, v4, v3
	v_sub_f32_e32 v12, v5, v3
	v_mul_f32_e32 v3, v4, v7
	v_fma_f32 v5, v4, v7, -v3
	v_fmac_f32_e32 v5, v12, v7
	v_add_f32_e32 v6, v3, v5
	v_add_f32_e32 v7, 0x3f2aaaaa, v6
	v_sub_f32_e32 v3, v6, v3
	v_sub_f32_e32 v3, v5, v3
	v_add_f32_e32 v5, 0xbf2aaaaa, v7
	v_add_f32_e32 v3, 0x31739010, v3
	v_sub_f32_e32 v5, v6, v5
	v_pk_mul_f32 v[8:9], v[2:3], v[4:5]
	v_fma_f32 v6, v4, v2, -v8
	v_pk_add_f32 v[10:11], v[2:3], v[4:5]
	v_fmac_f32_e32 v6, v4, v1
	v_mov_b32_e32 v9, v11
	v_fmac_f32_e32 v6, v12, v2
	v_pk_add_f32 v[4:5], v[8:9], v[6:7]
	v_sub_f32_e32 v3, v4, v8
	v_sub_f32_e32 v3, v6, v3
	v_sub_f32_e32 v6, v7, v5
	v_add_f32_e32 v9, v11, v6
	v_mov_b32_e32 v6, v5
	v_pk_mul_f32 v[6:7], v[4:5], v[6:7]
	v_cvt_f64_f32_e32 v[10:11], v20
	v_frexp_exp_i32_f64_e32 v7, v[10:11]
	v_subbrev_co_u32_e64 v7, s[0:1], 0, v7, s[0:1]
	v_cvt_f32_i32_e32 v7, v7
	v_fma_f32 v8, v4, v5, -v6
	v_fmac_f32_e32 v8, v4, v9
	s_mov_b32 s0, 0x3f317218
	v_mul_f32_e32 v4, 0x3f317218, v7
	v_fmac_f32_e32 v8, v3, v5
	v_fma_f32 v10, v7, s0, -v4
	v_fmac_f32_e32 v10, 0xb102e308, v7
	v_ldexp_f32 v11, v2, 1
	v_add_f32_e32 v5, v6, v8
	v_pk_add_f32 v[2:3], v[4:5], v[10:11]
	v_mov_b32_e32 v12, v5
	v_mov_b32_e32 v13, v3
	;; [unrolled: 1-line block ×3, first 2 shown]
	v_pk_add_f32 v[6:7], v[12:13], v[6:7] neg_lo:[0,1] neg_hi:[0,1]
	v_mov_b32_e32 v9, v5
	v_ldexp_f32 v1, v1, 1
	v_pk_add_f32 v[6:7], v[8:9], v[6:7] neg_lo:[0,1] neg_hi:[0,1]
	v_add_f32_e32 v1, v1, v6
	v_add_f32_e32 v5, v1, v7
	v_pk_add_f32 v[6:7], v[2:3], v[4:5] neg_lo:[0,1] neg_hi:[0,1]
	v_pk_add_f32 v[8:9], v[2:3], v[4:5]
	v_mov_b32_e32 v12, v6
	v_mov_b32_e32 v13, v9
	;; [unrolled: 1-line block ×3, first 2 shown]
	v_pk_add_f32 v[12:13], v[10:11], v[12:13]
	v_mov_b32_e32 v4, v13
	v_pk_add_f32 v[14:15], v[4:5], v[2:3] neg_lo:[0,1] neg_hi:[0,1]
	v_mov_b32_e32 v1, v14
	v_mov_b32_e32 v12, v9
	;; [unrolled: 1-line block ×4, first 2 shown]
	v_pk_add_f32 v[6:7], v[10:11], v[6:7] neg_lo:[0,1] neg_hi:[0,1]
	v_pk_add_f32 v[16:17], v[8:9], v[0:1] neg_lo:[0,1] neg_hi:[0,1]
	;; [unrolled: 1-line block ×3, first 2 shown]
	v_mov_b32_e32 v10, v5
	v_pk_add_f32 v[2:3], v[10:11], v[2:3] neg_lo:[0,1] neg_hi:[0,1]
	v_mov_b32_e32 v16, v6
	v_pk_add_f32 v[8:9], v[16:17], v[2:3]
	v_mov_b32_e32 v10, v9
	v_pk_add_f32 v[10:11], v[8:9], v[10:11]
	v_pk_add_f32 v[4:5], v[4:5], v[10:11]
	v_mov_b32_e32 v7, v13
	v_mov_b32_e32 v9, v4
	v_pk_add_f32 v[12:13], v[8:9], v[6:7] neg_lo:[0,1] neg_hi:[0,1]
	v_mov_b32_e32 v3, v10
	v_sub_f32_e32 v1, v8, v12
	v_pk_add_f32 v[2:3], v[2:3], v[12:13] neg_lo:[0,1] neg_hi:[0,1]
	v_sub_f32_e32 v1, v6, v1
	v_add_f32_e32 v1, v2, v1
	v_add_f32_e32 v1, v1, v3
	;; [unrolled: 1-line block ×3, first 2 shown]
	v_sub_f32_e32 v3, v2, v4
	v_sub_f32_e32 v1, v1, v3
	v_mul_f32_e32 v3, v19, v2
	v_fma_f32 v2, v19, v2, -v3
	v_fmac_f32_e32 v2, v19, v1
	v_add_f32_e32 v1, v3, v2
	v_cmp_class_f32_e64 s[0:1], v3, s2
	v_sub_f32_e32 v4, v1, v3
	v_cndmask_b32_e64 v1, v1, v3, s[0:1]
	s_mov_b32 s10, 0x42b17218
	v_mov_b32_e32 v3, 0x37000000
	v_cmp_eq_f32_e64 s[0:1], s10, v1
	v_cndmask_b32_e64 v3, 0, v3, s[0:1]
	v_sub_f32_e32 v2, v2, v4
	v_sub_f32_e32 v4, v1, v3
	s_mov_b32 s0, 0x3fb8aa3b
	v_mul_f32_e32 v5, 0x3fb8aa3b, v4
	v_fma_f32 v6, v4, s0, -v5
	v_rndne_f32_e32 v7, v5
	v_fmac_f32_e32 v6, 0x32a5705f, v4
	v_sub_f32_e32 v5, v5, v7
	v_add_f32_e32 v5, v5, v6
	v_exp_f32_e32 v5, v5
	v_cvt_i32_f32_e32 v6, v7
	s_mov_b32 s3, 0x7f800000
	v_cmp_neq_f32_e64 s[0:1], |v1|, s3
	v_cndmask_b32_e64 v1, 0, v2, s[0:1]
	s_mov_b32 s0, 0xc2ce8ed0
	v_ldexp_f32 v2, v5, v6
	v_cmp_ngt_f32_e64 s[0:1], s0, v4
	v_add_f32_e32 v1, v3, v1
	v_cndmask_b32_e64 v2, 0, v2, s[0:1]
	v_mov_b32_e32 v3, 0x7f800000
	v_cmp_nlt_f32_e64 s[0:1], s10, v4
	v_cndmask_b32_e64 v2, v3, v2, s[0:1]
	v_fma_f32 v1, v2, v1, v2
	v_cmp_class_f32_e64 s[0:1], v2, s2
	v_trunc_f32_e32 v4, v19
	v_cndmask_b32_e64 v1, v1, v2, s[0:1]
	v_cndmask_b32_e64 v2, v18, 1.0, vcc
	v_cmp_eq_f32_e32 vcc, v4, v19
	v_mul_f32_e32 v4, 0.5, v19
	v_trunc_f32_e32 v6, v4
	v_cmp_neq_f32_e64 s[0:1], v6, v4
	s_and_b64 s[0:1], vcc, s[0:1]
	v_cndmask_b32_e64 v4, 1.0, v2, s[0:1]
	s_brev_b32 s19, -2
	v_mov_b32_e32 v5, 0x7fc00000
	v_bfi_b32 v1, s19, v1, v4
	v_cndmask_b32_e32 v4, v5, v1, vcc
	v_cmp_gt_f32_e32 vcc, 0, v2
	v_cndmask_b32_e32 v1, v1, v4, vcc
	v_cmp_eq_f32_e32 vcc, s3, v20
	v_cmp_eq_f32_e64 s[2:3], 0, v2
	v_cmp_gt_f32_e64 s[10:11], 0, v19
	s_xor_b64 s[10:11], s[10:11], s[2:3]
	v_cndmask_b32_e64 v3, v3, 0, s[10:11]
	v_cndmask_b32_e64 v4, 0, v2, s[0:1]
	v_bfi_b32 v3, s19, v3, v4
	s_or_b64 vcc, vcc, s[2:3]
	v_cndmask_b32_e32 v1, v1, v3, vcc
	v_cmp_o_f32_e32 vcc, v2, v2
	v_cndmask_b32_e32 v42, v5, v1, vcc
.LBB59_4:
	s_load_dwordx4 s[48:51], s[6:7], 0x70
	s_ashr_i32 s35, s34, 31
	s_ashr_i32 s0, s47, 31
	s_lshl_b32 s38, s8, 4
	v_bfe_u32 v39, v0, 10, 10
	s_waitcnt lgkmcnt(0)
	s_mul_i32 s1, s33, s50
	s_ashr_i32 s2, s1, 31
	s_add_u32 s1, s12, s1
	s_mul_i32 s3, s34, s49
	v_and_b32_e32 v32, 0x3ff, v0
	s_addc_u32 s2, s13, s2
	s_ashr_i32 s10, s3, 31
	v_lshlrev_b32_e32 v33, 1, v39
	s_add_u32 s1, s1, s3
	v_lshlrev_b32_e32 v1, 4, v32
	v_add_u32_e32 v35, s38, v33
	v_add_co_u32_e32 v10, vcc, s1, v1
	v_mul_hi_u32 v1, v35, s28
	v_or_b32_e32 v30, 1, v33
	s_addc_u32 s2, s2, s10
	v_add_u32_e32 v1, v35, v1
	v_add_u32_e32 v31, s38, v30
	v_mov_b32_e32 v2, s2
	v_lshrrev_b32_e32 v1, s29, v1
	v_mul_hi_u32 v7, v31, s28
	s_ashr_i32 s10, s48, 31
	v_addc_co_u32_e32 v11, vcc, 0, v2, vcc
	v_mul_lo_u32 v1, v1, s30
	v_mov_b32_e32 v2, s48
	v_add_u32_e32 v7, v31, v7
	v_sub_u32_e32 v1, v35, v1
	v_alignbit_b32 v6, s10, v2, 2
	v_lshrrev_b32_e32 v7, s29, v7
	v_mad_u64_u32 v[2:3], s[2:3], v6, v1, 0
	v_mul_lo_u32 v7, v7, s30
	v_mov_b32_e32 v4, v3
	s_lshr_b32 s1, s10, 2
	v_sub_u32_e32 v9, v31, v7
	v_mad_u64_u32 v[4:5], s[2:3], s1, v1, v[4:5]
	v_mad_u64_u32 v[6:7], s[2:3], v6, v9, 0
	v_mov_b32_e32 v3, v4
	v_mov_b32_e32 v8, v7
	v_lshlrev_b64 v[2:3], 2, v[2:3]
	v_mad_u64_u32 v[8:9], s[2:3], s1, v9, v[8:9]
	v_add_co_u32_e32 v2, vcc, v10, v2
	v_mov_b32_e32 v7, v8
	v_addc_co_u32_e32 v3, vcc, v11, v3, vcc
	v_lshlrev_b64 v[6:7], 2, v[6:7]
	v_add_co_u32_e32 v6, vcc, v10, v6
	global_load_dwordx4 v[2:5], v[2:3], off
	v_addc_co_u32_e32 v7, vcc, v11, v7, vcc
	global_load_dwordx4 v[6:9], v[6:7], off
	v_lshlrev_b32_e32 v10, 1, v32
	v_lshlrev_b32_e32 v11, 7, v39
	;; [unrolled: 1-line block ×3, first 2 shown]
	v_add_lshl_u32 v11, v11, v10, 2
	v_add_lshl_u32 v10, v12, v10, 2
	s_cmp_eq_u64 s[22:23], 0
	s_waitcnt vmcnt(1)
	v_pk_mul_f32 v[2:3], v[2:3], s[36:37] op_sel_hi:[1,0]
	v_pk_mul_f32 v[4:5], v[4:5], s[36:37] op_sel_hi:[1,0]
	v_cvt_f16_f32_e32 v12, v3
	s_waitcnt vmcnt(0)
	v_pk_mul_f32 v[6:7], v[6:7], s[36:37] op_sel_hi:[1,0]
	v_pk_mul_f32 v[8:9], v[8:9], s[36:37] op_sel_hi:[1,0]
	v_cvt_f16_f32_e32 v2, v2
	v_cvt_f16_f32_e32 v3, v5
	;; [unrolled: 1-line block ×7, first 2 shown]
	v_pack_b32_f16 v3, v4, v3
	v_pack_b32_f16 v2, v2, v12
	;; [unrolled: 1-line block ×4, first 2 shown]
	ds_write_b64 v11, v[2:3] offset:17408
	ds_write_b64 v10, v[4:5] offset:17408
	s_waitcnt lgkmcnt(0)
	s_barrier
	s_cbranch_scc1 .LBB59_6
; %bb.5:
	s_load_dword s1, s[6:7], 0xd0
	s_mov_b32 s3, 0
	s_waitcnt lgkmcnt(0)
	s_mul_i32 s1, s1, s33
	s_add_i32 s2, s1, s8
	s_lshl_b64 s[2:3], s[2:3], 2
	s_add_u32 s2, s22, s2
	s_addc_u32 s3, s23, s3
	s_load_dword s42, s[2:3], 0x0
.LBB59_6:
	s_nop 0
	s_load_dwordx2 s[2:3], s[6:7], 0x8c
	s_load_dwordx4 s[48:51], s[6:7], 0x98
	s_ashr_i32 s1, s33, 31
	s_ashr_i32 s37, s45, 1
	s_mul_i32 s12, s18, s43
	s_waitcnt lgkmcnt(0)
	s_ashr_i32 s10, s2, 2
	s_mul_i32 s2, s33, s49
	s_mul_hi_u32 s11, s33, s48
	s_add_i32 s2, s11, s2
	s_mul_i32 s11, s1, s48
	s_ashr_i32 s8, s50, 2
	s_add_i32 s2, s2, s11
	s_mul_i32 s11, s33, s48
	s_add_u32 s11, s14, s11
	s_addc_u32 s2, s15, s2
	s_sub_i32 s12, s46, s12
	s_xor_b32 s0, s35, s0
	s_add_i32 s13, s18, 1
	s_sub_i32 s14, s12, s43
	s_cmp_ge_u32 s12, s43
	s_cselect_b32 s13, s13, s18
	s_cselect_b32 s12, s14, s12
	s_add_i32 s14, s13, 1
	s_cmp_ge_u32 s12, s43
	s_cselect_b32 s12, s14, s13
	s_load_dwordx2 s[22:23], s[6:7], 0xa8
	s_xor_b32 s12, s12, s0
	s_sub_i32 s0, s12, s0
	s_mul_i32 s3, s0, s3
	s_ashr_i32 s12, s3, 31
	s_add_u32 s11, s11, s3
	s_addc_u32 s12, s2, s12
	s_waitcnt lgkmcnt(0)
	s_mul_i32 s2, s33, s23
	s_mul_hi_u32 s3, s33, s22
	s_add_i32 s2, s3, s2
	s_mul_i32 s1, s1, s22
	s_add_i32 s2, s2, s1
	s_mul_i32 s1, s33, s22
	s_add_u32 s1, s16, s1
	s_mul_i32 s0, s0, s51
	s_addc_u32 s2, s17, s2
	s_ashr_i32 s3, s0, 31
	s_add_u32 s22, s1, s0
	v_lshlrev_b32_e32 v34, 2, v32
	s_addc_u32 s23, s2, s3
	s_lshl_b32 s36, s9, 6
	s_sub_i32 s13, s42, 64
	s_mov_b32 s0, 0xfeffffff
	s_cmp_ge_i32 s36, s13
	v_mov_b32_e32 v7, 0
	v_mov_b32_e32 v40, 0
	v_mul_lo_u32 v45, v1, s37
	v_lshrrev_b32_e32 v1, 4, v32
	v_and_b32_e32 v2, 60, v34
	v_or_b32_e32 v43, 1, v35
	v_lshlrev_b32_e32 v36, 3, v32
	v_mbcnt_lo_u32_b32 v44, -1, 0
	s_cbranch_scc1 .LBB59_18
; %bb.7:
	v_add_u32_e32 v4, v1, v33
	v_lshlrev_b32_e32 v5, 2, v2
	s_movk_i32 s0, 0x110
	v_mad_u32_u24 v3, v4, s0, v5
	v_mul_lo_u32 v6, s10, v4
	s_lshl_b32 s0, s10, 4
	v_add_u32_e32 v10, s0, v6
	v_add_u32_e32 v12, s0, v10
	v_mov_b32_e32 v8, 0x4400
	s_cmp_lg_u64 s[40:41], 0
	v_add_u32_e32 v14, s0, v12
	v_lshl_add_u32 v50, v39, 9, v8
	v_mul_hi_u32 v8, s28, v43
	v_mul_lo_u32 v16, s8, v4
	s_cselect_b64 s[0:1], -1, 0
	s_lshl_b32 s2, s8, 4
	v_add_u32_e32 v8, v43, v8
	v_add_u32_e32 v18, s2, v16
	v_lshrrev_b32_e32 v8, s29, v8
	v_add_u32_e32 v20, s2, v18
	v_mul_lo_u32 v8, v8, s30
	v_add_u32_e32 v22, s2, v20
	s_add_u32 s2, s6, 0xd0
	v_sub_u32_e32 v8, v43, v8
	s_addc_u32 s3, s7, 0
	v_mov_b32_e32 v37, 0
	v_ashrrev_i32_e32 v7, 31, v6
	v_ashrrev_i32_e32 v11, 31, v10
	;; [unrolled: 1-line block ×4, first 2 shown]
	v_mul_lo_u32 v51, v8, s37
	v_mov_b32_e32 v8, 0x5400
	v_lshl_or_b32 v53, v4, 8, v5
	v_ashrrev_i32_e32 v17, 31, v16
	v_ashrrev_i32_e32 v19, 31, v18
	;; [unrolled: 1-line block ×4, first 2 shown]
	s_add_u32 s14, s40, 64
	v_mov_b32_e32 v4, 0xfeffffff
	v_cndmask_b32_e64 v5, 0, 1, s[0:1]
	v_add_u32_e32 v46, 0x1100, v3
	v_add_u32_e32 v47, 0x2200, v3
	;; [unrolled: 1-line block ×3, first 2 shown]
	v_mul_u32_u24_e32 v49, 0x110, v32
	v_lshl_add_u32 v52, v39, 8, v8
	v_add_u32_e32 v54, 0x1000, v53
	v_add_u32_e32 v55, 0x2000, v53
	;; [unrolled: 1-line block ×3, first 2 shown]
	s_addc_u32 s15, s41, 0
	v_lshlrev_b64 v[8:9], 2, v[6:7]
	v_lshlrev_b32_e32 v57, 2, v2
	v_lshlrev_b64 v[10:11], 2, v[10:11]
	v_lshlrev_b64 v[12:13], 2, v[12:13]
	;; [unrolled: 1-line block ×3, first 2 shown]
	v_mbcnt_hi_u32_b32 v58, -1, v44
	s_mov_b32 s16, 0x3fb8aa3b
	s_mov_b32 s17, 0xc2ce8ed0
	;; [unrolled: 1-line block ×3, first 2 shown]
	v_lshlrev_b64 v[16:17], 2, v[16:17]
	v_lshlrev_b64 v[18:19], 2, v[18:19]
	v_lshlrev_b64 v[20:21], 2, v[20:21]
	v_lshlrev_b64 v[22:23], 2, v[22:23]
	v_cmp_ne_u32_e64 s[0:1], 1, v5
	v_mov_b32_e32 v59, 0x7f800000
	v_mov_b32_e32 v38, 0
	v_mov_b32_e32 v41, 0
	v_mov_b32_e32 v40, 0
	v_mov_b32_e32 v5, v4
	v_mov_b32_e32 v6, 0
	v_mov_b32_e32 v7, v37
	s_branch .LBB59_10
.LBB59_8:                               ;   in Loop: Header=BB59_10 Depth=1
	v_lshlrev_b64 v[28:29], 1, v[28:29]
	v_mov_b32_e32 v27, s15
	v_add_co_u32_e32 v28, vcc, s14, v28
	v_addc_co_u32_e32 v29, vcc, v27, v29, vcc
	flat_load_ushort v27, v[28:29]
	s_waitcnt vmcnt(0) lgkmcnt(0)
	v_cvt_f32_f16_e32 v27, v27
	v_mul_f32_e32 v27, v42, v27
.LBB59_9:                               ;   in Loop: Header=BB59_10 Depth=1
	v_pk_add_f32 v[28:29], v[24:25], v[26:27]
	v_add_f32_e32 v24, 0x40051340, v28
	v_add_f32_e32 v25, 0x40051340, v29
	v_max3_f32 v24, v5, v24, v25
	ds_bpermute_b32 v25, v62, v24
	v_mov_b32_e32 v72, v4
	v_mov_b32_e32 v73, v5
	s_mul_hi_i32 s45, s36, s8
	s_mul_i32 s44, s36, s8
	s_waitcnt lgkmcnt(0)
	v_max_f32_e32 v4, v25, v25
	v_max_f32_e32 v5, v24, v4
	ds_bpermute_b32 v24, v67, v5
	v_max_f32_e32 v4, v69, v69
	v_max_f32_e32 v25, v68, v68
	;; [unrolled: 1-line block ×3, first 2 shown]
	v_sub_f32_e32 v78, v61, v4
	s_waitcnt lgkmcnt(0)
	v_max_f32_e32 v24, v24, v24
	v_max_f32_e32 v5, v5, v24
	ds_bpermute_b32 v24, v65, v5
	v_mul_f32_e32 v25, 0x3fb8aa3b, v78
	v_fma_f32 v26, v78, s16, -v25
	v_rndne_f32_e32 v27, v25
	v_fmac_f32_e32 v26, 0x32a5705f, v78
	s_waitcnt lgkmcnt(0)
	v_max_f32_e32 v24, v24, v24
	v_max_f32_e32 v5, v5, v24
	ds_bpermute_b32 v24, v64, v5
	v_sub_f32_e32 v25, v25, v27
	v_add_f32_e32 v25, v25, v26
	v_cvt_i32_f32_e32 v27, v27
	v_exp_f32_e32 v25, v25
	s_waitcnt lgkmcnt(0)
	v_max_f32_e32 v24, v24, v24
	v_max_f32_e32 v5, v5, v24
	ds_bpermute_b32 v24, v63, v5
	v_sub_f32_e32 v80, v60, v4
	v_ldexp_f32 v25, v25, v27
	v_cmp_ngt_f32_e32 vcc, s17, v78
	s_lshl_b64 s[44:45], s[44:45], 2
	s_waitcnt lgkmcnt(0)
	v_max_f32_e32 v24, v24, v24
	v_max_f32_e32 v5, v5, v24
	v_mul_f32_e32 v24, 0x3fb8aa3b, v80
	v_cndmask_b32_e32 v79, 0, v25, vcc
	v_fma_f32 v25, v80, s16, -v24
	v_rndne_f32_e32 v81, v24
	s_add_u32 s19, s22, s44
	v_fmac_f32_e32 v25, 0x32a5705f, v80
	v_sub_f32_e32 v24, v24, v81
	s_addc_u32 s39, s23, s45
	v_add_f32_e32 v82, v24, v25
	v_mov_b32_e32 v24, s39
	v_add_co_u32_e32 v25, vcc, s19, v16
	v_addc_co_u32_e32 v24, vcc, v24, v17, vcc
	v_add_co_u32_e32 v64, vcc, v25, v57
	v_addc_co_u32_e32 v65, vcc, 0, v24, vcc
	v_mov_b32_e32 v24, s39
	v_add_co_u32_e32 v25, vcc, s19, v18
	v_addc_co_u32_e32 v24, vcc, v24, v19, vcc
	v_add_co_u32_e32 v66, vcc, v25, v57
	v_addc_co_u32_e32 v67, vcc, 0, v24, vcc
	s_barrier
	global_load_dwordx4 v[24:27], v[64:65], off
	global_load_dwordx4 v[60:63], v[66:67], off
	v_mov_b32_e32 v64, s39
	v_add_co_u32_e32 v65, vcc, s19, v20
	v_addc_co_u32_e32 v64, vcc, v64, v21, vcc
	v_add_co_u32_e32 v74, vcc, v65, v57
	v_addc_co_u32_e32 v75, vcc, 0, v64, vcc
	v_mov_b32_e32 v64, s39
	v_add_co_u32_e32 v65, vcc, s19, v22
	v_addc_co_u32_e32 v64, vcc, v64, v23, vcc
	v_add_co_u32_e32 v76, vcc, v65, v57
	v_addc_co_u32_e32 v77, vcc, 0, v64, vcc
	global_load_dwordx4 v[64:67], v[74:75], off
	global_load_dwordx4 v[68:71], v[76:77], off
	v_exp_f32_e32 v75, v82
	v_cvt_i32_f32_e32 v76, v81
	v_cmp_nlt_f32_e32 vcc, s18, v78
	v_cndmask_b32_e32 v74, v59, v79, vcc
	v_cmp_ngt_f32_e32 vcc, s17, v80
	v_ldexp_f32 v75, v75, v76
	v_mov_b32_e32 v76, v5
	v_pk_add_f32 v[28:29], v[28:29], v[76:77] op_sel_hi:[1,0] neg_lo:[0,1] neg_hi:[0,1]
	v_mul_f32_e32 v76, 0x3fb8aa3b, v29
	v_fma_f32 v77, v29, s16, -v76
	v_rndne_f32_e32 v79, v76
	v_fmac_f32_e32 v77, 0x32a5705f, v29
	v_sub_f32_e32 v76, v76, v79
	v_add_f32_e32 v76, v76, v77
	v_exp_f32_e32 v77, v76
	v_cvt_i32_f32_e32 v79, v79
	v_cndmask_b32_e32 v75, 0, v75, vcc
	v_cmp_nlt_f32_e32 vcc, s18, v80
	v_cndmask_b32_e32 v76, v59, v75, vcc
	v_ldexp_f32 v75, v77, v79
	v_mul_f32_e32 v77, 0x3fb8aa3b, v28
	v_fma_f32 v79, v28, s16, -v77
	v_rndne_f32_e32 v81, v77
	v_fmac_f32_e32 v79, 0x32a5705f, v28
	v_sub_f32_e32 v77, v77, v81
	v_add_f32_e32 v77, v77, v79
	v_exp_f32_e32 v79, v77
	v_cvt_i32_f32_e32 v81, v81
	v_cmp_ngt_f32_e32 vcc, s17, v29
	v_pk_add_f32 v[72:73], v[72:73], v[4:5] neg_lo:[0,1] neg_hi:[0,1]
	v_cndmask_b32_e32 v75, 0, v75, vcc
	v_cmp_nlt_f32_e32 vcc, s18, v29
	v_cndmask_b32_e32 v77, v59, v75, vcc
	v_mul_f32_e32 v75, 0x3fb8aa3b, v73
	v_ldexp_f32 v29, v79, v81
	v_fma_f32 v79, v73, s16, -v75
	v_rndne_f32_e32 v81, v75
	v_fmac_f32_e32 v79, 0x32a5705f, v73
	v_sub_f32_e32 v75, v75, v81
	v_add_f32_e32 v75, v75, v79
	v_cmp_ngt_f32_e32 vcc, s17, v28
	v_exp_f32_e32 v79, v75
	v_cvt_i32_f32_e32 v81, v81
	v_cndmask_b32_e32 v29, 0, v29, vcc
	v_cmp_nlt_f32_e32 vcc, s18, v28
	v_cndmask_b32_e32 v75, v59, v29, vcc
	v_cvt_f16_f32_e32 v80, v76
	v_pk_add_f32 v[28:29], v[74:75], v[76:77]
	v_mul_f32_e32 v76, 0x3fb8aa3b, v72
	v_cvt_f16_f32_e32 v78, v74
	v_ldexp_f32 v74, v79, v81
	v_fma_f32 v79, v72, s16, -v76
	v_rndne_f32_e32 v81, v76
	v_fmac_f32_e32 v79, 0x32a5705f, v72
	v_sub_f32_e32 v76, v76, v81
	v_add_f32_e32 v76, v76, v79
	v_exp_f32_e32 v76, v76
	v_cvt_i32_f32_e32 v79, v81
	v_cmp_ngt_f32_e32 vcc, s17, v73
	v_cndmask_b32_e32 v74, 0, v74, vcc
	v_cmp_nlt_f32_e32 vcc, s18, v73
	v_cndmask_b32_e32 v73, v59, v74, vcc
	v_ldexp_f32 v74, v76, v79
	v_cmp_ngt_f32_e32 vcc, s17, v72
	v_cndmask_b32_e32 v74, 0, v74, vcc
	v_cmp_nlt_f32_e32 vcc, s18, v72
	v_cndmask_b32_e32 v72, v59, v74, vcc
	v_pk_fma_f32 v[6:7], v[6:7], v[72:73], v[28:29]
	v_cvt_f16_f32_e32 v28, v72
	v_cvt_f16_f32_e32 v29, v75
	;; [unrolled: 1-line block ×4, first 2 shown]
	v_add_u32_e32 v73, v52, v34
	v_pack_b32_f16 v29, v78, v29
	v_pack_b32_f16 v72, v80, v72
	ds_write2_b32 v73, v29, v72 offset1:32
	s_waitcnt vmcnt(3)
	ds_write_b128 v53, v[24:27]
	s_waitcnt vmcnt(2)
	ds_write_b128 v54, v[60:63]
	;; [unrolled: 2-line block ×4, first 2 shown]
	s_waitcnt lgkmcnt(0)
	s_barrier
	ds_read2_b64 v[24:27], v36 offset1:32
	ds_read_b128 v[60:63], v52
	v_pk_mul_f16 v29, v76, v37 op_sel_hi:[0,1]
	ds_read_b128 v[64:67], v52 offset:16
	ds_read_b128 v[68:71], v52 offset:32
	;; [unrolled: 1-line block ×3, first 2 shown]
	s_waitcnt lgkmcnt(3)
	v_pk_mul_f16 v37, v24, v60 op_sel_hi:[1,0]
	v_pk_mul_f16 v24, v24, v60 op_sel:[0,1]
	v_pk_fma_f16 v24, v76, v38, v24 op_sel_hi:[0,1,1]
	ds_read2_b64 v[76:79], v36 offset0:64 offset1:96
	v_pk_mul_f16 v38, v25, v60 op_sel_hi:[1,0]
	v_pk_fma_f16 v37, v28, v40, v37 op_sel_hi:[0,1,1]
	v_pk_fma_f16 v28, v28, v41, v38 op_sel_hi:[0,1,1]
	v_pk_fma_f16 v25, v25, v60, v29 op_sel:[0,1,0]
	v_pk_fma_f16 v29, v26, v61, v37 op_sel_hi:[1,0,1]
	v_pk_fma_f16 v24, v26, v61, v24 op_sel:[0,1,0]
	;; [unrolled: 2-line block ×3, first 2 shown]
	s_waitcnt lgkmcnt(0)
	v_pk_fma_f16 v28, v76, v62, v29 op_sel_hi:[1,0,1]
	v_pk_fma_f16 v29, v76, v62, v24 op_sel:[0,1,0]
	v_pk_fma_f16 v37, v77, v62, v26 op_sel_hi:[1,0,1]
	v_pk_fma_f16 v38, v77, v62, v25 op_sel:[0,1,0]
	ds_read2_b64 v[24:27], v36 offset0:128 offset1:160
	v_pk_fma_f16 v28, v78, v63, v28 op_sel_hi:[1,0,1]
	v_pk_fma_f16 v29, v78, v63, v29 op_sel:[0,1,0]
	v_pk_fma_f16 v37, v79, v63, v37 op_sel_hi:[1,0,1]
	v_pk_fma_f16 v38, v79, v63, v38 op_sel:[0,1,0]
	ds_read2_b64 v[60:63], v36 offset0:192 offset1:224
	s_waitcnt lgkmcnt(1)
	v_pk_fma_f16 v28, v24, v64, v28 op_sel_hi:[1,0,1]
	v_pk_fma_f16 v24, v24, v64, v29 op_sel:[0,1,0]
	v_pk_fma_f16 v29, v25, v64, v37 op_sel_hi:[1,0,1]
	v_pk_fma_f16 v25, v25, v64, v38 op_sel:[0,1,0]
	;; [unrolled: 2-line block ×4, first 2 shown]
	v_add_u32_e32 v40, 0x800, v36
	s_waitcnt lgkmcnt(0)
	v_pk_fma_f16 v29, v60, v66, v24 op_sel:[0,1,0]
	v_pk_fma_f16 v37, v61, v66, v26 op_sel_hi:[1,0,1]
	v_pk_fma_f16 v38, v61, v66, v25 op_sel:[0,1,0]
	ds_read2_b64 v[24:27], v40 offset1:32
	v_pk_fma_f16 v28, v60, v66, v28 op_sel_hi:[1,0,1]
	v_pk_fma_f16 v28, v62, v67, v28 op_sel_hi:[1,0,1]
	v_pk_fma_f16 v29, v62, v67, v29 op_sel:[0,1,0]
	v_pk_fma_f16 v37, v63, v67, v37 op_sel_hi:[1,0,1]
	v_pk_fma_f16 v38, v63, v67, v38 op_sel:[0,1,0]
	ds_read2_b64 v[60:63], v40 offset0:64 offset1:96
	s_waitcnt lgkmcnt(1)
	v_pk_fma_f16 v28, v24, v68, v28 op_sel_hi:[1,0,1]
	v_pk_fma_f16 v24, v24, v68, v29 op_sel:[0,1,0]
	v_pk_fma_f16 v29, v25, v68, v37 op_sel_hi:[1,0,1]
	v_pk_fma_f16 v25, v25, v68, v38 op_sel:[0,1,0]
	;; [unrolled: 2-line block ×4, first 2 shown]
	s_waitcnt lgkmcnt(0)
	v_pk_fma_f16 v29, v60, v70, v24 op_sel:[0,1,0]
	v_pk_fma_f16 v37, v61, v70, v26 op_sel_hi:[1,0,1]
	v_pk_fma_f16 v38, v61, v70, v25 op_sel:[0,1,0]
	ds_read2_b64 v[24:27], v40 offset0:128 offset1:160
	v_pk_fma_f16 v28, v60, v70, v28 op_sel_hi:[1,0,1]
	v_pk_fma_f16 v28, v62, v71, v28 op_sel_hi:[1,0,1]
	v_pk_fma_f16 v29, v62, v71, v29 op_sel:[0,1,0]
	v_pk_fma_f16 v37, v63, v71, v37 op_sel_hi:[1,0,1]
	v_pk_fma_f16 v38, v63, v71, v38 op_sel:[0,1,0]
	ds_read2_b64 v[60:63], v40 offset0:192 offset1:224
	s_waitcnt lgkmcnt(1)
	v_pk_fma_f16 v28, v24, v72, v28 op_sel_hi:[1,0,1]
	v_pk_fma_f16 v24, v24, v72, v29 op_sel:[0,1,0]
	v_pk_fma_f16 v29, v25, v72, v37 op_sel_hi:[1,0,1]
	v_pk_fma_f16 v25, v25, v72, v38 op_sel:[0,1,0]
	v_pk_fma_f16 v28, v26, v73, v28 op_sel_hi:[1,0,1]
	v_pk_fma_f16 v24, v26, v73, v24 op_sel:[0,1,0]
	v_pk_fma_f16 v26, v27, v73, v29 op_sel_hi:[1,0,1]
	v_pk_fma_f16 v25, v27, v73, v25 op_sel:[0,1,0]
	s_waitcnt lgkmcnt(0)
	v_pk_fma_f16 v27, v60, v74, v28 op_sel_hi:[1,0,1]
	v_add_u32_e32 v40, 0x1000, v36
	v_pk_fma_f16 v28, v60, v74, v24 op_sel:[0,1,0]
	v_pk_fma_f16 v29, v61, v74, v26 op_sel_hi:[1,0,1]
	v_pk_fma_f16 v37, v61, v74, v25 op_sel:[0,1,0]
	v_pk_fma_f16 v38, v62, v75, v27 op_sel_hi:[1,0,1]
	ds_read2_b64 v[24:27], v40 offset1:32
	ds_read_b128 v[64:67], v52 offset:64
	ds_read2_b64 v[68:71], v40 offset0:64 offset1:96
	v_pk_fma_f16 v28, v62, v75, v28 op_sel:[0,1,0]
	v_pk_fma_f16 v29, v63, v75, v29 op_sel_hi:[1,0,1]
	v_pk_fma_f16 v37, v63, v75, v37 op_sel:[0,1,0]
	s_waitcnt lgkmcnt(1)
	v_pk_fma_f16 v38, v24, v64, v38 op_sel_hi:[1,0,1]
	v_pk_fma_f16 v24, v24, v64, v28 op_sel:[0,1,0]
	v_pk_fma_f16 v28, v25, v64, v29 op_sel_hi:[1,0,1]
	v_pk_fma_f16 v25, v25, v64, v37 op_sel:[0,1,0]
	v_pk_fma_f16 v29, v26, v65, v38 op_sel_hi:[1,0,1]
	v_pk_fma_f16 v24, v26, v65, v24 op_sel:[0,1,0]
	v_pk_fma_f16 v26, v27, v65, v28 op_sel_hi:[1,0,1]
	v_pk_fma_f16 v25, v27, v65, v25 op_sel:[0,1,0]
	ds_read_b128 v[60:63], v52 offset:80
	s_waitcnt lgkmcnt(1)
	v_pk_fma_f16 v28, v68, v66, v29 op_sel_hi:[1,0,1]
	v_pk_fma_f16 v29, v68, v66, v24 op_sel:[0,1,0]
	v_pk_fma_f16 v37, v69, v66, v26 op_sel_hi:[1,0,1]
	v_pk_fma_f16 v38, v69, v66, v25 op_sel:[0,1,0]
	ds_read2_b64 v[24:27], v40 offset0:128 offset1:160
	v_pk_fma_f16 v28, v70, v67, v28 op_sel_hi:[1,0,1]
	v_pk_fma_f16 v29, v70, v67, v29 op_sel:[0,1,0]
	v_pk_fma_f16 v37, v71, v67, v37 op_sel_hi:[1,0,1]
	v_pk_fma_f16 v38, v71, v67, v38 op_sel:[0,1,0]
	ds_read2_b64 v[64:67], v40 offset0:192 offset1:224
	s_waitcnt lgkmcnt(1)
	v_pk_fma_f16 v28, v24, v60, v28 op_sel_hi:[1,0,1]
	v_pk_fma_f16 v24, v24, v60, v29 op_sel:[0,1,0]
	v_pk_fma_f16 v29, v25, v60, v37 op_sel_hi:[1,0,1]
	v_pk_fma_f16 v25, v25, v60, v38 op_sel:[0,1,0]
	v_pk_fma_f16 v28, v26, v61, v28 op_sel_hi:[1,0,1]
	v_pk_fma_f16 v24, v26, v61, v24 op_sel:[0,1,0]
	v_pk_fma_f16 v26, v27, v61, v29 op_sel_hi:[1,0,1]
	v_pk_fma_f16 v25, v27, v61, v25 op_sel:[0,1,0]
	s_waitcnt lgkmcnt(0)
	v_pk_fma_f16 v27, v64, v62, v28 op_sel_hi:[1,0,1]
	v_add_u32_e32 v40, 0x1800, v36
	v_pk_fma_f16 v28, v64, v62, v24 op_sel:[0,1,0]
	v_pk_fma_f16 v29, v65, v62, v26 op_sel_hi:[1,0,1]
	v_pk_fma_f16 v37, v65, v62, v25 op_sel:[0,1,0]
	v_pk_fma_f16 v38, v66, v63, v27 op_sel_hi:[1,0,1]
	ds_read2_b64 v[24:27], v40 offset1:32
	ds_read_b128 v[68:71], v52 offset:96
	v_pk_fma_f16 v28, v66, v63, v28 op_sel:[0,1,0]
	v_pk_fma_f16 v29, v67, v63, v29 op_sel_hi:[1,0,1]
	v_pk_fma_f16 v37, v67, v63, v37 op_sel:[0,1,0]
	ds_read2_b64 v[64:67], v40 offset0:64 offset1:96
	s_waitcnt lgkmcnt(1)
	v_pk_fma_f16 v38, v24, v68, v38 op_sel_hi:[1,0,1]
	v_pk_fma_f16 v24, v24, v68, v28 op_sel:[0,1,0]
	v_pk_fma_f16 v28, v25, v68, v29 op_sel_hi:[1,0,1]
	v_pk_fma_f16 v25, v25, v68, v37 op_sel:[0,1,0]
	v_pk_fma_f16 v29, v26, v69, v38 op_sel_hi:[1,0,1]
	v_pk_fma_f16 v24, v26, v69, v24 op_sel:[0,1,0]
	v_pk_fma_f16 v26, v27, v69, v28 op_sel_hi:[1,0,1]
	v_pk_fma_f16 v25, v27, v69, v25 op_sel:[0,1,0]
	ds_read_b128 v[60:63], v52 offset:112
	s_waitcnt lgkmcnt(1)
	v_pk_fma_f16 v28, v64, v70, v29 op_sel_hi:[1,0,1]
	v_pk_fma_f16 v29, v64, v70, v24 op_sel:[0,1,0]
	v_pk_fma_f16 v37, v65, v70, v26 op_sel_hi:[1,0,1]
	v_pk_fma_f16 v38, v65, v70, v25 op_sel:[0,1,0]
	ds_read2_b64 v[24:27], v40 offset0:128 offset1:160
	v_pk_fma_f16 v28, v66, v71, v28 op_sel_hi:[1,0,1]
	v_pk_fma_f16 v29, v66, v71, v29 op_sel:[0,1,0]
	v_pk_fma_f16 v37, v67, v71, v37 op_sel_hi:[1,0,1]
	v_pk_fma_f16 v38, v67, v71, v38 op_sel:[0,1,0]
	ds_read2_b64 v[64:67], v40 offset0:192 offset1:224
	s_waitcnt lgkmcnt(1)
	v_pk_fma_f16 v28, v24, v60, v28 op_sel_hi:[1,0,1]
	v_pk_fma_f16 v24, v24, v60, v29 op_sel:[0,1,0]
	v_pk_fma_f16 v29, v25, v60, v37 op_sel_hi:[1,0,1]
	v_pk_fma_f16 v25, v25, v60, v38 op_sel:[0,1,0]
	v_pk_fma_f16 v28, v26, v61, v28 op_sel_hi:[1,0,1]
	v_pk_fma_f16 v24, v26, v61, v24 op_sel:[0,1,0]
	v_pk_fma_f16 v26, v27, v61, v29 op_sel_hi:[1,0,1]
	v_pk_fma_f16 v25, v27, v61, v25 op_sel:[0,1,0]
	s_waitcnt lgkmcnt(0)
	v_pk_fma_f16 v27, v64, v62, v28 op_sel_hi:[1,0,1]
	v_add_u32_e32 v40, 0x2000, v36
	v_pk_fma_f16 v28, v64, v62, v24 op_sel:[0,1,0]
	v_pk_fma_f16 v29, v65, v62, v26 op_sel_hi:[1,0,1]
	v_pk_fma_f16 v37, v65, v62, v25 op_sel:[0,1,0]
	v_pk_fma_f16 v38, v66, v63, v27 op_sel_hi:[1,0,1]
	ds_read2_b64 v[24:27], v40 offset1:32
	ds_read_b128 v[68:71], v52 offset:128
	v_pk_fma_f16 v28, v66, v63, v28 op_sel:[0,1,0]
	v_pk_fma_f16 v29, v67, v63, v29 op_sel_hi:[1,0,1]
	v_pk_fma_f16 v37, v67, v63, v37 op_sel:[0,1,0]
	ds_read2_b64 v[64:67], v40 offset0:64 offset1:96
	;; [unrolled: 43-line block ×5, first 2 shown]
	s_waitcnt lgkmcnt(1)
	v_pk_fma_f16 v38, v24, v68, v38 op_sel_hi:[1,0,1]
	v_pk_fma_f16 v24, v24, v68, v28 op_sel:[0,1,0]
	v_pk_fma_f16 v28, v25, v68, v29 op_sel_hi:[1,0,1]
	v_pk_fma_f16 v25, v25, v68, v37 op_sel:[0,1,0]
	;; [unrolled: 2-line block ×4, first 2 shown]
	ds_read_b128 v[60:63], v52 offset:240
	s_waitcnt lgkmcnt(1)
	v_pk_fma_f16 v28, v64, v70, v29 op_sel_hi:[1,0,1]
	v_pk_fma_f16 v29, v64, v70, v24 op_sel:[0,1,0]
	v_pk_fma_f16 v37, v65, v70, v26 op_sel_hi:[1,0,1]
	v_pk_fma_f16 v38, v65, v70, v25 op_sel:[0,1,0]
	ds_read2_b64 v[24:27], v40 offset0:128 offset1:160
	v_pk_fma_f16 v28, v66, v71, v28 op_sel_hi:[1,0,1]
	v_pk_fma_f16 v29, v66, v71, v29 op_sel:[0,1,0]
	v_pk_fma_f16 v37, v67, v71, v37 op_sel_hi:[1,0,1]
	v_pk_fma_f16 v38, v67, v71, v38 op_sel:[0,1,0]
	ds_read2_b64 v[64:67], v40 offset0:192 offset1:224
	s_waitcnt lgkmcnt(0)
	s_barrier
	s_load_dword s19, s[2:3], 0x4
	v_pk_fma_f16 v28, v24, v60, v28 op_sel_hi:[1,0,1]
	v_pk_fma_f16 v24, v24, v60, v29 op_sel:[0,1,0]
	v_pk_fma_f16 v29, v25, v60, v37 op_sel_hi:[1,0,1]
	v_pk_fma_f16 v25, v25, v60, v38 op_sel:[0,1,0]
	;; [unrolled: 2-line block ×4, first 2 shown]
	s_waitcnt lgkmcnt(0)
	s_lshl_b32 s19, s19, 6
	v_pk_fma_f16 v27, v64, v62, v28 op_sel_hi:[1,0,1]
	v_pk_fma_f16 v24, v64, v62, v24 op_sel:[0,1,0]
	v_pk_fma_f16 v26, v65, v62, v26 op_sel_hi:[1,0,1]
	v_pk_fma_f16 v25, v65, v62, v25 op_sel:[0,1,0]
	s_add_i32 s36, s19, s36
	v_pk_fma_f16 v40, v66, v63, v27 op_sel_hi:[1,0,1]
	v_pk_fma_f16 v38, v66, v63, v24 op_sel:[0,1,0]
	v_pk_fma_f16 v41, v67, v63, v26 op_sel_hi:[1,0,1]
	s_cmp_lt_i32 s36, s13
	v_pk_fma_f16 v37, v67, v63, v25 op_sel:[0,1,0]
	s_cbranch_scc0 .LBB59_19
.LBB59_10:                              ; =>This Inner Loop Header: Depth=1
	s_mul_hi_i32 s45, s36, s10
	s_mul_i32 s44, s36, s10
	s_lshl_b64 s[44:45], s[44:45], 2
	s_add_u32 s19, s11, s44
	s_addc_u32 s39, s12, s45
	v_mov_b32_e32 v24, s39
	v_add_co_u32_e32 v25, vcc, s19, v8
	v_addc_co_u32_e32 v26, vcc, v24, v9, vcc
	v_add_co_u32_e32 v24, vcc, v25, v57
	v_addc_co_u32_e32 v25, vcc, 0, v26, vcc
	v_mov_b32_e32 v26, s39
	v_add_co_u32_e32 v27, vcc, s19, v10
	v_addc_co_u32_e32 v28, vcc, v26, v11, vcc
	v_add_co_u32_e32 v26, vcc, v27, v57
	v_addc_co_u32_e32 v27, vcc, 0, v28, vcc
	global_load_dwordx4 v[60:63], v[24:25], off
	global_load_dwordx4 v[64:67], v[26:27], off
	v_mov_b32_e32 v24, s39
	v_add_co_u32_e32 v25, vcc, s19, v12
	v_addc_co_u32_e32 v26, vcc, v24, v13, vcc
	v_add_co_u32_e32 v24, vcc, v25, v57
	v_addc_co_u32_e32 v25, vcc, 0, v26, vcc
	v_mov_b32_e32 v26, s39
	v_add_co_u32_e32 v27, vcc, s19, v14
	v_addc_co_u32_e32 v28, vcc, v26, v15, vcc
	v_add_co_u32_e32 v26, vcc, v27, v57
	v_addc_co_u32_e32 v27, vcc, 0, v28, vcc
	global_load_dwordx4 v[68:71], v[24:25], off
	global_load_dwordx4 v[72:75], v[26:27], off
	v_mov_b32_e32 v27, 0
	v_mov_b32_e32 v24, 0
	;; [unrolled: 1-line block ×3, first 2 shown]
	s_and_b64 vcc, exec, s[0:1]
	s_waitcnt vmcnt(3)
	ds_write_b128 v3, v[60:63]
	s_waitcnt vmcnt(2)
	ds_write_b128 v46, v[64:67]
	;; [unrolled: 2-line block ×4, first 2 shown]
	s_waitcnt lgkmcnt(0)
	s_barrier
	ds_read_b128 v[62:65], v50
	ds_read_b128 v[66:69], v49
	ds_read_b128 v[70:73], v49 offset:8704
	ds_read_b128 v[74:77], v50 offset:256
	s_waitcnt lgkmcnt(2)
	;;#ASMSTART
	v_dot2_f32_f16 v27, v66, v62, v27
	;;#ASMEND
	;;#ASMSTART
	v_dot2_f32_f16 v27, v67, v63, v27
	;;#ASMEND
	;; [unrolled: 3-line block ×4, first 2 shown]
	s_waitcnt lgkmcnt(0)
	;;#ASMSTART
	v_dot2_f32_f16 v24, v66, v74, v24
	;;#ASMEND
	;;#ASMSTART
	v_dot2_f32_f16 v24, v67, v75, v24
	;;#ASMEND
	v_mov_b32_e32 v60, 0
	;;#ASMSTART
	v_dot2_f32_f16 v24, v68, v76, v24
	;;#ASMEND
	;;#ASMSTART
	v_dot2_f32_f16 v24, v69, v77, v24
	;;#ASMEND
	;;#ASMSTART
	v_dot2_f32_f16 v60, v70, v62, v60
	;;#ASMEND
	;;#ASMSTART
	v_dot2_f32_f16 v60, v71, v63, v60
	;;#ASMEND
	;;#ASMSTART
	v_dot2_f32_f16 v60, v72, v64, v60
	;;#ASMEND
	;;#ASMSTART
	v_dot2_f32_f16 v60, v73, v65, v60
	;;#ASMEND
	;;#ASMSTART
	v_dot2_f32_f16 v25, v70, v74, v25
	;;#ASMEND
	;;#ASMSTART
	v_dot2_f32_f16 v25, v71, v75, v25
	;;#ASMEND
	;;#ASMSTART
	v_dot2_f32_f16 v25, v72, v76, v25
	;;#ASMEND
	;;#ASMSTART
	v_dot2_f32_f16 v25, v73, v77, v25
	;;#ASMEND
	ds_read_b128 v[62:65], v50 offset:16
	ds_read_b128 v[66:69], v49 offset:16
	ds_read_b128 v[70:73], v49 offset:8720
	ds_read_b128 v[74:77], v50 offset:272
	s_waitcnt lgkmcnt(2)
	;;#ASMSTART
	v_dot2_f32_f16 v27, v66, v62, v27
	;;#ASMEND
	;;#ASMSTART
	v_dot2_f32_f16 v27, v67, v63, v27
	;;#ASMEND
	;;#ASMSTART
	v_dot2_f32_f16 v27, v68, v64, v27
	;;#ASMEND
	;;#ASMSTART
	v_dot2_f32_f16 v27, v69, v65, v27
	;;#ASMEND
	s_waitcnt lgkmcnt(0)
	;;#ASMSTART
	v_dot2_f32_f16 v24, v66, v74, v24
	;;#ASMEND
	;;#ASMSTART
	v_dot2_f32_f16 v24, v67, v75, v24
	;;#ASMEND
	;;#ASMSTART
	v_dot2_f32_f16 v24, v68, v76, v24
	;;#ASMEND
	;;#ASMSTART
	v_dot2_f32_f16 v24, v69, v77, v24
	;;#ASMEND
	;;#ASMSTART
	v_dot2_f32_f16 v60, v70, v62, v60
	;;#ASMEND
	;;#ASMSTART
	v_dot2_f32_f16 v60, v71, v63, v60
	;;#ASMEND
	;;#ASMSTART
	v_dot2_f32_f16 v60, v72, v64, v60
	;;#ASMEND
	;;#ASMSTART
	v_dot2_f32_f16 v60, v73, v65, v60
	;;#ASMEND
	;;#ASMSTART
	v_dot2_f32_f16 v25, v70, v74, v25
	;;#ASMEND
	;;#ASMSTART
	v_dot2_f32_f16 v25, v71, v75, v25
	;;#ASMEND
	;;#ASMSTART
	v_dot2_f32_f16 v25, v72, v76, v25
	;;#ASMEND
	;;#ASMSTART
	v_dot2_f32_f16 v25, v73, v77, v25
	;;#ASMEND
	ds_read_b128 v[62:65], v50 offset:32
	ds_read_b128 v[66:69], v49 offset:32
	ds_read_b128 v[70:73], v49 offset:8736
	ds_read_b128 v[74:77], v50 offset:288
	s_waitcnt lgkmcnt(2)
	;;#ASMSTART
	v_dot2_f32_f16 v27, v66, v62, v27
	;;#ASMEND
	;;#ASMSTART
	v_dot2_f32_f16 v27, v67, v63, v27
	;;#ASMEND
	;;#ASMSTART
	v_dot2_f32_f16 v27, v68, v64, v27
	;;#ASMEND
	;;#ASMSTART
	v_dot2_f32_f16 v27, v69, v65, v27
	;;#ASMEND
	s_waitcnt lgkmcnt(0)
	;;#ASMSTART
	v_dot2_f32_f16 v24, v66, v74, v24
	;;#ASMEND
	;;#ASMSTART
	v_dot2_f32_f16 v24, v67, v75, v24
	;;#ASMEND
	;; [unrolled: 54-line block ×15, first 2 shown]
	;;#ASMSTART
	v_dot2_f32_f16 v24, v68, v76, v24
	;;#ASMEND
	;;#ASMSTART
	v_dot2_f32_f16 v24, v69, v77, v24
	;;#ASMEND
	;; [unrolled: 3-line block ×7, first 2 shown]
	v_add_u32_e32 v66, s36, v32
	;;#ASMSTART
	v_dot2_f32_f16 v25, v71, v75, v25
	;;#ASMEND
	v_add_u32_e32 v28, v66, v45
	;;#ASMSTART
	v_dot2_f32_f16 v25, v72, v76, v25
	;;#ASMEND
	v_ashrrev_i32_e32 v29, 31, v28
	v_mov_b32_e32 v61, 0
	;;#ASMSTART
	v_dot2_f32_f16 v25, v73, v77, v25
	;;#ASMEND
	s_cbranch_vccnz .LBB59_12
; %bb.11:                               ;   in Loop: Header=BB59_10 Depth=1
	v_lshlrev_b64 v[62:63], 1, v[28:29]
	v_mov_b32_e32 v26, s41
	v_add_co_u32_e32 v62, vcc, s40, v62
	v_addc_co_u32_e32 v63, vcc, v26, v63, vcc
	flat_load_ushort v26, v[62:63]
	s_waitcnt vmcnt(0) lgkmcnt(0)
	v_cvt_f32_f16_e32 v26, v26
	v_mul_f32_e32 v61, v42, v26
.LBB59_12:                              ;   in Loop: Header=BB59_10 Depth=1
	s_and_b64 vcc, exec, s[0:1]
	v_mov_b32_e32 v26, 0
	v_mov_b32_e32 v63, 0
	s_cbranch_vccnz .LBB59_14
; %bb.13:                               ;   in Loop: Header=BB59_10 Depth=1
	v_lshlrev_b64 v[28:29], 1, v[28:29]
	v_mov_b32_e32 v62, s15
	v_add_co_u32_e32 v28, vcc, s14, v28
	v_addc_co_u32_e32 v29, vcc, v62, v29, vcc
	flat_load_ushort v28, v[28:29]
	s_waitcnt vmcnt(0) lgkmcnt(0)
	v_cvt_f32_f16_e32 v28, v28
	v_mul_f32_e32 v63, v42, v28
.LBB59_14:                              ;   in Loop: Header=BB59_10 Depth=1
	v_and_b32_e32 v28, 0x60, v58
	v_add_u32_e32 v28, 32, v28
	v_xor_b32_e32 v29, 16, v58
	v_cmp_lt_i32_e32 vcc, v29, v28
	v_add_f32_e32 v61, v27, v61
	v_cndmask_b32_e32 v29, v58, v29, vcc
	v_add_f32_e32 v60, v60, v63
	v_add_f32_e32 v27, 0x40051340, v61
	v_lshlrev_b32_e32 v62, 2, v29
	v_add_f32_e32 v29, 0x40051340, v60
	v_max3_f32 v27, v4, v27, v29
	ds_bpermute_b32 v29, v62, v27
	v_xor_b32_e32 v63, 8, v58
	v_cmp_lt_i32_e32 vcc, v63, v28
	v_cndmask_b32_e32 v63, v58, v63, vcc
	v_lshlrev_b32_e32 v67, 2, v63
	s_waitcnt lgkmcnt(0)
	v_max_f32_e32 v29, v29, v29
	v_max_f32_e32 v27, v27, v29
	ds_bpermute_b32 v29, v67, v27
	v_xor_b32_e32 v63, 4, v58
	v_cmp_lt_i32_e32 vcc, v63, v28
	v_cndmask_b32_e32 v63, v58, v63, vcc
	v_lshlrev_b32_e32 v65, 2, v63
	s_waitcnt lgkmcnt(0)
	v_max_f32_e32 v29, v29, v29
	v_max_f32_e32 v27, v27, v29
	;; [unrolled: 8-line block ×4, first 2 shown]
	ds_bpermute_b32 v69, v63, v68
	v_add_u32_e32 v28, v66, v51
	s_and_b64 vcc, exec, s[0:1]
	v_ashrrev_i32_e32 v29, 31, v28
	s_cbranch_vccnz .LBB59_16
; %bb.15:                               ;   in Loop: Header=BB59_10 Depth=1
	v_lshlrev_b64 v[26:27], 1, v[28:29]
	v_mov_b32_e32 v66, s41
	v_add_co_u32_e32 v26, vcc, s40, v26
	v_addc_co_u32_e32 v27, vcc, v66, v27, vcc
	flat_load_ushort v26, v[26:27]
	s_waitcnt vmcnt(0) lgkmcnt(0)
	v_cvt_f32_f16_e32 v26, v26
	v_mul_f32_e32 v26, v42, v26
.LBB59_16:                              ;   in Loop: Header=BB59_10 Depth=1
	s_and_b64 vcc, exec, s[0:1]
	s_cbranch_vccz .LBB59_8
; %bb.17:                               ;   in Loop: Header=BB59_10 Depth=1
	v_mov_b32_e32 v27, 0
	s_branch .LBB59_9
.LBB59_18:
	s_mov_b32 s1, s0
	v_pk_mov_b32 v[4:5], s[0:1], s[0:1] op_sel:[0,1]
	v_mov_b32_e32 v6, v7
	v_mov_b32_e32 v41, 0
	;; [unrolled: 1-line block ×4, first 2 shown]
.LBB59_19:
	s_cmp_gt_i32 s42, s36
	s_cbranch_scc1 .LBB59_21
; %bb.20:
	v_mbcnt_hi_u32_b32 v16, -1, v44
	v_and_b32_e32 v3, 0x60, v16
	v_add_u32_e32 v17, 32, v3
	v_xor_b32_e32 v18, 16, v16
	v_xor_b32_e32 v19, 8, v16
	;; [unrolled: 1-line block ×5, first 2 shown]
	s_cbranch_execz .LBB59_22
	s_branch .LBB59_43
.LBB59_21:
                                        ; implicit-def: $vgpr16
                                        ; implicit-def: $vgpr17
                                        ; implicit-def: $vgpr18
                                        ; implicit-def: $vgpr19
                                        ; implicit-def: $vgpr20
                                        ; implicit-def: $vgpr21
                                        ; implicit-def: $vgpr22
.LBB59_22:
	s_load_dwordx2 s[0:1], s[4:5], 0x4
	v_bfe_u32 v0, v0, 20, 10
	s_mul_hi_i32 s3, s36, s10
	s_mul_i32 s2, s36, s10
	v_add_u32_e32 v12, v1, v33
	s_waitcnt lgkmcnt(0)
	s_lshr_b32 s0, s0, 16
	s_mul_i32 s0, s0, s1
	v_mul_u32_u24_e32 v3, s1, v39
	v_mul_lo_u32 v8, s0, v32
	v_add3_u32 v0, v8, v3, v0
	s_sub_i32 s39, s42, s36
	v_lshlrev_b32_e32 v10, 4, v0
	s_lshl_b64 s[0:1], s[2:3], 2
	v_mul_lo_u32 v0, s10, v12
	s_add_u32 s11, s11, s0
	v_ashrrev_i32_e32 v1, 31, v0
	s_addc_u32 s12, s12, s1
	v_lshlrev_b64 v[8:9], 2, v[0:1]
	v_lshlrev_b32_e32 v11, 2, v2
	v_mov_b32_e32 v1, s12
	v_add_co_u32_e32 v2, vcc, s11, v8
	v_addc_co_u32_e32 v1, vcc, v1, v9, vcc
	s_mov_b64 s[0:1], src_shared_base
	v_add_co_u32_e32 v2, vcc, v2, v11
	v_add_u32_e32 v20, 0x5c00, v10
	v_mov_b32_e32 v3, 0
	v_addc_co_u32_e32 v1, vcc, 0, v1, vcc
	v_mov_b32_e32 v22, s1
	v_cmp_gt_i32_e64 s[0:1], s39, v12
	v_add_u32_e32 v21, 0x5c04, v10
	ds_write_b32 v10, v3 offset:23552
	ds_write2_b32 v21, v3, v3 offset1:1
	ds_write_b32 v10, v3 offset:23564
	v_cndmask_b32_e64 v9, v22, v1, s[0:1]
	v_cndmask_b32_e64 v8, v20, v2, s[0:1]
	flat_load_dwordx4 v[14:17], v[8:9]
	s_lshl_b32 s10, s10, 4
	v_add_u32_e32 v0, s10, v0
	v_ashrrev_i32_e32 v1, 31, v0
	v_lshlrev_b64 v[8:9], 2, v[0:1]
	v_mov_b32_e32 v18, s12
	v_add_co_u32_e32 v1, vcc, s11, v8
	v_addc_co_u32_e32 v8, vcc, v18, v9, vcc
	s_movk_i32 s2, 0x110
	v_add_u32_e32 v13, 16, v12
	v_add_co_u32_e32 v1, vcc, v1, v11
	v_mad_u32_u24 v2, v12, s2, v11
	v_addc_co_u32_e32 v8, vcc, 0, v8, vcc
	v_cmp_gt_i32_e64 s[2:3], s39, v13
	ds_write_b32 v10, v3 offset:23552
	ds_write2_b32 v21, v3, v3 offset1:1
	ds_write_b32 v10, v3 offset:23564
	v_cndmask_b32_e64 v9, v22, v8, s[2:3]
	v_cndmask_b32_e64 v8, v20, v1, s[2:3]
	v_add_u32_e32 v0, s10, v0
	v_ashrrev_i32_e32 v1, 31, v0
	s_cmp_lg_u64 s[40:41], 0
	s_waitcnt vmcnt(0) lgkmcnt(0)
	ds_write_b128 v2, v[14:17]
	flat_load_dwordx4 v[16:19], v[8:9]
	v_lshlrev_b64 v[8:9], 2, v[0:1]
	v_mov_b32_e32 v15, s12
	v_add_co_u32_e32 v1, vcc, s11, v8
	v_addc_co_u32_e32 v8, vcc, v15, v9, vcc
	v_add_u32_e32 v14, 32, v12
	v_add_co_u32_e32 v1, vcc, v1, v11
	v_addc_co_u32_e32 v8, vcc, 0, v8, vcc
	v_cmp_gt_i32_e64 s[4:5], s39, v14
	v_cndmask_b32_e64 v9, v22, v8, s[4:5]
	v_cndmask_b32_e64 v8, v20, v1, s[4:5]
	v_add_u32_e32 v0, s10, v0
	v_ashrrev_i32_e32 v1, 31, v0
	v_lshlrev_b64 v[0:1], 2, v[0:1]
	v_add_co_u32_e32 v0, vcc, s11, v0
	v_add_u32_e32 v15, 48, v12
	v_cmp_gt_i32_e64 s[16:17], s39, v15
	s_cselect_b64 s[10:11], -1, 0
	ds_write_b32 v10, v3 offset:23552
	ds_write2_b32 v21, v3, v3 offset1:1
	ds_write_b32 v10, v3 offset:23564
	s_waitcnt vmcnt(0) lgkmcnt(0)
	ds_write_b128 v2, v[16:19] offset:4352
	flat_load_dwordx4 v[16:19], v[8:9]
	v_mov_b32_e32 v8, s12
	v_addc_co_u32_e32 v1, vcc, v8, v1, vcc
	v_add_co_u32_e32 v0, vcc, v0, v11
	v_addc_co_u32_e32 v1, vcc, 0, v1, vcc
	v_cndmask_b32_e64 v1, v22, v1, s[16:17]
	v_cndmask_b32_e64 v0, v20, v0, s[16:17]
	v_lshlrev_b32_e32 v9, 9, v39
	v_mul_u32_u24_e32 v8, 0x110, v32
	v_cmp_gt_i32_e64 s[12:13], s39, v32
	ds_write_b32 v10, v3 offset:23552
	ds_write2_b32 v21, v3, v3 offset1:1
	ds_write_b32 v10, v3 offset:23564
	s_waitcnt vmcnt(0) lgkmcnt(0)
	ds_write_b128 v2, v[16:19] offset:8704
	flat_load_dwordx4 v[16:19], v[0:1]
	v_mov_b32_e32 v0, 0
	v_mov_b32_e32 v1, 0
	s_waitcnt vmcnt(0) lgkmcnt(0)
	ds_write_b128 v2, v[16:19] offset:13056
	s_waitcnt lgkmcnt(0)
	s_barrier
	ds_read_b128 v[16:19], v9 offset:17408
	ds_read_b128 v[20:23], v8
	ds_read_b128 v[24:27], v8 offset:8704
	ds_read_b128 v[46:49], v9 offset:17664
	s_waitcnt lgkmcnt(2)
	;;#ASMSTART
	v_dot2_f32_f16 v0, v20, v16, v0
	;;#ASMEND
	;;#ASMSTART
	v_dot2_f32_f16 v0, v21, v17, v0
	;;#ASMEND
	;; [unrolled: 3-line block ×4, first 2 shown]
	s_waitcnt lgkmcnt(0)
	;;#ASMSTART
	v_dot2_f32_f16 v1, v20, v46, v1
	;;#ASMEND
	;;#ASMSTART
	v_dot2_f32_f16 v1, v21, v47, v1
	;;#ASMEND
	v_mov_b32_e32 v2, 0
	;;#ASMSTART
	v_dot2_f32_f16 v1, v22, v48, v1
	;;#ASMEND
	;;#ASMSTART
	v_dot2_f32_f16 v1, v23, v49, v1
	;;#ASMEND
	;;#ASMSTART
	v_dot2_f32_f16 v2, v24, v16, v2
	;;#ASMEND
	;;#ASMSTART
	v_dot2_f32_f16 v2, v25, v17, v2
	;;#ASMEND
	;;#ASMSTART
	v_dot2_f32_f16 v2, v26, v18, v2
	;;#ASMEND
	;;#ASMSTART
	v_dot2_f32_f16 v2, v27, v19, v2
	;;#ASMEND
	;;#ASMSTART
	v_dot2_f32_f16 v3, v24, v46, v3
	;;#ASMEND
	;;#ASMSTART
	v_dot2_f32_f16 v3, v25, v47, v3
	;;#ASMEND
	;;#ASMSTART
	v_dot2_f32_f16 v3, v26, v48, v3
	;;#ASMEND
	;;#ASMSTART
	v_dot2_f32_f16 v3, v27, v49, v3
	;;#ASMEND
	ds_read_b128 v[16:19], v9 offset:17424
	ds_read_b128 v[20:23], v8 offset:16
	ds_read_b128 v[24:27], v8 offset:8720
	ds_read_b128 v[46:49], v9 offset:17680
	s_waitcnt lgkmcnt(2)
	;;#ASMSTART
	v_dot2_f32_f16 v0, v20, v16, v0
	;;#ASMEND
	;;#ASMSTART
	v_dot2_f32_f16 v0, v21, v17, v0
	;;#ASMEND
	;;#ASMSTART
	v_dot2_f32_f16 v0, v22, v18, v0
	;;#ASMEND
	;;#ASMSTART
	v_dot2_f32_f16 v0, v23, v19, v0
	;;#ASMEND
	s_waitcnt lgkmcnt(0)
	;;#ASMSTART
	v_dot2_f32_f16 v1, v20, v46, v1
	;;#ASMEND
	;;#ASMSTART
	v_dot2_f32_f16 v1, v21, v47, v1
	;;#ASMEND
	;;#ASMSTART
	v_dot2_f32_f16 v1, v22, v48, v1
	;;#ASMEND
	;;#ASMSTART
	v_dot2_f32_f16 v1, v23, v49, v1
	;;#ASMEND
	;;#ASMSTART
	v_dot2_f32_f16 v2, v24, v16, v2
	;;#ASMEND
	;;#ASMSTART
	v_dot2_f32_f16 v2, v25, v17, v2
	;;#ASMEND
	;;#ASMSTART
	v_dot2_f32_f16 v2, v26, v18, v2
	;;#ASMEND
	;;#ASMSTART
	v_dot2_f32_f16 v2, v27, v19, v2
	;;#ASMEND
	;;#ASMSTART
	v_dot2_f32_f16 v3, v24, v46, v3
	;;#ASMEND
	;;#ASMSTART
	v_dot2_f32_f16 v3, v25, v47, v3
	;;#ASMEND
	;;#ASMSTART
	v_dot2_f32_f16 v3, v26, v48, v3
	;;#ASMEND
	;;#ASMSTART
	v_dot2_f32_f16 v3, v27, v49, v3
	;;#ASMEND
	ds_read_b128 v[16:19], v9 offset:17440
	ds_read_b128 v[20:23], v8 offset:32
	ds_read_b128 v[24:27], v8 offset:8736
	ds_read_b128 v[46:49], v9 offset:17696
	s_waitcnt lgkmcnt(2)
	;;#ASMSTART
	v_dot2_f32_f16 v0, v20, v16, v0
	;;#ASMEND
	;;#ASMSTART
	v_dot2_f32_f16 v0, v21, v17, v0
	;;#ASMEND
	;;#ASMSTART
	v_dot2_f32_f16 v0, v22, v18, v0
	;;#ASMEND
	;;#ASMSTART
	v_dot2_f32_f16 v0, v23, v19, v0
	;;#ASMEND
	s_waitcnt lgkmcnt(0)
	;;#ASMSTART
	v_dot2_f32_f16 v1, v20, v46, v1
	;;#ASMEND
	;;#ASMSTART
	v_dot2_f32_f16 v1, v21, v47, v1
	;;#ASMEND
	;;#ASMSTART
	v_dot2_f32_f16 v1, v22, v48, v1
	;;#ASMEND
	;;#ASMSTART
	v_dot2_f32_f16 v1, v23, v49, v1
	;;#ASMEND
	;;#ASMSTART
	v_dot2_f32_f16 v2, v24, v16, v2
	;;#ASMEND
	;;#ASMSTART
	v_dot2_f32_f16 v2, v25, v17, v2
	;;#ASMEND
	;;#ASMSTART
	v_dot2_f32_f16 v2, v26, v18, v2
	;;#ASMEND
	;;#ASMSTART
	v_dot2_f32_f16 v2, v27, v19, v2
	;;#ASMEND
	;;#ASMSTART
	v_dot2_f32_f16 v3, v24, v46, v3
	;;#ASMEND
	;;#ASMSTART
	v_dot2_f32_f16 v3, v25, v47, v3
	;;#ASMEND
	;;#ASMSTART
	v_dot2_f32_f16 v3, v26, v48, v3
	;;#ASMEND
	;;#ASMSTART
	v_dot2_f32_f16 v3, v27, v49, v3
	;;#ASMEND
	ds_read_b128 v[16:19], v9 offset:17456
	ds_read_b128 v[20:23], v8 offset:48
	ds_read_b128 v[24:27], v8 offset:8752
	ds_read_b128 v[46:49], v9 offset:17712
	s_waitcnt lgkmcnt(2)
	;;#ASMSTART
	v_dot2_f32_f16 v0, v20, v16, v0
	;;#ASMEND
	;;#ASMSTART
	v_dot2_f32_f16 v0, v21, v17, v0
	;;#ASMEND
	;;#ASMSTART
	v_dot2_f32_f16 v0, v22, v18, v0
	;;#ASMEND
	;;#ASMSTART
	v_dot2_f32_f16 v0, v23, v19, v0
	;;#ASMEND
	s_waitcnt lgkmcnt(0)
	;;#ASMSTART
	v_dot2_f32_f16 v1, v20, v46, v1
	;;#ASMEND
	;;#ASMSTART
	v_dot2_f32_f16 v1, v21, v47, v1
	;;#ASMEND
	;;#ASMSTART
	v_dot2_f32_f16 v1, v22, v48, v1
	;;#ASMEND
	;;#ASMSTART
	v_dot2_f32_f16 v1, v23, v49, v1
	;;#ASMEND
	;;#ASMSTART
	v_dot2_f32_f16 v2, v24, v16, v2
	;;#ASMEND
	;;#ASMSTART
	v_dot2_f32_f16 v2, v25, v17, v2
	;;#ASMEND
	;;#ASMSTART
	v_dot2_f32_f16 v2, v26, v18, v2
	;;#ASMEND
	;;#ASMSTART
	v_dot2_f32_f16 v2, v27, v19, v2
	;;#ASMEND
	;;#ASMSTART
	v_dot2_f32_f16 v3, v24, v46, v3
	;;#ASMEND
	;;#ASMSTART
	v_dot2_f32_f16 v3, v25, v47, v3
	;;#ASMEND
	;;#ASMSTART
	v_dot2_f32_f16 v3, v26, v48, v3
	;;#ASMEND
	;;#ASMSTART
	v_dot2_f32_f16 v3, v27, v49, v3
	;;#ASMEND
	ds_read_b128 v[16:19], v9 offset:17472
	ds_read_b128 v[20:23], v8 offset:64
	ds_read_b128 v[24:27], v8 offset:8768
	ds_read_b128 v[46:49], v9 offset:17728
	s_waitcnt lgkmcnt(2)
	;;#ASMSTART
	v_dot2_f32_f16 v0, v20, v16, v0
	;;#ASMEND
	;;#ASMSTART
	v_dot2_f32_f16 v0, v21, v17, v0
	;;#ASMEND
	;;#ASMSTART
	v_dot2_f32_f16 v0, v22, v18, v0
	;;#ASMEND
	;;#ASMSTART
	v_dot2_f32_f16 v0, v23, v19, v0
	;;#ASMEND
	s_waitcnt lgkmcnt(0)
	;;#ASMSTART
	v_dot2_f32_f16 v1, v20, v46, v1
	;;#ASMEND
	;;#ASMSTART
	v_dot2_f32_f16 v1, v21, v47, v1
	;;#ASMEND
	;;#ASMSTART
	v_dot2_f32_f16 v1, v22, v48, v1
	;;#ASMEND
	;;#ASMSTART
	v_dot2_f32_f16 v1, v23, v49, v1
	;;#ASMEND
	;;#ASMSTART
	v_dot2_f32_f16 v2, v24, v16, v2
	;;#ASMEND
	;;#ASMSTART
	v_dot2_f32_f16 v2, v25, v17, v2
	;;#ASMEND
	;;#ASMSTART
	v_dot2_f32_f16 v2, v26, v18, v2
	;;#ASMEND
	;;#ASMSTART
	v_dot2_f32_f16 v2, v27, v19, v2
	;;#ASMEND
	;;#ASMSTART
	v_dot2_f32_f16 v3, v24, v46, v3
	;;#ASMEND
	;;#ASMSTART
	v_dot2_f32_f16 v3, v25, v47, v3
	;;#ASMEND
	;;#ASMSTART
	v_dot2_f32_f16 v3, v26, v48, v3
	;;#ASMEND
	;;#ASMSTART
	v_dot2_f32_f16 v3, v27, v49, v3
	;;#ASMEND
	ds_read_b128 v[16:19], v9 offset:17488
	ds_read_b128 v[20:23], v8 offset:80
	ds_read_b128 v[24:27], v8 offset:8784
	ds_read_b128 v[46:49], v9 offset:17744
	s_waitcnt lgkmcnt(2)
	;;#ASMSTART
	v_dot2_f32_f16 v0, v20, v16, v0
	;;#ASMEND
	;;#ASMSTART
	v_dot2_f32_f16 v0, v21, v17, v0
	;;#ASMEND
	;;#ASMSTART
	v_dot2_f32_f16 v0, v22, v18, v0
	;;#ASMEND
	;;#ASMSTART
	v_dot2_f32_f16 v0, v23, v19, v0
	;;#ASMEND
	s_waitcnt lgkmcnt(0)
	;;#ASMSTART
	v_dot2_f32_f16 v1, v20, v46, v1
	;;#ASMEND
	;;#ASMSTART
	v_dot2_f32_f16 v1, v21, v47, v1
	;;#ASMEND
	;;#ASMSTART
	v_dot2_f32_f16 v1, v22, v48, v1
	;;#ASMEND
	;;#ASMSTART
	v_dot2_f32_f16 v1, v23, v49, v1
	;;#ASMEND
	;;#ASMSTART
	v_dot2_f32_f16 v2, v24, v16, v2
	;;#ASMEND
	;;#ASMSTART
	v_dot2_f32_f16 v2, v25, v17, v2
	;;#ASMEND
	;;#ASMSTART
	v_dot2_f32_f16 v2, v26, v18, v2
	;;#ASMEND
	;;#ASMSTART
	v_dot2_f32_f16 v2, v27, v19, v2
	;;#ASMEND
	;;#ASMSTART
	v_dot2_f32_f16 v3, v24, v46, v3
	;;#ASMEND
	;;#ASMSTART
	v_dot2_f32_f16 v3, v25, v47, v3
	;;#ASMEND
	;;#ASMSTART
	v_dot2_f32_f16 v3, v26, v48, v3
	;;#ASMEND
	;;#ASMSTART
	v_dot2_f32_f16 v3, v27, v49, v3
	;;#ASMEND
	ds_read_b128 v[16:19], v9 offset:17504
	ds_read_b128 v[20:23], v8 offset:96
	ds_read_b128 v[24:27], v8 offset:8800
	ds_read_b128 v[46:49], v9 offset:17760
	s_waitcnt lgkmcnt(2)
	;;#ASMSTART
	v_dot2_f32_f16 v0, v20, v16, v0
	;;#ASMEND
	;;#ASMSTART
	v_dot2_f32_f16 v0, v21, v17, v0
	;;#ASMEND
	;;#ASMSTART
	v_dot2_f32_f16 v0, v22, v18, v0
	;;#ASMEND
	;;#ASMSTART
	v_dot2_f32_f16 v0, v23, v19, v0
	;;#ASMEND
	s_waitcnt lgkmcnt(0)
	;;#ASMSTART
	v_dot2_f32_f16 v1, v20, v46, v1
	;;#ASMEND
	;;#ASMSTART
	v_dot2_f32_f16 v1, v21, v47, v1
	;;#ASMEND
	;;#ASMSTART
	v_dot2_f32_f16 v1, v22, v48, v1
	;;#ASMEND
	;;#ASMSTART
	v_dot2_f32_f16 v1, v23, v49, v1
	;;#ASMEND
	;;#ASMSTART
	v_dot2_f32_f16 v2, v24, v16, v2
	;;#ASMEND
	;;#ASMSTART
	v_dot2_f32_f16 v2, v25, v17, v2
	;;#ASMEND
	;;#ASMSTART
	v_dot2_f32_f16 v2, v26, v18, v2
	;;#ASMEND
	;;#ASMSTART
	v_dot2_f32_f16 v2, v27, v19, v2
	;;#ASMEND
	;;#ASMSTART
	v_dot2_f32_f16 v3, v24, v46, v3
	;;#ASMEND
	;;#ASMSTART
	v_dot2_f32_f16 v3, v25, v47, v3
	;;#ASMEND
	;;#ASMSTART
	v_dot2_f32_f16 v3, v26, v48, v3
	;;#ASMEND
	;;#ASMSTART
	v_dot2_f32_f16 v3, v27, v49, v3
	;;#ASMEND
	ds_read_b128 v[16:19], v9 offset:17520
	ds_read_b128 v[20:23], v8 offset:112
	ds_read_b128 v[24:27], v8 offset:8816
	ds_read_b128 v[46:49], v9 offset:17776
	s_waitcnt lgkmcnt(2)
	;;#ASMSTART
	v_dot2_f32_f16 v0, v20, v16, v0
	;;#ASMEND
	;;#ASMSTART
	v_dot2_f32_f16 v0, v21, v17, v0
	;;#ASMEND
	;;#ASMSTART
	v_dot2_f32_f16 v0, v22, v18, v0
	;;#ASMEND
	;;#ASMSTART
	v_dot2_f32_f16 v0, v23, v19, v0
	;;#ASMEND
	s_waitcnt lgkmcnt(0)
	;;#ASMSTART
	v_dot2_f32_f16 v1, v20, v46, v1
	;;#ASMEND
	;;#ASMSTART
	v_dot2_f32_f16 v1, v21, v47, v1
	;;#ASMEND
	;;#ASMSTART
	v_dot2_f32_f16 v1, v22, v48, v1
	;;#ASMEND
	;;#ASMSTART
	v_dot2_f32_f16 v1, v23, v49, v1
	;;#ASMEND
	;;#ASMSTART
	v_dot2_f32_f16 v2, v24, v16, v2
	;;#ASMEND
	;;#ASMSTART
	v_dot2_f32_f16 v2, v25, v17, v2
	;;#ASMEND
	;;#ASMSTART
	v_dot2_f32_f16 v2, v26, v18, v2
	;;#ASMEND
	;;#ASMSTART
	v_dot2_f32_f16 v2, v27, v19, v2
	;;#ASMEND
	;;#ASMSTART
	v_dot2_f32_f16 v3, v24, v46, v3
	;;#ASMEND
	;;#ASMSTART
	v_dot2_f32_f16 v3, v25, v47, v3
	;;#ASMEND
	;;#ASMSTART
	v_dot2_f32_f16 v3, v26, v48, v3
	;;#ASMEND
	;;#ASMSTART
	v_dot2_f32_f16 v3, v27, v49, v3
	;;#ASMEND
	ds_read_b128 v[16:19], v9 offset:17536
	ds_read_b128 v[20:23], v8 offset:128
	ds_read_b128 v[24:27], v8 offset:8832
	ds_read_b128 v[46:49], v9 offset:17792
	s_waitcnt lgkmcnt(2)
	;;#ASMSTART
	v_dot2_f32_f16 v0, v20, v16, v0
	;;#ASMEND
	;;#ASMSTART
	v_dot2_f32_f16 v0, v21, v17, v0
	;;#ASMEND
	;;#ASMSTART
	v_dot2_f32_f16 v0, v22, v18, v0
	;;#ASMEND
	;;#ASMSTART
	v_dot2_f32_f16 v0, v23, v19, v0
	;;#ASMEND
	s_waitcnt lgkmcnt(0)
	;;#ASMSTART
	v_dot2_f32_f16 v1, v20, v46, v1
	;;#ASMEND
	;;#ASMSTART
	v_dot2_f32_f16 v1, v21, v47, v1
	;;#ASMEND
	;;#ASMSTART
	v_dot2_f32_f16 v1, v22, v48, v1
	;;#ASMEND
	;;#ASMSTART
	v_dot2_f32_f16 v1, v23, v49, v1
	;;#ASMEND
	;;#ASMSTART
	v_dot2_f32_f16 v2, v24, v16, v2
	;;#ASMEND
	;;#ASMSTART
	v_dot2_f32_f16 v2, v25, v17, v2
	;;#ASMEND
	;;#ASMSTART
	v_dot2_f32_f16 v2, v26, v18, v2
	;;#ASMEND
	;;#ASMSTART
	v_dot2_f32_f16 v2, v27, v19, v2
	;;#ASMEND
	;;#ASMSTART
	v_dot2_f32_f16 v3, v24, v46, v3
	;;#ASMEND
	;;#ASMSTART
	v_dot2_f32_f16 v3, v25, v47, v3
	;;#ASMEND
	;;#ASMSTART
	v_dot2_f32_f16 v3, v26, v48, v3
	;;#ASMEND
	;;#ASMSTART
	v_dot2_f32_f16 v3, v27, v49, v3
	;;#ASMEND
	ds_read_b128 v[16:19], v9 offset:17552
	ds_read_b128 v[20:23], v8 offset:144
	ds_read_b128 v[24:27], v8 offset:8848
	ds_read_b128 v[46:49], v9 offset:17808
	s_waitcnt lgkmcnt(2)
	;;#ASMSTART
	v_dot2_f32_f16 v0, v20, v16, v0
	;;#ASMEND
	;;#ASMSTART
	v_dot2_f32_f16 v0, v21, v17, v0
	;;#ASMEND
	;;#ASMSTART
	v_dot2_f32_f16 v0, v22, v18, v0
	;;#ASMEND
	;;#ASMSTART
	v_dot2_f32_f16 v0, v23, v19, v0
	;;#ASMEND
	s_waitcnt lgkmcnt(0)
	;;#ASMSTART
	v_dot2_f32_f16 v1, v20, v46, v1
	;;#ASMEND
	;;#ASMSTART
	v_dot2_f32_f16 v1, v21, v47, v1
	;;#ASMEND
	;;#ASMSTART
	v_dot2_f32_f16 v1, v22, v48, v1
	;;#ASMEND
	;;#ASMSTART
	v_dot2_f32_f16 v1, v23, v49, v1
	;;#ASMEND
	;;#ASMSTART
	v_dot2_f32_f16 v2, v24, v16, v2
	;;#ASMEND
	;;#ASMSTART
	v_dot2_f32_f16 v2, v25, v17, v2
	;;#ASMEND
	;;#ASMSTART
	v_dot2_f32_f16 v2, v26, v18, v2
	;;#ASMEND
	;;#ASMSTART
	v_dot2_f32_f16 v2, v27, v19, v2
	;;#ASMEND
	;;#ASMSTART
	v_dot2_f32_f16 v3, v24, v46, v3
	;;#ASMEND
	;;#ASMSTART
	v_dot2_f32_f16 v3, v25, v47, v3
	;;#ASMEND
	;;#ASMSTART
	v_dot2_f32_f16 v3, v26, v48, v3
	;;#ASMEND
	;;#ASMSTART
	v_dot2_f32_f16 v3, v27, v49, v3
	;;#ASMEND
	ds_read_b128 v[16:19], v9 offset:17568
	ds_read_b128 v[20:23], v8 offset:160
	ds_read_b128 v[24:27], v8 offset:8864
	ds_read_b128 v[46:49], v9 offset:17824
	s_waitcnt lgkmcnt(2)
	;;#ASMSTART
	v_dot2_f32_f16 v0, v20, v16, v0
	;;#ASMEND
	;;#ASMSTART
	v_dot2_f32_f16 v0, v21, v17, v0
	;;#ASMEND
	;;#ASMSTART
	v_dot2_f32_f16 v0, v22, v18, v0
	;;#ASMEND
	;;#ASMSTART
	v_dot2_f32_f16 v0, v23, v19, v0
	;;#ASMEND
	s_waitcnt lgkmcnt(0)
	;;#ASMSTART
	v_dot2_f32_f16 v1, v20, v46, v1
	;;#ASMEND
	;;#ASMSTART
	v_dot2_f32_f16 v1, v21, v47, v1
	;;#ASMEND
	;;#ASMSTART
	v_dot2_f32_f16 v1, v22, v48, v1
	;;#ASMEND
	;;#ASMSTART
	v_dot2_f32_f16 v1, v23, v49, v1
	;;#ASMEND
	;;#ASMSTART
	v_dot2_f32_f16 v2, v24, v16, v2
	;;#ASMEND
	;;#ASMSTART
	v_dot2_f32_f16 v2, v25, v17, v2
	;;#ASMEND
	;;#ASMSTART
	v_dot2_f32_f16 v2, v26, v18, v2
	;;#ASMEND
	;;#ASMSTART
	v_dot2_f32_f16 v2, v27, v19, v2
	;;#ASMEND
	;;#ASMSTART
	v_dot2_f32_f16 v3, v24, v46, v3
	;;#ASMEND
	;;#ASMSTART
	v_dot2_f32_f16 v3, v25, v47, v3
	;;#ASMEND
	;;#ASMSTART
	v_dot2_f32_f16 v3, v26, v48, v3
	;;#ASMEND
	;;#ASMSTART
	v_dot2_f32_f16 v3, v27, v49, v3
	;;#ASMEND
	ds_read_b128 v[16:19], v9 offset:17584
	ds_read_b128 v[20:23], v8 offset:176
	ds_read_b128 v[24:27], v8 offset:8880
	ds_read_b128 v[46:49], v9 offset:17840
	s_waitcnt lgkmcnt(2)
	;;#ASMSTART
	v_dot2_f32_f16 v0, v20, v16, v0
	;;#ASMEND
	;;#ASMSTART
	v_dot2_f32_f16 v0, v21, v17, v0
	;;#ASMEND
	;;#ASMSTART
	v_dot2_f32_f16 v0, v22, v18, v0
	;;#ASMEND
	;;#ASMSTART
	v_dot2_f32_f16 v0, v23, v19, v0
	;;#ASMEND
	s_waitcnt lgkmcnt(0)
	;;#ASMSTART
	v_dot2_f32_f16 v1, v20, v46, v1
	;;#ASMEND
	;;#ASMSTART
	v_dot2_f32_f16 v1, v21, v47, v1
	;;#ASMEND
	;;#ASMSTART
	v_dot2_f32_f16 v1, v22, v48, v1
	;;#ASMEND
	;;#ASMSTART
	v_dot2_f32_f16 v1, v23, v49, v1
	;;#ASMEND
	;;#ASMSTART
	v_dot2_f32_f16 v2, v24, v16, v2
	;;#ASMEND
	;;#ASMSTART
	v_dot2_f32_f16 v2, v25, v17, v2
	;;#ASMEND
	;;#ASMSTART
	v_dot2_f32_f16 v2, v26, v18, v2
	;;#ASMEND
	;;#ASMSTART
	v_dot2_f32_f16 v2, v27, v19, v2
	;;#ASMEND
	;;#ASMSTART
	v_dot2_f32_f16 v3, v24, v46, v3
	;;#ASMEND
	;;#ASMSTART
	v_dot2_f32_f16 v3, v25, v47, v3
	;;#ASMEND
	;;#ASMSTART
	v_dot2_f32_f16 v3, v26, v48, v3
	;;#ASMEND
	;;#ASMSTART
	v_dot2_f32_f16 v3, v27, v49, v3
	;;#ASMEND
	ds_read_b128 v[16:19], v9 offset:17600
	ds_read_b128 v[20:23], v8 offset:192
	ds_read_b128 v[24:27], v8 offset:8896
	ds_read_b128 v[46:49], v9 offset:17856
	s_waitcnt lgkmcnt(2)
	;;#ASMSTART
	v_dot2_f32_f16 v0, v20, v16, v0
	;;#ASMEND
	;;#ASMSTART
	v_dot2_f32_f16 v0, v21, v17, v0
	;;#ASMEND
	;;#ASMSTART
	v_dot2_f32_f16 v0, v22, v18, v0
	;;#ASMEND
	;;#ASMSTART
	v_dot2_f32_f16 v0, v23, v19, v0
	;;#ASMEND
	s_waitcnt lgkmcnt(0)
	;;#ASMSTART
	v_dot2_f32_f16 v1, v20, v46, v1
	;;#ASMEND
	;;#ASMSTART
	v_dot2_f32_f16 v1, v21, v47, v1
	;;#ASMEND
	;;#ASMSTART
	v_dot2_f32_f16 v1, v22, v48, v1
	;;#ASMEND
	;;#ASMSTART
	v_dot2_f32_f16 v1, v23, v49, v1
	;;#ASMEND
	;;#ASMSTART
	v_dot2_f32_f16 v2, v24, v16, v2
	;;#ASMEND
	;;#ASMSTART
	v_dot2_f32_f16 v2, v25, v17, v2
	;;#ASMEND
	;;#ASMSTART
	v_dot2_f32_f16 v2, v26, v18, v2
	;;#ASMEND
	;;#ASMSTART
	v_dot2_f32_f16 v2, v27, v19, v2
	;;#ASMEND
	;;#ASMSTART
	v_dot2_f32_f16 v3, v24, v46, v3
	;;#ASMEND
	;;#ASMSTART
	v_dot2_f32_f16 v3, v25, v47, v3
	;;#ASMEND
	;;#ASMSTART
	v_dot2_f32_f16 v3, v26, v48, v3
	;;#ASMEND
	;;#ASMSTART
	v_dot2_f32_f16 v3, v27, v49, v3
	;;#ASMEND
	ds_read_b128 v[18:21], v9 offset:17616
	ds_read_b128 v[22:25], v8 offset:208
	ds_read_b128 v[26:29], v8 offset:8912
	ds_read_b128 v[46:49], v9 offset:17872
	s_waitcnt lgkmcnt(2)
	;;#ASMSTART
	v_dot2_f32_f16 v0, v22, v18, v0
	;;#ASMEND
	;;#ASMSTART
	v_dot2_f32_f16 v0, v23, v19, v0
	;;#ASMEND
	;;#ASMSTART
	v_dot2_f32_f16 v0, v24, v20, v0
	;;#ASMEND
	;;#ASMSTART
	v_dot2_f32_f16 v0, v25, v21, v0
	;;#ASMEND
	s_waitcnt lgkmcnt(0)
	;;#ASMSTART
	v_dot2_f32_f16 v1, v22, v46, v1
	;;#ASMEND
	;;#ASMSTART
	v_dot2_f32_f16 v1, v23, v47, v1
	;;#ASMEND
	;;#ASMSTART
	v_dot2_f32_f16 v1, v24, v48, v1
	;;#ASMEND
	;;#ASMSTART
	v_dot2_f32_f16 v1, v25, v49, v1
	;;#ASMEND
	;;#ASMSTART
	v_dot2_f32_f16 v2, v26, v18, v2
	;;#ASMEND
	;;#ASMSTART
	v_dot2_f32_f16 v2, v27, v19, v2
	;;#ASMEND
	;;#ASMSTART
	v_dot2_f32_f16 v2, v28, v20, v2
	;;#ASMEND
	;;#ASMSTART
	v_dot2_f32_f16 v2, v29, v21, v2
	;;#ASMEND
	;;#ASMSTART
	v_dot2_f32_f16 v3, v26, v46, v3
	;;#ASMEND
	;;#ASMSTART
	v_dot2_f32_f16 v3, v27, v47, v3
	;;#ASMEND
	;;#ASMSTART
	v_dot2_f32_f16 v3, v28, v48, v3
	;;#ASMEND
	;;#ASMSTART
	v_dot2_f32_f16 v3, v29, v49, v3
	;;#ASMEND
	ds_read_b128 v[18:21], v9 offset:17632
	ds_read_b128 v[22:25], v8 offset:224
	ds_read_b128 v[26:29], v8 offset:8928
	ds_read_b128 v[46:49], v9 offset:17888
	s_waitcnt lgkmcnt(2)
	;;#ASMSTART
	v_dot2_f32_f16 v0, v22, v18, v0
	;;#ASMEND
	;;#ASMSTART
	v_dot2_f32_f16 v0, v23, v19, v0
	;;#ASMEND
	;;#ASMSTART
	v_dot2_f32_f16 v0, v24, v20, v0
	;;#ASMEND
	;;#ASMSTART
	v_dot2_f32_f16 v0, v25, v21, v0
	;;#ASMEND
	s_waitcnt lgkmcnt(0)
	;;#ASMSTART
	v_dot2_f32_f16 v1, v22, v46, v1
	;;#ASMEND
	;;#ASMSTART
	v_dot2_f32_f16 v1, v23, v47, v1
	;;#ASMEND
	;;#ASMSTART
	v_dot2_f32_f16 v1, v24, v48, v1
	;;#ASMEND
	;;#ASMSTART
	v_dot2_f32_f16 v1, v25, v49, v1
	;;#ASMEND
	;;#ASMSTART
	v_dot2_f32_f16 v2, v26, v18, v2
	;;#ASMEND
	;;#ASMSTART
	v_dot2_f32_f16 v2, v27, v19, v2
	;;#ASMEND
	;;#ASMSTART
	v_dot2_f32_f16 v2, v28, v20, v2
	;;#ASMEND
	;;#ASMSTART
	v_dot2_f32_f16 v2, v29, v21, v2
	;;#ASMEND
	;;#ASMSTART
	v_dot2_f32_f16 v3, v26, v46, v3
	;;#ASMEND
	;;#ASMSTART
	v_dot2_f32_f16 v3, v27, v47, v3
	;;#ASMEND
	;;#ASMSTART
	v_dot2_f32_f16 v3, v28, v48, v3
	;;#ASMEND
	;;#ASMSTART
	v_dot2_f32_f16 v3, v29, v49, v3
	;;#ASMEND
	ds_read_b128 v[18:21], v8 offset:240
	ds_read_b128 v[22:25], v9 offset:17648
	ds_read_b128 v[26:29], v8 offset:8944
	ds_read_b128 v[46:49], v9 offset:17904
	s_waitcnt lgkmcnt(2)
	;;#ASMSTART
	v_dot2_f32_f16 v0, v18, v22, v0
	;;#ASMEND
	;;#ASMSTART
	v_dot2_f32_f16 v0, v19, v23, v0
	;;#ASMEND
	;;#ASMSTART
	v_dot2_f32_f16 v0, v20, v24, v0
	;;#ASMEND
	;;#ASMSTART
	v_dot2_f32_f16 v0, v21, v25, v0
	;;#ASMEND
	s_waitcnt lgkmcnt(0)
	;;#ASMSTART
	v_dot2_f32_f16 v1, v18, v46, v1
	;;#ASMEND
	;;#ASMSTART
	v_dot2_f32_f16 v1, v19, v47, v1
	;;#ASMEND
	;;#ASMSTART
	v_dot2_f32_f16 v1, v20, v48, v1
	;;#ASMEND
	;;#ASMSTART
	v_dot2_f32_f16 v1, v21, v49, v1
	;;#ASMEND
	;; [unrolled: 3-line block ×7, first 2 shown]
	v_cndmask_b32_e64 v17, 0, 1, s[10:11]
	;;#ASMSTART
	v_dot2_f32_f16 v3, v27, v47, v3
	;;#ASMEND
	v_add_u32_e32 v16, s36, v45
	v_cmp_ne_u32_e64 s[10:11], 1, v17
	;;#ASMSTART
	v_dot2_f32_f16 v3, v28, v48, v3
	;;#ASMEND
	v_pk_mov_b32 v[8:9], v[4:5], v[4:5] op_sel:[0,1]
	;;#ASMSTART
	v_dot2_f32_f16 v3, v29, v49, v3
	;;#ASMEND
	s_and_saveexec_b64 s[14:15], s[12:13]
	s_cbranch_execz .LBB59_27
; %bb.23:
	s_and_b64 vcc, exec, s[10:11]
	s_cbranch_vccnz .LBB59_25
; %bb.24:
	v_add_u32_e32 v8, v16, v32
	v_ashrrev_i32_e32 v9, 31, v8
	v_lshlrev_b64 v[8:9], 1, v[8:9]
	v_mov_b32_e32 v17, s41
	v_add_co_u32_e32 v8, vcc, s40, v8
	v_addc_co_u32_e32 v9, vcc, v17, v9, vcc
	flat_load_ushort v8, v[8:9]
	s_waitcnt vmcnt(0) lgkmcnt(0)
	v_cvt_f32_f16_e32 v8, v8
	v_mul_f32_e32 v8, v42, v8
	s_branch .LBB59_26
.LBB59_25:
	v_mov_b32_e32 v8, 0
.LBB59_26:
	v_add_f32_e32 v0, v0, v8
	v_add_f32_e32 v8, 0x40051340, v0
	v_max_f32_e32 v9, v4, v4
	v_max_f32_e32 v8, v9, v8
	v_mov_b32_e32 v9, v5
.LBB59_27:
	s_or_b64 exec, exec, s[14:15]
	v_add_u32_e32 v25, 32, v32
	v_cmp_gt_i32_e64 s[14:15], s39, v25
	s_and_saveexec_b64 s[18:19], s[14:15]
	s_cbranch_execz .LBB59_32
; %bb.28:
	s_and_b64 vcc, exec, s[10:11]
	s_cbranch_vccnz .LBB59_30
; %bb.29:
	v_ashrrev_i32_e32 v17, 31, v16
	v_add_co_u32_e32 v16, vcc, v16, v32
	v_addc_co_u32_e32 v17, vcc, 0, v17, vcc
	v_lshlrev_b64 v[16:17], 1, v[16:17]
	v_mov_b32_e32 v18, s41
	v_add_co_u32_e32 v16, vcc, s40, v16
	v_addc_co_u32_e32 v17, vcc, v18, v17, vcc
	flat_load_ushort v16, v[16:17] offset:64
	s_waitcnt vmcnt(0) lgkmcnt(0)
	v_cvt_f32_f16_e32 v16, v16
	v_mul_f32_e32 v16, v42, v16
	s_branch .LBB59_31
.LBB59_30:
	v_mov_b32_e32 v16, 0
.LBB59_31:
	v_add_f32_e32 v2, v2, v16
	v_add_f32_e32 v16, 0x40051340, v2
	v_max_f32_e32 v8, v8, v8
	v_max_f32_e32 v8, v8, v16
.LBB59_32:
	s_or_b64 exec, exec, s[18:19]
	v_mbcnt_hi_u32_b32 v16, -1, v44
	v_and_b32_e32 v17, 0x60, v16
	v_add_u32_e32 v17, 32, v17
	v_xor_b32_e32 v18, 16, v16
	v_cmp_lt_i32_e32 vcc, v18, v17
	v_cndmask_b32_e32 v19, v16, v18, vcc
	v_lshlrev_b32_e32 v27, 2, v19
	ds_bpermute_b32 v20, v27, v8
	v_xor_b32_e32 v19, 8, v16
	v_cmp_lt_i32_e32 vcc, v19, v17
	v_cndmask_b32_e32 v21, v16, v19, vcc
	v_max_f32_e32 v8, v8, v8
	s_waitcnt lgkmcnt(0)
	v_max_f32_e32 v20, v20, v20
	v_lshlrev_b32_e32 v28, 2, v21
	v_max_f32_e32 v8, v8, v20
	ds_bpermute_b32 v21, v28, v8
	v_xor_b32_e32 v20, 4, v16
	v_cmp_lt_i32_e32 vcc, v20, v17
	v_cndmask_b32_e32 v22, v16, v20, vcc
	v_lshlrev_b32_e32 v23, 2, v22
	s_waitcnt lgkmcnt(0)
	v_max_f32_e32 v21, v21, v21
	v_max_f32_e32 v8, v8, v21
	ds_bpermute_b32 v22, v23, v8
	v_xor_b32_e32 v21, 2, v16
	v_cmp_lt_i32_e32 vcc, v21, v17
	v_cndmask_b32_e32 v24, v16, v21, vcc
	v_lshlrev_b32_e32 v24, 2, v24
	s_waitcnt lgkmcnt(0)
	v_max_f32_e32 v22, v22, v22
	;; [unrolled: 8-line block ×3, first 2 shown]
	v_max_f32_e32 v8, v8, v29
	ds_bpermute_b32 v29, v26, v8
	v_mul_hi_u32 v44, s28, v43
	s_waitcnt lgkmcnt(0)
	v_max_f32_e32 v29, v29, v29
	v_max_f32_e32 v8, v8, v29
	v_add_u32_e32 v29, v43, v44
	v_lshrrev_b32_e32 v29, s29, v29
	v_mul_lo_u32 v29, v29, s30
	v_sub_u32_e32 v29, v43, v29
	v_mul_lo_u32 v29, v29, s37
	v_add_u32_e32 v29, s36, v29
	s_and_saveexec_b64 s[18:19], s[12:13]
	s_cbranch_execz .LBB59_37
; %bb.33:
	s_and_b64 vcc, exec, s[10:11]
	s_cbranch_vccnz .LBB59_35
; %bb.34:
	v_add_u32_e32 v44, v29, v32
	v_ashrrev_i32_e32 v45, 31, v44
	v_lshlrev_b64 v[44:45], 1, v[44:45]
	v_mov_b32_e32 v43, s41
	v_add_co_u32_e32 v44, vcc, s40, v44
	v_addc_co_u32_e32 v45, vcc, v43, v45, vcc
	flat_load_ushort v43, v[44:45]
	s_waitcnt vmcnt(0) lgkmcnt(0)
	v_cvt_f32_f16_e32 v43, v43
	v_mul_f32_e32 v43, v42, v43
	s_branch .LBB59_36
.LBB59_35:
	v_mov_b32_e32 v43, 0
.LBB59_36:
	v_add_f32_e32 v1, v1, v43
	v_add_f32_e32 v43, 0x40051340, v1
	v_max_f32_e32 v9, v9, v9
	v_max_f32_e32 v9, v9, v43
.LBB59_37:
	s_or_b64 exec, exec, s[18:19]
	s_and_saveexec_b64 s[12:13], s[14:15]
	s_cbranch_execz .LBB59_42
; %bb.38:
	s_and_b64 vcc, exec, s[10:11]
	s_cbranch_vccnz .LBB59_40
; %bb.39:
	v_ashrrev_i32_e32 v43, 31, v29
	v_add_co_u32_e32 v44, vcc, v29, v32
	v_addc_co_u32_e32 v45, vcc, 0, v43, vcc
	v_lshlrev_b64 v[44:45], 1, v[44:45]
	v_mov_b32_e32 v29, s41
	v_add_co_u32_e32 v44, vcc, s40, v44
	v_addc_co_u32_e32 v45, vcc, v29, v45, vcc
	flat_load_ushort v29, v[44:45] offset:64
	s_waitcnt vmcnt(0) lgkmcnt(0)
	v_cvt_f32_f16_e32 v29, v29
	v_mul_f32_e32 v29, v42, v29
	s_branch .LBB59_41
.LBB59_40:
	v_mov_b32_e32 v29, 0
.LBB59_41:
	v_add_f32_e32 v3, v3, v29
	v_add_f32_e32 v29, 0x40051340, v3
	v_max_f32_e32 v9, v9, v9
	v_max_f32_e32 v9, v9, v29
.LBB59_42:
	s_or_b64 exec, exec, s[12:13]
	ds_bpermute_b32 v27, v27, v9
	v_max_f32_e32 v9, v9, v9
	v_sub_f32_e32 v0, v0, v8
	s_mov_b32 s15, 0x3fb8aa3b
	s_mov_b32 s14, 0xc2ce8ed0
	s_waitcnt lgkmcnt(0)
	v_max_f32_e32 v27, v27, v27
	v_max_f32_e32 v9, v9, v27
	ds_bpermute_b32 v27, v28, v9
	s_mov_b32 s18, 0x42b17218
	v_cmp_ngt_f32_e32 vcc, s14, v0
	v_sub_f32_e32 v2, v2, v8
	v_cmp_ngt_f32_e64 s[10:11], s14, v2
	s_waitcnt lgkmcnt(0)
	v_max_f32_e32 v27, v27, v27
	v_max_f32_e32 v9, v9, v27
	ds_bpermute_b32 v23, v23, v9
	v_mul_f32_e32 v27, 0x3fb8aa3b, v0
	v_fma_f32 v28, v0, s15, -v27
	v_rndne_f32_e32 v29, v27
	v_fmac_f32_e32 v28, 0x32a5705f, v0
	s_waitcnt lgkmcnt(0)
	v_max_f32_e32 v23, v23, v23
	v_max_f32_e32 v9, v9, v23
	ds_bpermute_b32 v23, v24, v9
	v_sub_f32_e32 v24, v27, v29
	v_add_f32_e32 v24, v24, v28
	v_cvt_i32_f32_e32 v27, v29
	v_exp_f32_e32 v24, v24
	s_waitcnt lgkmcnt(0)
	v_max_f32_e32 v23, v23, v23
	v_max_f32_e32 v9, v9, v23
	ds_bpermute_b32 v23, v26, v9
	v_ldexp_f32 v24, v24, v27
	v_cndmask_b32_e32 v26, 0, v24, vcc
	v_mov_b32_e32 v24, 0x7f800000
	v_cmp_nlt_f32_e32 vcc, s18, v0
	s_waitcnt lgkmcnt(0)
	v_max_f32_e32 v23, v23, v23
	v_max_f32_e32 v9, v9, v23
	v_mul_f32_e32 v23, 0x3fb8aa3b, v2
	v_cndmask_b32_e32 v0, v24, v26, vcc
	v_fma_f32 v26, v2, s15, -v23
	v_rndne_f32_e32 v27, v23
	v_fmac_f32_e32 v26, 0x32a5705f, v2
	v_sub_f32_e32 v23, v23, v27
	v_add_f32_e32 v23, v23, v26
	v_exp_f32_e32 v23, v23
	v_cvt_i32_f32_e32 v26, v27
	v_sub_f32_e32 v1, v1, v9
	v_sub_f32_e32 v3, v3, v9
	v_cmp_ngt_f32_e64 s[12:13], s14, v1
	v_ldexp_f32 v23, v23, v26
	v_cndmask_b32_e64 v23, 0, v23, s[10:11]
	v_cmp_nlt_f32_e64 s[10:11], s18, v2
	v_cndmask_b32_e64 v2, v24, v23, s[10:11]
	v_mul_f32_e32 v23, 0x3fb8aa3b, v1
	v_fma_f32 v26, v1, s15, -v23
	v_rndne_f32_e32 v27, v23
	v_fmac_f32_e32 v26, 0x32a5705f, v1
	v_sub_f32_e32 v23, v23, v27
	v_add_f32_e32 v23, v23, v26
	v_exp_f32_e32 v23, v23
	v_cvt_i32_f32_e32 v26, v27
	v_cmp_gt_u32_e32 vcc, s39, v32
	v_cndmask_b32_e32 v43, 0, v0, vcc
	v_cvt_f16_f32_e32 v0, v43
	v_ldexp_f32 v23, v23, v26
	v_mul_f32_e32 v26, 0x3fb8aa3b, v3
	v_fma_f32 v27, v3, s15, -v26
	v_rndne_f32_e32 v28, v26
	v_fmac_f32_e32 v27, 0x32a5705f, v3
	v_sub_f32_e32 v26, v26, v28
	v_add_f32_e32 v26, v26, v27
	v_exp_f32_e32 v26, v26
	v_cvt_i32_f32_e32 v27, v28
	v_cndmask_b32_e64 v23, 0, v23, s[12:13]
	v_cmp_nlt_f32_e64 s[12:13], s18, v1
	v_cndmask_b32_e64 v1, v24, v23, s[12:13]
	v_cndmask_b32_e32 v45, 0, v1, vcc
	v_ldexp_f32 v23, v26, v27
	v_cmp_ngt_f32_e32 vcc, s14, v3
	v_cndmask_b32_e32 v23, 0, v23, vcc
	v_cmp_nlt_f32_e32 vcc, s18, v3
	v_cmp_gt_u32_e64 s[10:11], s39, v25
	v_cvt_f16_f32_e32 v1, v45
	v_cndmask_b32_e32 v3, v24, v23, vcc
	v_cndmask_b32_e64 v44, 0, v2, s[10:11]
	v_cndmask_b32_e64 v46, 0, v3, s[10:11]
	v_cvt_f16_f32_e32 v2, v44
	v_cvt_f16_f32_e32 v3, v46
	v_lshlrev_b32_e32 v23, 8, v39
	v_add_u32_e32 v26, 0x5400, v23
	v_add_u32_e32 v27, v26, v34
	v_pack_b32_f16 v0, v0, v1
	s_mul_hi_i32 s11, s36, s8
	s_mul_i32 s10, s36, s8
	s_barrier
	ds_write_b32 v27, v0
	v_lshl_add_u32 v0, v25, 2, v26
	s_lshl_b64 s[10:11], s[10:11], 2
	v_mul_lo_u32 v26, s8, v12
	v_pack_b32_f16 v1, v2, v3
	s_add_u32 s12, s22, s10
	v_ashrrev_i32_e32 v27, 31, v26
	ds_write_b32 v0, v1
	s_addc_u32 s13, s23, s11
	v_lshlrev_b64 v[0:1], 2, v[26:27]
	v_mov_b32_e32 v2, s13
	v_add_co_u32_e32 v0, vcc, s12, v0
	v_addc_co_u32_e32 v1, vcc, v2, v1, vcc
	s_mov_b64 s[10:11], src_shared_base
	v_add_co_u32_e32 v0, vcc, v0, v11
	v_add_u32_e32 v42, 0x6c00, v10
	v_addc_co_u32_e32 v1, vcc, 0, v1, vcc
	v_mov_b32_e32 v39, 0
	v_mov_b32_e32 v47, s11
	v_add_u32_e32 v25, 0x6c04, v10
	ds_write_b32 v10, v39 offset:27648
	ds_write2_b32 v25, v39, v39 offset1:1
	ds_write_b32 v10, v39 offset:27660
	v_cndmask_b32_e64 v1, v47, v1, s[0:1]
	v_cndmask_b32_e64 v0, v42, v0, s[0:1]
	flat_load_dwordx4 v[0:3], v[0:1]
	s_lshl_b32 s0, s8, 4
	v_add_u32_e32 v26, s0, v26
	v_ashrrev_i32_e32 v27, 31, v26
	v_lshlrev_b64 v[28:29], 2, v[26:27]
	v_mov_b32_e32 v27, s13
	v_add_co_u32_e32 v28, vcc, s12, v28
	v_addc_co_u32_e32 v27, vcc, v27, v29, vcc
	v_add_co_u32_e32 v28, vcc, v28, v11
	v_lshl_or_b32 v12, v12, 8, v11
	v_addc_co_u32_e32 v27, vcc, 0, v27, vcc
	v_mov_b32_e32 v29, s13
	v_lshl_or_b32 v14, v14, 8, v11
	v_sub_f32_e32 v4, v4, v8
	v_sub_f32_e32 v5, v5, v9
	v_add_u32_e32 v142, 0x2000, v36
	v_add_u32_e32 v150, 0x2800, v36
	s_waitcnt vmcnt(0) lgkmcnt(0)
	ds_write_b128 v12, v[0:3]
	ds_write_b32 v10, v39 offset:27648
	ds_write2_b32 v25, v39, v39 offset1:1
	ds_write_b32 v10, v39 offset:27660
	v_cndmask_b32_e64 v1, v47, v27, s[2:3]
	v_cndmask_b32_e64 v0, v42, v28, s[2:3]
	flat_load_dwordx4 v[0:3], v[0:1]
	v_add_u32_e32 v12, s0, v26
	v_lshl_or_b32 v28, v13, 8, v11
	v_ashrrev_i32_e32 v13, 31, v12
	v_lshlrev_b64 v[26:27], 2, v[12:13]
	v_add_co_u32_e32 v13, vcc, s12, v26
	v_addc_co_u32_e32 v26, vcc, v29, v27, vcc
	v_add_co_u32_e32 v13, vcc, v13, v11
	v_addc_co_u32_e32 v26, vcc, 0, v26, vcc
	v_cndmask_b32_e64 v27, v47, v26, s[4:5]
	v_cndmask_b32_e64 v26, v42, v13, s[4:5]
	v_add_u32_e32 v12, s0, v12
	v_ashrrev_i32_e32 v13, 31, v12
	v_lshlrev_b64 v[12:13], 2, v[12:13]
	v_add_co_u32_e32 v12, vcc, s12, v12
	v_add_u32_e32 v29, 0x1000, v36
	ds_write_b32 v10, v39 offset:27648
	ds_write2_b32 v25, v39, v39 offset1:1
	ds_write_b32 v10, v39 offset:27660
	s_waitcnt vmcnt(0) lgkmcnt(0)
	ds_write_b128 v28, v[0:3]
	flat_load_dwordx4 v[0:3], v[26:27]
	v_mov_b32_e32 v26, s13
	v_addc_co_u32_e32 v13, vcc, v26, v13, vcc
	v_add_co_u32_e32 v12, vcc, v12, v11
	v_addc_co_u32_e32 v13, vcc, 0, v13, vcc
	v_cndmask_b32_e64 v13, v47, v13, s[16:17]
	v_cndmask_b32_e64 v12, v42, v12, s[16:17]
	v_cmp_ngt_f32_e32 vcc, s14, v4
	v_add_u32_e32 v28, 0x800, v36
	ds_write_b32 v10, v39 offset:27648
	ds_write2_b32 v25, v39, v39 offset1:1
	ds_write_b32 v10, v39 offset:27660
	s_waitcnt vmcnt(0) lgkmcnt(0)
	ds_write_b128 v14, v[0:3]
	flat_load_dwordx4 v[0:3], v[12:13]
	v_mul_f32_e32 v10, 0x3fb8aa3b, v4
	v_lshl_or_b32 v12, v15, 8, v11
	v_fma_f32 v11, v4, s15, -v10
	v_rndne_f32_e32 v13, v10
	v_fmac_f32_e32 v11, 0x32a5705f, v4
	v_sub_f32_e32 v10, v10, v13
	v_add_f32_e32 v10, v10, v11
	v_cvt_i32_f32_e32 v13, v13
	v_exp_f32_e32 v10, v10
	v_mul_f32_e32 v11, 0x3fb8aa3b, v5
	v_rndne_f32_e32 v14, v11
	v_add_u32_e32 v39, 0x1800, v36
	v_ldexp_f32 v10, v10, v13
	v_fma_f32 v13, v5, s15, -v11
	v_fmac_f32_e32 v13, 0x32a5705f, v5
	v_sub_f32_e32 v11, v11, v14
	v_add_f32_e32 v11, v11, v13
	v_cvt_i32_f32_e32 v14, v14
	v_exp_f32_e32 v11, v11
	v_cndmask_b32_e32 v10, 0, v10, vcc
	v_cmp_nlt_f32_e32 vcc, s18, v4
	v_cndmask_b32_e32 v4, v24, v10, vcc
	v_ldexp_f32 v11, v11, v14
	v_cmp_ngt_f32_e32 vcc, s14, v5
	v_cndmask_b32_e32 v11, 0, v11, vcc
	v_cmp_nlt_f32_e32 vcc, s18, v5
	v_cndmask_b32_e32 v5, v24, v11, vcc
	v_cvt_f16_f32_e32 v152, v5
	v_cvt_f16_f32_e32 v151, v4
	v_add_f32_e32 v10, v43, v44
	v_add_f32_e32 v11, v45, v46
	v_fmac_f32_e32 v10, v6, v4
	v_fmac_f32_e32 v11, v7, v5
	v_pk_mul_f16 v37, v152, v37 op_sel_hi:[0,1]
	s_waitcnt vmcnt(0) lgkmcnt(0)
	ds_write_b128 v12, v[0:3]
	s_waitcnt lgkmcnt(0)
	s_barrier
	ds_read2_b64 v[0:3], v36 offset1:32
	ds_read_b128 v[4:7], v23 offset:21504
	ds_read_b128 v[12:15], v23 offset:21520
	;; [unrolled: 1-line block ×4, first 2 shown]
	ds_read2_b64 v[46:49], v36 offset0:64 offset1:96
	ds_read2_b64 v[50:53], v36 offset0:128 offset1:160
	;; [unrolled: 1-line block ×3, first 2 shown]
	ds_read2_b64 v[58:61], v28 offset1:32
	ds_read2_b64 v[62:65], v28 offset0:64 offset1:96
	ds_read2_b64 v[66:69], v28 offset0:128 offset1:160
	;; [unrolled: 1-line block ×3, first 2 shown]
	ds_read2_b64 v[74:77], v29 offset1:32
	ds_read2_b64 v[78:81], v29 offset0:64 offset1:96
	ds_read2_b64 v[82:85], v29 offset0:128 offset1:160
	ds_read_b128 v[86:89], v23 offset:21568
	ds_read_b128 v[90:93], v23 offset:21584
	ds_read2_b64 v[94:97], v29 offset0:192 offset1:224
	ds_read2_b64 v[98:101], v39 offset1:32
	ds_read2_b64 v[102:105], v39 offset0:64 offset1:96
	ds_read2_b64 v[106:109], v39 offset0:128 offset1:160
	ds_read_b128 v[110:113], v23 offset:21600
	ds_read_b128 v[114:117], v23 offset:21616
	ds_read2_b64 v[118:121], v39 offset0:192 offset1:224
	;; [unrolled: 6-line block ×3, first 2 shown]
	ds_read2_b64 v[146:149], v150 offset1:32
	s_waitcnt lgkmcnt(14)
	v_pk_mul_f16 v28, v0, v4 op_sel_hi:[1,0]
	v_pk_mul_f16 v0, v0, v4 op_sel:[0,1]
	v_pk_mul_f16 v29, v1, v4 op_sel_hi:[1,0]
	v_pk_fma_f16 v1, v1, v4, v37 op_sel:[0,1,0]
	v_pk_fma_f16 v4, v151, v40, v28 op_sel_hi:[0,1,1]
	v_pk_fma_f16 v0, v152, v38, v0 op_sel_hi:[0,1,1]
	v_pk_fma_f16 v28, v151, v41, v29 op_sel_hi:[0,1,1]
	v_pk_fma_f16 v1, v3, v5, v1 op_sel:[0,1,0]
	v_pk_fma_f16 v4, v2, v5, v4 op_sel_hi:[1,0,1]
	v_pk_fma_f16 v0, v2, v5, v0 op_sel:[0,1,0]
	v_pk_fma_f16 v2, v3, v5, v28 op_sel_hi:[1,0,1]
	;; [unrolled: 2-line block ×42, first 2 shown]
	s_waitcnt lgkmcnt(13)
	v_pk_fma_f16 v1, v95, v92, v1 op_sel:[0,1,0]
	v_pk_fma_f16 v3, v94, v92, v3 op_sel_hi:[1,0,1]
	v_pk_fma_f16 v0, v94, v92, v0 op_sel:[0,1,0]
	v_pk_fma_f16 v2, v95, v92, v2 op_sel_hi:[1,0,1]
	;; [unrolled: 2-line block ×4, first 2 shown]
	s_waitcnt lgkmcnt(9)
	v_pk_fma_f16 v1, v99, v110, v1 op_sel:[0,1,0]
	v_pk_fma_f16 v3, v98, v110, v3 op_sel_hi:[1,0,1]
	v_pk_fma_f16 v0, v98, v110, v0 op_sel:[0,1,0]
	v_pk_fma_f16 v2, v99, v110, v2 op_sel_hi:[1,0,1]
	;; [unrolled: 2-line block ×8, first 2 shown]
	s_waitcnt lgkmcnt(8)
	v_pk_fma_f16 v1, v107, v114, v1 op_sel:[0,1,0]
	v_pk_fma_f16 v3, v106, v114, v3 op_sel_hi:[1,0,1]
	v_pk_fma_f16 v0, v106, v114, v0 op_sel:[0,1,0]
	v_pk_fma_f16 v2, v107, v114, v2 op_sel_hi:[1,0,1]
	v_pk_fma_f16 v1, v109, v115, v1 op_sel:[0,1,0]
	v_pk_fma_f16 v3, v108, v115, v3 op_sel_hi:[1,0,1]
	v_pk_fma_f16 v0, v108, v115, v0 op_sel:[0,1,0]
	v_pk_fma_f16 v2, v109, v115, v2 op_sel_hi:[1,0,1]
	s_waitcnt lgkmcnt(7)
	v_pk_fma_f16 v1, v119, v116, v1 op_sel:[0,1,0]
	v_pk_fma_f16 v3, v118, v116, v3 op_sel_hi:[1,0,1]
	v_pk_fma_f16 v0, v118, v116, v0 op_sel:[0,1,0]
	v_pk_fma_f16 v2, v119, v116, v2 op_sel_hi:[1,0,1]
	v_pk_fma_f16 v1, v121, v117, v1 op_sel:[0,1,0]
	v_pk_fma_f16 v3, v120, v117, v3 op_sel_hi:[1,0,1]
	v_pk_fma_f16 v0, v120, v117, v0 op_sel:[0,1,0]
	v_pk_fma_f16 v2, v121, v117, v2 op_sel_hi:[1,0,1]
	;; [unrolled: 9-line block ×3, first 2 shown]
	v_pk_fma_f16 v1, v127, v136, v1 op_sel:[0,1,0]
	v_pk_fma_f16 v3, v126, v136, v3 op_sel_hi:[1,0,1]
	v_pk_fma_f16 v0, v126, v136, v0 op_sel:[0,1,0]
	v_pk_fma_f16 v2, v127, v136, v2 op_sel_hi:[1,0,1]
	;; [unrolled: 2-line block ×4, first 2 shown]
	s_waitcnt lgkmcnt(2)
	v_pk_fma_f16 v1, v131, v138, v1 op_sel:[0,1,0]
	v_pk_fma_f16 v3, v130, v138, v3 op_sel_hi:[1,0,1]
	v_pk_fma_f16 v0, v130, v138, v0 op_sel:[0,1,0]
	v_pk_fma_f16 v2, v131, v138, v2 op_sel_hi:[1,0,1]
	;; [unrolled: 2-line block ×4, first 2 shown]
	s_waitcnt lgkmcnt(1)
	v_pk_fma_f16 v4, v143, v140, v1 op_sel:[0,1,0]
	v_pk_fma_f16 v1, v142, v140, v3 op_sel_hi:[1,0,1]
	v_pk_fma_f16 v5, v142, v140, v0 op_sel:[0,1,0]
	v_pk_fma_f16 v6, v143, v140, v2 op_sel_hi:[1,0,1]
	v_pk_fma_f16 v12, v144, v141, v1 op_sel_hi:[1,0,1]
	ds_read_b128 v[0:3], v23 offset:21664
	v_pk_fma_f16 v13, v144, v141, v5 op_sel:[0,1,0]
	v_pk_fma_f16 v14, v145, v141, v6 op_sel_hi:[1,0,1]
	v_pk_fma_f16 v15, v145, v141, v4 op_sel:[0,1,0]
	ds_read_b128 v[4:7], v23 offset:21680
	s_waitcnt lgkmcnt(1)
	v_pk_fma_f16 v24, v146, v0, v12 op_sel_hi:[1,0,1]
	v_pk_fma_f16 v25, v146, v0, v13 op_sel:[0,1,0]
	v_pk_fma_f16 v26, v147, v0, v14 op_sel_hi:[1,0,1]
	v_pk_fma_f16 v0, v147, v0, v15 op_sel:[0,1,0]
	ds_read2_b64 v[12:15], v150 offset0:64 offset1:96
	v_pk_fma_f16 v24, v148, v1, v24 op_sel_hi:[1,0,1]
	v_pk_fma_f16 v25, v148, v1, v25 op_sel:[0,1,0]
	v_pk_fma_f16 v26, v149, v1, v26 op_sel_hi:[1,0,1]
	v_pk_fma_f16 v0, v149, v1, v0 op_sel:[0,1,0]
	s_waitcnt lgkmcnt(0)
	v_pk_fma_f16 v1, v12, v2, v24 op_sel_hi:[1,0,1]
	v_pk_fma_f16 v12, v12, v2, v25 op_sel:[0,1,0]
	v_pk_fma_f16 v28, v13, v2, v26 op_sel_hi:[1,0,1]
	ds_read2_b64 v[24:27], v150 offset0:128 offset1:160
	v_pk_fma_f16 v0, v13, v2, v0 op_sel:[0,1,0]
	v_pk_fma_f16 v1, v14, v3, v1 op_sel_hi:[1,0,1]
	v_pk_fma_f16 v2, v14, v3, v12 op_sel:[0,1,0]
	v_pk_fma_f16 v12, v15, v3, v28 op_sel_hi:[1,0,1]
	v_pk_fma_f16 v0, v15, v3, v0 op_sel:[0,1,0]
	s_waitcnt lgkmcnt(0)
	v_pk_fma_f16 v13, v24, v4, v1 op_sel_hi:[1,0,1]
	v_pk_fma_f16 v14, v24, v4, v2 op_sel:[0,1,0]
	v_pk_fma_f16 v12, v25, v4, v12 op_sel_hi:[1,0,1]
	v_pk_fma_f16 v4, v25, v4, v0 op_sel:[0,1,0]
	ds_read2_b64 v[0:3], v150 offset0:192 offset1:224
	v_pk_fma_f16 v13, v26, v5, v13 op_sel_hi:[1,0,1]
	v_pk_fma_f16 v14, v26, v5, v14 op_sel:[0,1,0]
	v_pk_fma_f16 v12, v27, v5, v12 op_sel_hi:[1,0,1]
	v_add_u32_e32 v29, 0x3000, v36
	v_pk_fma_f16 v4, v27, v5, v4 op_sel:[0,1,0]
	s_waitcnt lgkmcnt(0)
	v_pk_fma_f16 v5, v0, v6, v13 op_sel_hi:[1,0,1]
	v_pk_fma_f16 v0, v0, v6, v14 op_sel:[0,1,0]
	v_pk_fma_f16 v28, v1, v6, v12 op_sel_hi:[1,0,1]
	ds_read2_b64 v[12:15], v29 offset1:32
	ds_read_b128 v[24:27], v23 offset:21696
	v_pk_fma_f16 v1, v1, v6, v4 op_sel:[0,1,0]
	v_pk_fma_f16 v4, v2, v7, v5 op_sel_hi:[1,0,1]
	v_pk_fma_f16 v5, v2, v7, v0 op_sel:[0,1,0]
	v_pk_fma_f16 v6, v3, v7, v28 op_sel_hi:[1,0,1]
	v_pk_fma_f16 v7, v3, v7, v1 op_sel:[0,1,0]
	s_waitcnt lgkmcnt(0)
	v_pk_fma_f16 v28, v12, v24, v4 op_sel_hi:[1,0,1]
	v_pk_fma_f16 v12, v12, v24, v5 op_sel:[0,1,0]
	v_pk_fma_f16 v37, v13, v24, v6 op_sel_hi:[1,0,1]
	v_pk_fma_f16 v13, v13, v24, v7 op_sel:[0,1,0]
	ds_read2_b64 v[4:7], v29 offset0:64 offset1:96
	v_pk_fma_f16 v24, v14, v25, v28 op_sel_hi:[1,0,1]
	v_pk_fma_f16 v12, v14, v25, v12 op_sel:[0,1,0]
	v_pk_fma_f16 v14, v15, v25, v37 op_sel_hi:[1,0,1]
	v_pk_fma_f16 v13, v15, v25, v13 op_sel:[0,1,0]
	ds_read_b128 v[0:3], v23 offset:21712
	s_waitcnt lgkmcnt(1)
	v_pk_fma_f16 v24, v4, v26, v24 op_sel_hi:[1,0,1]
	v_pk_fma_f16 v4, v4, v26, v12 op_sel:[0,1,0]
	v_pk_fma_f16 v25, v5, v26, v14 op_sel_hi:[1,0,1]
	v_pk_fma_f16 v5, v5, v26, v13 op_sel:[0,1,0]
	ds_read2_b64 v[12:15], v29 offset0:128 offset1:160
	v_pk_fma_f16 v24, v6, v27, v24 op_sel_hi:[1,0,1]
	v_pk_fma_f16 v4, v6, v27, v4 op_sel:[0,1,0]
	v_pk_fma_f16 v6, v7, v27, v25 op_sel_hi:[1,0,1]
	v_pk_fma_f16 v5, v7, v27, v5 op_sel:[0,1,0]
	s_waitcnt lgkmcnt(0)
	v_pk_fma_f16 v24, v12, v0, v24 op_sel_hi:[1,0,1]
	v_pk_fma_f16 v12, v12, v0, v4 op_sel:[0,1,0]
	v_pk_fma_f16 v25, v13, v0, v6 op_sel_hi:[1,0,1]
	v_pk_fma_f16 v0, v13, v0, v5 op_sel:[0,1,0]
	ds_read2_b64 v[4:7], v29 offset0:192 offset1:224
	v_pk_fma_f16 v13, v14, v1, v24 op_sel_hi:[1,0,1]
	v_pk_fma_f16 v12, v14, v1, v12 op_sel:[0,1,0]
	v_pk_fma_f16 v14, v15, v1, v25 op_sel_hi:[1,0,1]
	v_add_u32_e32 v29, 0x3800, v36
	v_pk_fma_f16 v0, v15, v1, v0 op_sel:[0,1,0]
	s_waitcnt lgkmcnt(0)
	v_pk_fma_f16 v1, v4, v2, v13 op_sel_hi:[1,0,1]
	v_pk_fma_f16 v4, v4, v2, v12 op_sel:[0,1,0]
	v_pk_fma_f16 v28, v5, v2, v14 op_sel_hi:[1,0,1]
	ds_read2_b64 v[12:15], v29 offset1:32
	ds_read_b128 v[24:27], v23 offset:21728
	v_pk_fma_f16 v0, v5, v2, v0 op_sel:[0,1,0]
	v_pk_fma_f16 v5, v6, v3, v1 op_sel_hi:[1,0,1]
	v_pk_fma_f16 v4, v6, v3, v4 op_sel:[0,1,0]
	v_pk_fma_f16 v6, v7, v3, v28 op_sel_hi:[1,0,1]
	v_pk_fma_f16 v7, v7, v3, v0 op_sel:[0,1,0]
	ds_read_b128 v[0:3], v23 offset:21744
	s_waitcnt lgkmcnt(1)
	v_pk_fma_f16 v23, v12, v24, v5 op_sel_hi:[1,0,1]
	v_pk_fma_f16 v12, v12, v24, v4 op_sel:[0,1,0]
	v_pk_fma_f16 v28, v13, v24, v6 op_sel_hi:[1,0,1]
	v_pk_fma_f16 v13, v13, v24, v7 op_sel:[0,1,0]
	ds_read2_b64 v[4:7], v29 offset0:64 offset1:96
	v_pk_fma_f16 v23, v14, v25, v23 op_sel_hi:[1,0,1]
	v_pk_fma_f16 v12, v14, v25, v12 op_sel:[0,1,0]
	v_pk_fma_f16 v14, v15, v25, v28 op_sel_hi:[1,0,1]
	v_pk_fma_f16 v13, v15, v25, v13 op_sel:[0,1,0]
	s_waitcnt lgkmcnt(0)
	v_pk_fma_f16 v23, v4, v26, v23 op_sel_hi:[1,0,1]
	v_pk_fma_f16 v4, v4, v26, v12 op_sel:[0,1,0]
	v_pk_fma_f16 v24, v5, v26, v14 op_sel_hi:[1,0,1]
	v_pk_fma_f16 v5, v5, v26, v13 op_sel:[0,1,0]
	ds_read2_b64 v[12:15], v29 offset0:128 offset1:160
	v_pk_fma_f16 v23, v6, v27, v23 op_sel_hi:[1,0,1]
	v_pk_fma_f16 v4, v6, v27, v4 op_sel:[0,1,0]
	v_pk_fma_f16 v6, v7, v27, v24 op_sel_hi:[1,0,1]
	v_pk_fma_f16 v5, v7, v27, v5 op_sel:[0,1,0]
	;; [unrolled: 10-line block ×3, first 2 shown]
	s_waitcnt lgkmcnt(0)
	v_pk_fma_f16 v1, v4, v2, v13 op_sel_hi:[1,0,1]
	v_pk_fma_f16 v4, v4, v2, v12 op_sel:[0,1,0]
	v_pk_fma_f16 v12, v5, v2, v14 op_sel_hi:[1,0,1]
	v_pk_fma_f16 v0, v5, v2, v0 op_sel:[0,1,0]
	;; [unrolled: 2-line block ×4, first 2 shown]
	v_pk_mov_b32 v[4:5], v[8:9], v[8:9] op_sel:[0,1]
	v_pk_mov_b32 v[6:7], v[10:11], v[10:11] op_sel:[0,1]
	s_barrier
.LBB59_43:
	v_cmp_lt_i32_e32 vcc, v18, v17
	v_cndmask_b32_e32 v0, v16, v18, vcc
	v_lshlrev_b32_e32 v1, 2, v0
	ds_bpermute_b32 v0, v1, v6
	ds_bpermute_b32 v1, v1, v7
	v_cmp_lt_i32_e32 vcc, v19, v17
	v_cndmask_b32_e32 v2, v16, v19, vcc
	v_lshlrev_b32_e32 v3, 2, v2
	v_cmp_lt_i32_e32 vcc, v20, v17
	s_waitcnt lgkmcnt(0)
	v_pk_add_f32 v[0:1], v[6:7], v[0:1]
	ds_bpermute_b32 v2, v3, v0
	ds_bpermute_b32 v3, v3, v1
	v_cndmask_b32_e32 v6, v16, v20, vcc
	v_lshlrev_b32_e32 v6, 2, v6
	v_cmp_lt_i32_e32 vcc, v21, v17
	s_cmp_eq_u64 s[20:21], 0
	s_waitcnt lgkmcnt(0)
	v_pk_add_f32 v[0:1], v[0:1], v[2:3]
	ds_bpermute_b32 v2, v6, v0
	ds_bpermute_b32 v3, v6, v1
	v_cndmask_b32_e32 v6, v16, v21, vcc
	v_lshlrev_b32_e32 v6, 2, v6
	v_cmp_lt_i32_e32 vcc, v22, v17
	s_cselect_b64 s[0:1], -1, 0
	s_waitcnt lgkmcnt(0)
	v_pk_add_f32 v[0:1], v[0:1], v[2:3]
	ds_bpermute_b32 v2, v6, v0
	ds_bpermute_b32 v3, v6, v1
	v_cndmask_b32_e32 v6, v16, v22, vcc
	v_lshlrev_b32_e32 v6, 2, v6
	s_cmp_lg_u32 s9, 0
	s_cselect_b64 s[2:3], -1, 0
	s_waitcnt lgkmcnt(0)
	v_pk_add_f32 v[0:1], v[0:1], v[2:3]
	ds_bpermute_b32 v2, v6, v0
	ds_bpermute_b32 v3, v6, v1
	s_or_b64 s[0:1], s[2:3], s[0:1]
	s_and_b64 vcc, exec, s[0:1]
	s_waitcnt lgkmcnt(0)
	v_pk_add_f32 v[0:1], v[0:1], v[2:3]
	s_cbranch_vccnz .LBB59_45
; %bb.44:
	s_lshl_b64 s[0:1], s[34:35], 2
	s_add_u32 s0, s20, s0
	s_addc_u32 s1, s21, s1
	v_mov_b32_e32 v2, 0
	global_load_dword v2, v2, s[0:1]
	v_max_f32_e32 v3, v5, v5
	v_max_f32_e32 v6, v4, v4
	s_mov_b32 s0, 0x3fb8aa3b
	s_mov_b32 s1, 0xc2ce8ed0
	;; [unrolled: 1-line block ×3, first 2 shown]
	v_mov_b32_e32 v8, 0x7f800000
	s_waitcnt vmcnt(0)
	v_max_f32_e32 v9, v2, v2
	v_max_f32_e32 v7, v3, v9
	v_max_f32_e32 v6, v6, v9
	v_pk_add_f32 v[4:5], v[4:5], v[6:7] neg_lo:[0,1] neg_hi:[0,1]
	v_mul_f32_e32 v9, 0x3fb8aa3b, v5
	v_pk_add_f32 v[2:3], v[2:3], v[6:7] op_sel_hi:[0,1] neg_lo:[0,1] neg_hi:[0,1]
	v_mul_f32_e32 v10, 0x3fb8aa3b, v4
	v_fma_f32 v13, v5, s0, -v9
	v_rndne_f32_e32 v14, v9
	v_mul_f32_e32 v11, 0x3fb8aa3b, v3
	v_fma_f32 v15, v4, s0, -v10
	v_rndne_f32_e32 v16, v10
	v_fmac_f32_e32 v13, 0x32a5705f, v5
	v_sub_f32_e32 v9, v9, v14
	v_mul_f32_e32 v12, 0x3fb8aa3b, v2
	v_fma_f32 v17, v3, s0, -v11
	v_rndne_f32_e32 v18, v11
	v_fmac_f32_e32 v15, 0x32a5705f, v4
	v_sub_f32_e32 v10, v10, v16
	v_add_f32_e32 v9, v9, v13
	v_fma_f32 v19, v2, s0, -v12
	v_rndne_f32_e32 v20, v12
	v_cvt_i32_f32_e32 v14, v14
	v_fmac_f32_e32 v17, 0x32a5705f, v3
	v_sub_f32_e32 v11, v11, v18
	v_add_f32_e32 v10, v10, v15
	v_exp_f32_e32 v9, v9
	v_cvt_i32_f32_e32 v16, v16
	v_fmac_f32_e32 v19, 0x32a5705f, v2
	v_sub_f32_e32 v12, v12, v20
	v_add_f32_e32 v11, v11, v17
	v_exp_f32_e32 v10, v10
	v_cvt_i32_f32_e32 v18, v18
	v_add_f32_e32 v12, v12, v19
	v_exp_f32_e32 v11, v11
	v_cvt_i32_f32_e32 v20, v20
	v_exp_f32_e32 v12, v12
	v_ldexp_f32 v9, v9, v14
	v_cmp_ngt_f32_e32 vcc, s1, v5
	v_ldexp_f32 v10, v10, v16
	v_cndmask_b32_e32 v9, 0, v9, vcc
	v_cmp_ngt_f32_e32 vcc, s1, v4
	v_ldexp_f32 v11, v11, v18
	v_cndmask_b32_e32 v10, 0, v10, vcc
	;; [unrolled: 3-line block ×3, first 2 shown]
	v_cmp_ngt_f32_e32 vcc, s1, v2
	v_cndmask_b32_e32 v12, 0, v12, vcc
	v_cmp_nlt_f32_e32 vcc, s2, v5
	v_cndmask_b32_e32 v5, v8, v9, vcc
	v_cmp_nlt_f32_e32 vcc, s2, v4
	;; [unrolled: 2-line block ×4, first 2 shown]
	v_cvt_f16_f32_e32 v9, v4
	v_cndmask_b32_e32 v2, v8, v12, vcc
	v_cvt_f16_f32_e32 v8, v5
	v_pk_fma_f32 v[0:1], v[0:1], v[4:5], v[2:3]
	v_pk_mul_f16 v40, v9, v40 op_sel_hi:[0,1]
	v_pk_mul_f16 v41, v9, v41 op_sel_hi:[0,1]
	;; [unrolled: 1-line block ×4, first 2 shown]
	v_pk_mov_b32 v[4:5], v[6:7], v[6:7] op_sel:[0,1]
.LBB59_45:
	v_cmp_gt_i32_e32 vcc, s30, v35
	s_and_saveexec_b64 s[0:1], vcc
	s_cbranch_execz .LBB59_55
; %bb.46:
	s_load_dword s6, s[6:7], 0xd4
	v_mov_b32_e32 v2, 1.0
	s_waitcnt lgkmcnt(0)
	s_cmp_lg_u32 s6, 1
	s_cselect_b64 s[4:5], -1, 0
	s_cmp_eq_u32 s6, 1
	s_cselect_b64 s[2:3], -1, 0
	s_and_b64 vcc, exec, s[4:5]
	s_cbranch_vccnz .LBB59_48
; %bb.47:
	v_div_scale_f32 v2, s[0:1], v0, v0, 1.0
	v_rcp_f32_e32 v3, v2
	v_div_scale_f32 v6, vcc, 1.0, v0, 1.0
	v_fma_f32 v7, -v2, v3, 1.0
	v_fmac_f32_e32 v3, v7, v3
	v_mul_f32_e32 v7, v6, v3
	v_fma_f32 v8, -v2, v7, v6
	v_fmac_f32_e32 v7, v8, v3
	v_fma_f32 v2, -v2, v7, v6
	v_div_fmas_f32 v2, v2, v3, v7
	v_div_fixup_f32 v2, v2, v0, 1.0
.LBB59_48:
	s_mul_i32 s7, s33, s30
	s_add_i32 s7, s7, s38
	v_add_u32_e32 v3, s7, v33
	v_mul_lo_u32 v3, v3, s31
	v_add_u32_e32 v3, s34, v3
	v_mul_lo_u32 v3, s6, v3
	v_add_u32_e32 v6, s9, v3
	v_lshl_add_u32 v8, v6, 7, v34
	v_mov_b32_e32 v9, 0
	v_cvt_f32_f16_sdwa v11, v40 dst_sel:DWORD dst_unused:UNUSED_PAD src0_sel:WORD_1
	v_cvt_f32_f16_e32 v10, v40
	v_cvt_f32_f16_sdwa v13, v41 dst_sel:DWORD dst_unused:UNUSED_PAD src0_sel:WORD_1
	v_cvt_f32_f16_e32 v12, v41
	v_lshlrev_b64 v[8:9], 2, v[8:9]
	v_mov_b32_e32 v3, s25
	v_add_co_u32_e64 v14, s[0:1], s24, v8
	v_cmp_eq_u32_e32 vcc, 0, v32
	v_addc_co_u32_e64 v15, s[0:1], v3, v9, s[0:1]
	v_pk_mul_f32 v[8:9], v[2:3], v[10:11] op_sel_hi:[0,1]
	v_pk_mul_f32 v[10:11], v[2:3], v[12:13] op_sel_hi:[0,1]
	s_and_b64 s[0:1], vcc, s[4:5]
	global_store_dwordx4 v[14:15], v[8:11], off
	s_and_saveexec_b64 s[4:5], s[0:1]
	s_cbranch_execz .LBB59_50
; %bb.49:
	v_ashrrev_i32_e32 v7, 31, v6
	v_lshlrev_b64 v[2:3], 3, v[6:7]
	v_mov_b32_e32 v6, s27
	v_add_co_u32_e32 v2, vcc, s26, v2
	v_addc_co_u32_e32 v3, vcc, v6, v3, vcc
	v_mov_b32_e32 v6, v4
	v_mov_b32_e32 v7, v0
	global_store_dwordx2 v[2:3], v[6:7], off
.LBB59_50:
	s_or_b64 exec, exec, s[4:5]
	v_cmp_gt_i32_e32 vcc, s30, v31
	s_and_b64 exec, exec, vcc
	s_cbranch_execz .LBB59_55
; %bb.51:
	s_andn2_b64 vcc, exec, s[2:3]
	v_mov_b32_e32 v0, 1.0
	s_cbranch_vccnz .LBB59_53
; %bb.52:
	v_div_scale_f32 v0, s[2:3], v1, v1, 1.0
	v_rcp_f32_e32 v2, v0
	v_div_scale_f32 v3, vcc, 1.0, v1, 1.0
	v_fma_f32 v4, -v0, v2, 1.0
	v_fmac_f32_e32 v2, v4, v2
	v_mul_f32_e32 v4, v3, v2
	v_fma_f32 v6, -v0, v4, v3
	v_fmac_f32_e32 v4, v6, v2
	v_fma_f32 v0, -v0, v4, v3
	v_div_fmas_f32 v0, v0, v2, v4
	v_div_fixup_f32 v0, v0, v1, 1.0
.LBB59_53:
	v_add_u32_e32 v2, s7, v30
	v_mul_lo_u32 v2, v2, s31
	v_add_u32_e32 v2, s34, v2
	v_mul_lo_u32 v2, s6, v2
	v_add_u32_e32 v2, s9, v2
	v_cvt_f32_f16_sdwa v9, v38 dst_sel:DWORD dst_unused:UNUSED_PAD src0_sel:WORD_1
	v_cvt_f32_f16_e32 v8, v38
	v_cvt_f32_f16_sdwa v11, v37 dst_sel:DWORD dst_unused:UNUSED_PAD src0_sel:WORD_1
	v_cvt_f32_f16_e32 v10, v37
	v_lshl_add_u32 v6, v2, 7, v34
	v_mov_b32_e32 v7, 0
	v_lshlrev_b64 v[6:7], 2, v[6:7]
	v_mov_b32_e32 v3, s25
	v_add_co_u32_e32 v12, vcc, s24, v6
	v_addc_co_u32_e32 v13, vcc, v3, v7, vcc
	v_pk_mul_f32 v[6:7], v[0:1], v[8:9] op_sel_hi:[0,1]
	v_pk_mul_f32 v[8:9], v[0:1], v[10:11] op_sel_hi:[0,1]
	global_store_dwordx4 v[12:13], v[6:9], off
	s_and_b64 exec, exec, s[0:1]
	s_cbranch_execz .LBB59_55
; %bb.54:
	v_ashrrev_i32_e32 v3, 31, v2
	v_lshlrev_b64 v[2:3], 3, v[2:3]
	v_mov_b32_e32 v0, s27
	v_add_co_u32_e32 v2, vcc, s26, v2
	v_addc_co_u32_e32 v3, vcc, v0, v3, vcc
	v_mov_b32_e32 v0, v5
	global_store_dwordx2 v[2:3], v[0:1], off
.LBB59_55:
	s_endpgm
	.section	.rodata,"a",@progbits
	.p2align	6, 0x0
	.amdhsa_kernel _ZL15flash_attn_tileILi128ELi128ELi16ELi1ELb0EEvPKcS1_S1_S1_S1_PKiPfP15HIP_vector_typeIfLj2EEffffjfiS5_IjLj3EEiiiiiiiiiiiliiliiiiil
		.amdhsa_group_segment_fixed_size 31744
		.amdhsa_private_segment_fixed_size 0
		.amdhsa_kernarg_size 464
		.amdhsa_user_sgpr_count 8
		.amdhsa_user_sgpr_private_segment_buffer 1
		.amdhsa_user_sgpr_dispatch_ptr 1
		.amdhsa_user_sgpr_queue_ptr 0
		.amdhsa_user_sgpr_kernarg_segment_ptr 1
		.amdhsa_user_sgpr_dispatch_id 0
		.amdhsa_user_sgpr_flat_scratch_init 0
		.amdhsa_user_sgpr_kernarg_preload_length 0
		.amdhsa_user_sgpr_kernarg_preload_offset 0
		.amdhsa_user_sgpr_private_segment_size 0
		.amdhsa_uses_dynamic_stack 0
		.amdhsa_system_sgpr_private_segment_wavefront_offset 0
		.amdhsa_system_sgpr_workgroup_id_x 1
		.amdhsa_system_sgpr_workgroup_id_y 1
		.amdhsa_system_sgpr_workgroup_id_z 1
		.amdhsa_system_sgpr_workgroup_info 0
		.amdhsa_system_vgpr_workitem_id 2
		.amdhsa_next_free_vgpr 153
		.amdhsa_next_free_sgpr 52
		.amdhsa_accum_offset 156
		.amdhsa_reserve_vcc 1
		.amdhsa_reserve_flat_scratch 0
		.amdhsa_float_round_mode_32 0
		.amdhsa_float_round_mode_16_64 0
		.amdhsa_float_denorm_mode_32 3
		.amdhsa_float_denorm_mode_16_64 3
		.amdhsa_dx10_clamp 1
		.amdhsa_ieee_mode 1
		.amdhsa_fp16_overflow 0
		.amdhsa_tg_split 0
		.amdhsa_exception_fp_ieee_invalid_op 0
		.amdhsa_exception_fp_denorm_src 0
		.amdhsa_exception_fp_ieee_div_zero 0
		.amdhsa_exception_fp_ieee_overflow 0
		.amdhsa_exception_fp_ieee_underflow 0
		.amdhsa_exception_fp_ieee_inexact 0
		.amdhsa_exception_int_div_zero 0
	.end_amdhsa_kernel
	.section	.text._ZL15flash_attn_tileILi128ELi128ELi16ELi1ELb0EEvPKcS1_S1_S1_S1_PKiPfP15HIP_vector_typeIfLj2EEffffjfiS5_IjLj3EEiiiiiiiiiiiliiliiiiil,"axG",@progbits,_ZL15flash_attn_tileILi128ELi128ELi16ELi1ELb0EEvPKcS1_S1_S1_S1_PKiPfP15HIP_vector_typeIfLj2EEffffjfiS5_IjLj3EEiiiiiiiiiiiliiliiiiil,comdat
.Lfunc_end59:
	.size	_ZL15flash_attn_tileILi128ELi128ELi16ELi1ELb0EEvPKcS1_S1_S1_S1_PKiPfP15HIP_vector_typeIfLj2EEffffjfiS5_IjLj3EEiiiiiiiiiiiliiliiiiil, .Lfunc_end59-_ZL15flash_attn_tileILi128ELi128ELi16ELi1ELb0EEvPKcS1_S1_S1_S1_PKiPfP15HIP_vector_typeIfLj2EEffffjfiS5_IjLj3EEiiiiiiiiiiiliiliiiiil
                                        ; -- End function
	.section	.AMDGPU.csdata,"",@progbits
; Kernel info:
; codeLenInByte = 18716
; NumSgprs: 56
; NumVgprs: 153
; NumAgprs: 0
; TotalNumVgprs: 153
; ScratchSize: 0
; MemoryBound: 0
; FloatMode: 240
; IeeeMode: 1
; LDSByteSize: 31744 bytes/workgroup (compile time only)
; SGPRBlocks: 6
; VGPRBlocks: 19
; NumSGPRsForWavesPerEU: 56
; NumVGPRsForWavesPerEU: 153
; AccumOffset: 156
; Occupancy: 2
; WaveLimiterHint : 1
; COMPUTE_PGM_RSRC2:SCRATCH_EN: 0
; COMPUTE_PGM_RSRC2:USER_SGPR: 8
; COMPUTE_PGM_RSRC2:TRAP_HANDLER: 0
; COMPUTE_PGM_RSRC2:TGID_X_EN: 1
; COMPUTE_PGM_RSRC2:TGID_Y_EN: 1
; COMPUTE_PGM_RSRC2:TGID_Z_EN: 1
; COMPUTE_PGM_RSRC2:TIDIG_COMP_CNT: 2
; COMPUTE_PGM_RSRC3_GFX90A:ACCUM_OFFSET: 38
; COMPUTE_PGM_RSRC3_GFX90A:TG_SPLIT: 0
	.section	.text._ZL33flash_attn_stream_k_fixup_uniformILi128ELi16ELi1EEvPfPK15HIP_vector_typeIfLj2EEiiiiiiS1_IjLj3EES5_S5_,"axG",@progbits,_ZL33flash_attn_stream_k_fixup_uniformILi128ELi16ELi1EEvPfPK15HIP_vector_typeIfLj2EEiiiiiiS1_IjLj3EES5_S5_,comdat
	.globl	_ZL33flash_attn_stream_k_fixup_uniformILi128ELi16ELi1EEvPfPK15HIP_vector_typeIfLj2EEiiiiiiS1_IjLj3EES5_S5_ ; -- Begin function _ZL33flash_attn_stream_k_fixup_uniformILi128ELi16ELi1EEvPfPK15HIP_vector_typeIfLj2EEiiiiiiS1_IjLj3EES5_S5_
	.p2align	8
	.type	_ZL33flash_attn_stream_k_fixup_uniformILi128ELi16ELi1EEvPfPK15HIP_vector_typeIfLj2EEiiiiiiS1_IjLj3EES5_S5_,@function
_ZL33flash_attn_stream_k_fixup_uniformILi128ELi16ELi1EEvPfPK15HIP_vector_typeIfLj2EEiiiiiiS1_IjLj3EES5_S5_: ; @_ZL33flash_attn_stream_k_fixup_uniformILi128ELi16ELi1EEvPfPK15HIP_vector_typeIfLj2EEiiiiiiS1_IjLj3EES5_S5_
; %bb.0:
	s_load_dwordx8 s[12:19], s[4:5], 0x1c
	s_load_dwordx2 s[10:11], s[4:5], 0x10
	s_load_dwordx4 s[0:3], s[4:5], 0x3c
	s_waitcnt lgkmcnt(0)
	s_mul_hi_u32 s9, s15, s6
	s_add_i32 s9, s6, s9
	s_lshr_b32 s9, s9, s16
	s_mul_i32 s15, s9, s17
	s_sub_i32 s15, s6, s15
	s_mul_hi_u32 s16, s15, s18
	s_add_i32 s16, s15, s16
	s_lshr_b32 s16, s16, s19
	s_mul_i32 s0, s16, s0
	s_sub_i32 s0, s15, s0
	;; [unrolled: 5-line block ×3, first 2 shown]
	s_lshl_b32 s0, s17, 4
	s_add_i32 s0, s0, s7
	s_cmp_lt_i32 s0, s10
	s_cselect_b64 s[0:1], -1, 0
	s_add_i32 s2, s15, s8
	s_cmp_lt_i32 s2, s13
	s_cselect_b64 s[2:3], -1, 0
	s_and_b64 s[0:1], s[0:1], s[2:3]
	s_andn2_b64 vcc, exec, s[0:1]
	s_cbranch_vccnz .LBB60_6
; %bb.1:
	s_load_dwordx4 s[0:3], s[4:5], 0x0
	s_mul_i32 s4, s9, s10
	s_add_i32 s4, s4, s7
	s_mul_i32 s4, s4, s11
	s_mul_i32 s16, s16, s13
	s_add_i32 s4, s4, s8
	s_add_i32 s4, s4, s16
	s_mul_i32 s5, s11, s17
	s_add_i32 s4, s4, s15
	s_lshl_b32 s5, s5, 11
	s_lshl_b32 s4, s4, 7
	s_add_i32 s5, s5, s4
	v_or_b32_e32 v2, s5, v0
	v_ashrrev_i32_e32 v3, 31, v2
	v_lshlrev_b64 v[2:3], 2, v[2:3]
	s_waitcnt lgkmcnt(0)
	v_mov_b32_e32 v1, s1
	v_add_co_u32_e32 v2, vcc, s0, v2
	v_addc_co_u32_e32 v3, vcc, v1, v3, vcc
	global_load_dword v8, v[2:3], off
	s_add_i32 s4, s7, s8
	s_mul_i32 s7, s6, s14
	s_add_i32 s5, s7, s14
	s_lshl_b32 s0, s5, 4
	s_add_i32 s0, s4, s0
	s_add_i32 s0, s0, -16
	s_ashr_i32 s1, s0, 31
	s_lshl_b64 s[0:1], s[0:1], 3
	s_add_u32 s0, s2, s0
	s_addc_u32 s1, s3, s1
	s_load_dword s10, s[0:1], 0x4
	s_add_i32 s8, s5, -2
	s_cmp_lt_i32 s8, s7
	s_cbranch_scc1 .LBB60_4
; %bb.2:
	s_lshl_b32 s8, s12, 6
	s_ashr_i32 s9, s8, 31
	s_lshl_b64 s[8:9], s[8:9], 2
	s_add_u32 s8, s2, s8
	s_addc_u32 s11, s3, s9
	s_add_i32 s6, s6, 1
	s_add_i32 s9, s5, -1
	s_mul_i32 s5, s14, s6
	s_load_dword s0, s[0:1], 0x0
	s_lshl_b32 s1, s4, 7
	s_lshl_b32 s6, s5, 11
	s_add_i32 s1, s1, s6
	v_or_b32_e32 v0, s1, v0
	s_lshl_b32 s1, s5, 4
	s_add_i32 s1, s4, s1
	s_lshl_b32 s4, s12, 4
	s_add_i32 s1, s1, s4
	v_add_u32_e32 v0, 0xfffff000, v0
	s_sub_i32 s4, s1, 32
	s_waitcnt lgkmcnt(0)
	v_mov_b32_e32 v7, s10
	v_mov_b32_e32 v6, s0
	v_mov_b32_e32 v4, s11
	s_mov_b32 s6, 0x3fb8aa3b
	s_mov_b32 s10, 0xc2ce8ed0
	;; [unrolled: 1-line block ×3, first 2 shown]
	v_mov_b32_e32 v5, 0x7f800000
	s_mov_b32 s12, 0xc1a00000
.LBB60_3:                               ; =>This Inner Loop Header: Depth=1
	v_ashrrev_i32_e32 v1, 31, v0
	v_lshlrev_b64 v[10:11], 2, v[0:1]
	v_add_co_u32_e32 v10, vcc, s8, v10
	v_addc_co_u32_e32 v11, vcc, v4, v11, vcc
	global_load_dword v1, v[10:11], off
	s_ashr_i32 s5, s4, 31
	s_lshl_b64 s[0:1], s[4:5], 3
	s_add_u32 s0, s2, s0
	s_addc_u32 s1, s3, s1
	s_load_dwordx2 s[14:15], s[0:1], 0x0
	s_waitcnt vmcnt(1)
	v_mov_b32_e32 v9, v8
	v_max_f32_e32 v8, v6, v6
	v_mov_b32_e32 v10, v7
	s_add_i32 s9, s9, -1
	s_waitcnt lgkmcnt(0)
	v_max_f32_e64 v7, s14, s14
	v_max_f32_e32 v7, v8, v7
	v_sub_f32_e32 v11, s14, v7
	v_sub_f32_e32 v8, v6, v7
	v_mul_f32_e32 v12, 0x3fb8aa3b, v11
	v_mov_b32_e32 v6, v7
	v_mul_f32_e32 v7, 0x3fb8aa3b, v8
	v_fma_f32 v15, v11, s6, -v12
	v_rndne_f32_e32 v16, v12
	v_fma_f32 v13, v8, s6, -v7
	v_rndne_f32_e32 v14, v7
	v_fmac_f32_e32 v15, 0x32a5705f, v11
	v_sub_f32_e32 v12, v12, v16
	v_fmac_f32_e32 v13, 0x32a5705f, v8
	v_sub_f32_e32 v7, v7, v14
	v_add_f32_e32 v12, v12, v15
	v_cvt_i32_f32_e32 v16, v16
	v_add_f32_e32 v7, v7, v13
	v_exp_f32_e32 v12, v12
	v_cvt_i32_f32_e32 v14, v14
	v_exp_f32_e32 v7, v7
	v_cmp_ngt_f32_e32 vcc, s10, v11
	v_ldexp_f32 v12, v12, v16
	v_cmp_ngt_f32_e64 s[0:1], s10, v8
	v_ldexp_f32 v7, v7, v14
	v_cndmask_b32_e32 v12, 0, v12, vcc
	v_cmp_nlt_f32_e32 vcc, s11, v11
	v_cndmask_b32_e64 v7, 0, v7, s[0:1]
	v_cmp_nlt_f32_e64 s[0:1], s11, v8
	v_cndmask_b32_e32 v12, v5, v12, vcc
	v_cmp_le_f32_e32 vcc, s12, v11
	v_cndmask_b32_e64 v7, v5, v7, s[0:1]
	v_cmp_le_f32_e64 s[0:1], s12, v8
	v_cndmask_b32_e32 v8, 0, v12, vcc
	s_add_i32 s4, s4, -16
	v_cndmask_b32_e64 v11, 0, v7, s[0:1]
	v_mul_f32_e32 v7, s15, v8
	v_add_u32_e32 v0, 0xfffff800, v0
	s_cmp_le_i32 s9, s7
	v_fmac_f32_e32 v7, v10, v11
	s_waitcnt vmcnt(0)
	v_mul_f32_e32 v8, v1, v8
	v_fmac_f32_e32 v8, v9, v11
	s_cbranch_scc0 .LBB60_3
	s_branch .LBB60_5
.LBB60_4:
	s_waitcnt lgkmcnt(0)
	v_mov_b32_e32 v7, s10
.LBB60_5:
	s_waitcnt vmcnt(0)
	v_div_scale_f32 v0, s[0:1], v7, v7, v8
	v_rcp_f32_e32 v1, v0
	v_div_scale_f32 v4, vcc, v8, v7, v8
	v_fma_f32 v5, -v0, v1, 1.0
	v_fmac_f32_e32 v1, v5, v1
	v_mul_f32_e32 v5, v4, v1
	v_fma_f32 v6, -v0, v5, v4
	v_fmac_f32_e32 v5, v6, v1
	v_fma_f32 v0, -v0, v5, v4
	v_div_fmas_f32 v0, v0, v1, v5
	v_div_fixup_f32 v0, v0, v7, v8
	global_store_dword v[2:3], v0, off
.LBB60_6:
	s_endpgm
	.section	.rodata,"a",@progbits
	.p2align	6, 0x0
	.amdhsa_kernel _ZL33flash_attn_stream_k_fixup_uniformILi128ELi16ELi1EEvPfPK15HIP_vector_typeIfLj2EEiiiiiiS1_IjLj3EES5_S5_
		.amdhsa_group_segment_fixed_size 0
		.amdhsa_private_segment_fixed_size 0
		.amdhsa_kernarg_size 76
		.amdhsa_user_sgpr_count 6
		.amdhsa_user_sgpr_private_segment_buffer 1
		.amdhsa_user_sgpr_dispatch_ptr 0
		.amdhsa_user_sgpr_queue_ptr 0
		.amdhsa_user_sgpr_kernarg_segment_ptr 1
		.amdhsa_user_sgpr_dispatch_id 0
		.amdhsa_user_sgpr_flat_scratch_init 0
		.amdhsa_user_sgpr_kernarg_preload_length 0
		.amdhsa_user_sgpr_kernarg_preload_offset 0
		.amdhsa_user_sgpr_private_segment_size 0
		.amdhsa_uses_dynamic_stack 0
		.amdhsa_system_sgpr_private_segment_wavefront_offset 0
		.amdhsa_system_sgpr_workgroup_id_x 1
		.amdhsa_system_sgpr_workgroup_id_y 1
		.amdhsa_system_sgpr_workgroup_id_z 1
		.amdhsa_system_sgpr_workgroup_info 0
		.amdhsa_system_vgpr_workitem_id 0
		.amdhsa_next_free_vgpr 17
		.amdhsa_next_free_sgpr 20
		.amdhsa_accum_offset 20
		.amdhsa_reserve_vcc 1
		.amdhsa_reserve_flat_scratch 0
		.amdhsa_float_round_mode_32 0
		.amdhsa_float_round_mode_16_64 0
		.amdhsa_float_denorm_mode_32 3
		.amdhsa_float_denorm_mode_16_64 3
		.amdhsa_dx10_clamp 1
		.amdhsa_ieee_mode 1
		.amdhsa_fp16_overflow 0
		.amdhsa_tg_split 0
		.amdhsa_exception_fp_ieee_invalid_op 0
		.amdhsa_exception_fp_denorm_src 0
		.amdhsa_exception_fp_ieee_div_zero 0
		.amdhsa_exception_fp_ieee_overflow 0
		.amdhsa_exception_fp_ieee_underflow 0
		.amdhsa_exception_fp_ieee_inexact 0
		.amdhsa_exception_int_div_zero 0
	.end_amdhsa_kernel
	.section	.text._ZL33flash_attn_stream_k_fixup_uniformILi128ELi16ELi1EEvPfPK15HIP_vector_typeIfLj2EEiiiiiiS1_IjLj3EES5_S5_,"axG",@progbits,_ZL33flash_attn_stream_k_fixup_uniformILi128ELi16ELi1EEvPfPK15HIP_vector_typeIfLj2EEiiiiiiS1_IjLj3EES5_S5_,comdat
.Lfunc_end60:
	.size	_ZL33flash_attn_stream_k_fixup_uniformILi128ELi16ELi1EEvPfPK15HIP_vector_typeIfLj2EEiiiiiiS1_IjLj3EES5_S5_, .Lfunc_end60-_ZL33flash_attn_stream_k_fixup_uniformILi128ELi16ELi1EEvPfPK15HIP_vector_typeIfLj2EEiiiiiiS1_IjLj3EES5_S5_
                                        ; -- End function
	.section	.AMDGPU.csdata,"",@progbits
; Kernel info:
; codeLenInByte = 836
; NumSgprs: 24
; NumVgprs: 17
; NumAgprs: 0
; TotalNumVgprs: 17
; ScratchSize: 0
; MemoryBound: 0
; FloatMode: 240
; IeeeMode: 1
; LDSByteSize: 0 bytes/workgroup (compile time only)
; SGPRBlocks: 2
; VGPRBlocks: 2
; NumSGPRsForWavesPerEU: 24
; NumVGPRsForWavesPerEU: 17
; AccumOffset: 20
; Occupancy: 8
; WaveLimiterHint : 0
; COMPUTE_PGM_RSRC2:SCRATCH_EN: 0
; COMPUTE_PGM_RSRC2:USER_SGPR: 6
; COMPUTE_PGM_RSRC2:TRAP_HANDLER: 0
; COMPUTE_PGM_RSRC2:TGID_X_EN: 1
; COMPUTE_PGM_RSRC2:TGID_Y_EN: 1
; COMPUTE_PGM_RSRC2:TGID_Z_EN: 1
; COMPUTE_PGM_RSRC2:TIDIG_COMP_CNT: 0
; COMPUTE_PGM_RSRC3_GFX90A:ACCUM_OFFSET: 4
; COMPUTE_PGM_RSRC3_GFX90A:TG_SPLIT: 0
	.section	.text._ZL33flash_attn_stream_k_fixup_generalILi128ELi16ELi1EEvPfPK15HIP_vector_typeIfLj2EEiiiiS1_IjLj3EES5_S5_S5_,"axG",@progbits,_ZL33flash_attn_stream_k_fixup_generalILi128ELi16ELi1EEvPfPK15HIP_vector_typeIfLj2EEiiiiS1_IjLj3EES5_S5_S5_,comdat
	.globl	_ZL33flash_attn_stream_k_fixup_generalILi128ELi16ELi1EEvPfPK15HIP_vector_typeIfLj2EEiiiiS1_IjLj3EES5_S5_S5_ ; -- Begin function _ZL33flash_attn_stream_k_fixup_generalILi128ELi16ELi1EEvPfPK15HIP_vector_typeIfLj2EEiiiiS1_IjLj3EES5_S5_S5_
	.p2align	8
	.type	_ZL33flash_attn_stream_k_fixup_generalILi128ELi16ELi1EEvPfPK15HIP_vector_typeIfLj2EEiiiiS1_IjLj3EES5_S5_S5_,@function
_ZL33flash_attn_stream_k_fixup_generalILi128ELi16ELi1EEvPfPK15HIP_vector_typeIfLj2EEiiiiS1_IjLj3EES5_S5_S5_: ; @_ZL33flash_attn_stream_k_fixup_generalILi128ELi16ELi1EEvPfPK15HIP_vector_typeIfLj2EEiiiiS1_IjLj3EES5_S5_S5_
; %bb.0:
	s_load_dwordx4 s[12:15], s[4:5], 0x10
	s_load_dword s9, s[4:5], 0x50
	s_mov_b32 s2, 0
	s_waitcnt lgkmcnt(0)
	s_mul_hi_i32 s3, s15, s6
	s_cmp_lg_u64 s[2:3], 0
	s_mul_i32 s2, s15, s6
	s_cbranch_scc0 .LBB61_21
; %bb.1:
	v_cvt_f32_u32_e32 v1, s9
	v_cvt_f32_ubyte0_e32 v2, 0
	s_sub_u32 s10, 0, s9
	s_subb_u32 s11, 0, 0
	v_madmk_f32 v1, v2, 0x4f800000, v1
	v_rcp_f32_e32 v1, v1
	v_mul_f32_e32 v1, 0x5f7ffffc, v1
	v_mul_f32_e32 v2, 0x2f800000, v1
	v_trunc_f32_e32 v2, v2
	v_madmk_f32 v1, v2, 0xcf800000, v1
	v_cvt_u32_f32_e32 v2, v2
	v_cvt_u32_f32_e32 v1, v1
	v_readfirstlane_b32 s16, v2
	v_readfirstlane_b32 s17, v1
	s_mul_i32 s18, s10, s16
	s_mul_hi_u32 s20, s10, s17
	s_mul_i32 s19, s11, s17
	s_add_i32 s18, s20, s18
	s_add_i32 s18, s18, s19
	s_mul_i32 s21, s10, s17
	s_mul_hi_u32 s19, s17, s18
	s_mul_i32 s20, s17, s18
	s_mul_hi_u32 s17, s17, s21
	s_add_u32 s17, s17, s20
	s_addc_u32 s19, 0, s19
	s_mul_hi_u32 s22, s16, s21
	s_mul_i32 s21, s16, s21
	s_add_u32 s17, s17, s21
	s_mul_hi_u32 s20, s16, s18
	s_addc_u32 s17, s19, s22
	s_addc_u32 s19, s20, 0
	s_mul_i32 s18, s16, s18
	s_add_u32 s17, s17, s18
	s_addc_u32 s18, 0, s19
	v_add_co_u32_e32 v1, vcc, s17, v1
	s_cmp_lg_u64 vcc, 0
	s_addc_u32 s16, s16, s18
	v_readfirstlane_b32 s18, v1
	s_mul_i32 s17, s10, s16
	s_mul_hi_u32 s19, s10, s18
	s_add_i32 s17, s19, s17
	s_mul_i32 s11, s11, s18
	s_add_i32 s17, s17, s11
	s_mul_i32 s10, s10, s18
	s_mul_hi_u32 s19, s16, s10
	s_mul_i32 s20, s16, s10
	s_mul_i32 s22, s18, s17
	s_mul_hi_u32 s10, s18, s10
	s_mul_hi_u32 s21, s18, s17
	s_add_u32 s10, s10, s22
	s_addc_u32 s18, 0, s21
	s_add_u32 s10, s10, s20
	s_mul_hi_u32 s11, s16, s17
	s_addc_u32 s10, s18, s19
	s_addc_u32 s11, s11, 0
	s_mul_i32 s17, s16, s17
	s_add_u32 s10, s10, s17
	s_addc_u32 s11, 0, s11
	v_add_co_u32_e32 v1, vcc, s10, v1
	s_cmp_lg_u64 vcc, 0
	s_addc_u32 s18, s16, s11
	s_ashr_i32 s10, s3, 31
	s_add_u32 s16, s2, s10
	s_mov_b32 s11, s10
	s_addc_u32 s17, s3, s10
	s_xor_b64 s[16:17], s[16:17], s[10:11]
	v_readfirstlane_b32 s20, v1
	s_mul_i32 s19, s16, s18
	s_mul_hi_u32 s21, s16, s20
	s_mul_hi_u32 s3, s16, s18
	s_add_u32 s19, s21, s19
	s_addc_u32 s3, 0, s3
	s_mul_hi_u32 s22, s17, s20
	s_mul_i32 s20, s17, s20
	s_add_u32 s19, s19, s20
	s_mul_hi_u32 s21, s17, s18
	s_addc_u32 s3, s3, s22
	s_addc_u32 s19, s21, 0
	s_mul_i32 s18, s17, s18
	s_add_u32 s3, s3, s18
	s_addc_u32 s18, 0, s19
	s_add_u32 s19, s3, 1
	s_addc_u32 s20, s18, 0
	s_add_u32 s21, s3, 2
	s_mul_i32 s23, s9, s18
	s_mul_hi_u32 s24, s9, s3
	s_addc_u32 s22, s18, 0
	s_add_i32 s24, s24, s23
	s_mul_i32 s23, s9, s3
	v_mov_b32_e32 v1, s23
	v_sub_co_u32_e32 v1, vcc, s16, v1
	s_cmp_lg_u64 vcc, 0
	s_subb_u32 s16, s17, s24
	v_subrev_co_u32_e32 v2, vcc, s9, v1
	s_cmp_lg_u64 vcc, 0
	s_subb_u32 s17, s16, 0
	v_readfirstlane_b32 s23, v2
	s_cmp_ge_u32 s23, s9
	s_cselect_b32 s23, -1, 0
	s_cmp_eq_u32 s17, 0
	s_cselect_b32 s17, s23, -1
	s_cmp_lg_u32 s17, 0
	s_cselect_b32 s17, s22, s20
	v_readfirstlane_b32 s20, v1
	s_cselect_b32 s19, s21, s19
	s_cmp_ge_u32 s20, s9
	s_cselect_b32 s20, -1, 0
	s_cmp_eq_u32 s16, 0
	s_cselect_b32 s16, s20, -1
	s_cmp_lg_u32 s16, 0
	s_cselect_b32 s17, s17, s18
	s_cselect_b32 s16, s19, s3
	s_xor_b64 s[16:17], s[16:17], s[10:11]
	s_sub_u32 s20, s16, s10
	s_load_dwordx4 s[16:19], s[4:5], 0x44
	s_cbranch_execnz .LBB61_3
.LBB61_2:
	v_cvt_f32_u32_e32 v1, s9
	s_sub_i32 s0, 0, s9
	v_rcp_iflag_f32_e32 v1, v1
	v_mul_f32_e32 v1, 0x4f7ffffe, v1
	v_cvt_u32_f32_e32 v1, v1
	v_readfirstlane_b32 s1, v1
	s_mul_i32 s0, s0, s1
	s_mul_hi_u32 s0, s1, s0
	s_add_i32 s1, s1, s0
	s_mul_hi_u32 s0, s2, s1
	s_mul_i32 s3, s0, s9
	s_sub_i32 s2, s2, s3
	s_add_i32 s1, s0, 1
	s_sub_i32 s3, s2, s9
	s_cmp_ge_u32 s2, s9
	s_cselect_b32 s0, s1, s0
	s_cselect_b32 s2, s3, s2
	s_add_i32 s1, s0, 1
	s_cmp_ge_u32 s2, s9
	s_cselect_b32 s20, s1, s0
.LBB61_3:
	s_add_i32 s0, s6, 1
	s_mul_hi_i32 s3, s15, s0
	s_mov_b32 s2, 0
	s_cmp_lg_u64 s[2:3], 0
	s_mul_i32 s2, s15, s0
	s_cbranch_scc0 .LBB61_22
; %bb.4:
	v_cvt_f32_u32_e32 v1, s9
	v_cvt_f32_ubyte0_e32 v2, 0
	s_sub_u32 s10, 0, s9
	s_subb_u32 s11, 0, 0
	v_madmk_f32 v1, v2, 0x4f800000, v1
	v_rcp_f32_e32 v1, v1
	v_mul_f32_e32 v1, 0x5f7ffffc, v1
	v_mul_f32_e32 v2, 0x2f800000, v1
	v_trunc_f32_e32 v2, v2
	v_madmk_f32 v1, v2, 0xcf800000, v1
	v_cvt_u32_f32_e32 v2, v2
	v_cvt_u32_f32_e32 v1, v1
	s_waitcnt lgkmcnt(0)
	v_readfirstlane_b32 s19, v2
	v_readfirstlane_b32 s21, v1
	s_mul_i32 s22, s10, s19
	s_mul_hi_u32 s24, s10, s21
	s_mul_i32 s23, s11, s21
	s_add_i32 s22, s24, s22
	s_add_i32 s22, s22, s23
	s_mul_i32 s25, s10, s21
	s_mul_hi_u32 s23, s21, s22
	s_mul_i32 s24, s21, s22
	s_mul_hi_u32 s21, s21, s25
	s_add_u32 s21, s21, s24
	s_addc_u32 s23, 0, s23
	s_mul_hi_u32 s26, s19, s25
	s_mul_i32 s25, s19, s25
	s_add_u32 s21, s21, s25
	s_mul_hi_u32 s24, s19, s22
	s_addc_u32 s21, s23, s26
	s_addc_u32 s23, s24, 0
	s_mul_i32 s22, s19, s22
	s_add_u32 s21, s21, s22
	s_addc_u32 s22, 0, s23
	v_add_co_u32_e32 v1, vcc, s21, v1
	s_cmp_lg_u64 vcc, 0
	s_addc_u32 s19, s19, s22
	v_readfirstlane_b32 s22, v1
	s_mul_i32 s21, s10, s19
	s_mul_hi_u32 s23, s10, s22
	s_add_i32 s21, s23, s21
	s_mul_i32 s11, s11, s22
	s_add_i32 s21, s21, s11
	s_mul_i32 s10, s10, s22
	s_mul_hi_u32 s23, s19, s10
	s_mul_i32 s24, s19, s10
	s_mul_i32 s26, s22, s21
	s_mul_hi_u32 s10, s22, s10
	s_mul_hi_u32 s25, s22, s21
	s_add_u32 s10, s10, s26
	s_addc_u32 s22, 0, s25
	s_add_u32 s10, s10, s24
	s_mul_hi_u32 s11, s19, s21
	s_addc_u32 s10, s22, s23
	s_addc_u32 s11, s11, 0
	s_mul_i32 s21, s19, s21
	s_add_u32 s10, s10, s21
	s_addc_u32 s11, 0, s11
	v_add_co_u32_e32 v1, vcc, s10, v1
	s_cmp_lg_u64 vcc, 0
	s_addc_u32 s19, s19, s11
	s_ashr_i32 s10, s3, 31
	s_add_u32 s22, s2, s10
	s_mov_b32 s11, s10
	s_addc_u32 s23, s3, s10
	s_xor_b64 s[22:23], s[22:23], s[10:11]
	v_readfirstlane_b32 s21, v1
	s_mul_i32 s11, s22, s19
	s_mul_hi_u32 s24, s22, s21
	s_mul_hi_u32 s3, s22, s19
	s_add_u32 s11, s24, s11
	s_addc_u32 s3, 0, s3
	s_mul_hi_u32 s25, s23, s21
	s_mul_i32 s21, s23, s21
	s_add_u32 s11, s11, s21
	s_mul_hi_u32 s24, s23, s19
	s_addc_u32 s3, s3, s25
	s_addc_u32 s11, s24, 0
	s_mul_i32 s19, s23, s19
	s_add_u32 s3, s3, s19
	s_addc_u32 s11, 0, s11
	s_mul_i32 s11, s9, s11
	s_mul_hi_u32 s24, s9, s3
	s_add_i32 s24, s24, s11
	s_mul_i32 s11, s9, s3
	v_mov_b32_e32 v1, s11
	s_add_u32 s19, s3, 1
	s_add_u32 s21, s3, 2
	v_sub_co_u32_e32 v1, vcc, s22, v1
	s_cmp_lg_u64 vcc, 0
	s_subb_u32 s11, s23, s24
	v_subrev_co_u32_e32 v2, vcc, s9, v1
	s_cmp_lg_u64 vcc, 0
	s_subb_u32 s22, s11, 0
	v_cmp_le_u32_e32 vcc, s9, v2
	s_cmp_eq_u32 s22, 0
	v_cndmask_b32_e64 v2, 0, -1, vcc
	s_cselect_b64 vcc, -1, 0
	v_cndmask_b32_e32 v2, -1, v2, vcc
	v_mov_b32_e32 v3, s19
	v_mov_b32_e32 v4, s21
	v_cmp_ne_u32_e32 vcc, 0, v2
	v_cndmask_b32_e32 v2, v3, v4, vcc
	v_cmp_le_u32_e32 vcc, s9, v1
	s_cmp_eq_u32 s11, 0
	v_cndmask_b32_e64 v1, 0, -1, vcc
	s_cselect_b64 vcc, -1, 0
	v_cndmask_b32_e32 v1, -1, v1, vcc
	v_mov_b32_e32 v3, s3
	v_cmp_ne_u32_e32 vcc, 0, v1
	v_cndmask_b32_e32 v1, v3, v2, vcc
	v_xor_b32_e32 v1, s10, v1
	v_subrev_co_u32_e32 v2, vcc, s10, v1
	s_cbranch_execnz .LBB61_6
.LBB61_5:
	v_cvt_f32_u32_e32 v1, s9
	s_sub_i32 s0, 0, s9
	s_mov_b32 s1, 0
	v_rcp_iflag_f32_e32 v1, v1
	v_mul_f32_e32 v1, 0x4f7ffffe, v1
	v_cvt_u32_f32_e32 v1, v1
	v_readfirstlane_b32 s3, v1
	s_mul_i32 s0, s0, s3
	s_mul_hi_u32 s0, s3, s0
	s_add_i32 s3, s3, s0
	s_mul_hi_u32 s0, s2, s3
	s_mul_i32 s10, s0, s9
	s_sub_i32 s2, s2, s10
	s_add_i32 s3, s0, 1
	s_sub_i32 s10, s2, s9
	s_cmp_ge_u32 s2, s9
	s_cselect_b32 s0, s3, s0
	s_cselect_b32 s2, s10, s2
	s_add_i32 s3, s0, 1
	s_cmp_ge_u32 s2, s9
	s_cselect_b32 s0, s3, s0
	v_pk_mov_b32 v[2:3], s[0:1], s[0:1] op_sel:[0,1]
.LBB61_6:
	s_waitcnt lgkmcnt(0)
	s_mul_hi_u32 s0, s20, s16
	s_add_i32 s0, s0, s20
	v_mul_hi_u32 v1, v2, s16
	s_lshr_b32 s19, s0, s17
	v_add_u32_e32 v1, v1, v2
	s_mul_i32 s0, s19, s18
	v_lshrrev_b32_e32 v1, s17, v1
	s_cmp_eq_u32 s0, s20
	v_cmp_eq_u32_e64 s[0:1], s19, v1
	v_mul_lo_u32 v1, v1, s18
	v_cmp_eq_u32_e32 vcc, s20, v2
	s_cselect_b64 s[10:11], -1, 0
	v_cmp_ne_u32_e64 s[2:3], v1, v2
	s_and_b64 s[0:1], s[0:1], s[2:3]
	s_or_b64 s[2:3], vcc, s[10:11]
	s_or_b64 s[0:1], s[2:3], s[0:1]
	s_and_b64 vcc, exec, s[0:1]
	s_cbranch_vccnz .LBB61_24
; %bb.7:
	s_load_dwordx8 s[24:31], s[4:5], 0x20
	s_load_dword s0, s[4:5], 0x40
	s_mov_b32 s10, 0
	s_waitcnt lgkmcnt(0)
	s_mul_hi_u32 s1, s20, s24
	s_add_i32 s1, s1, s20
	s_lshr_b32 s11, s1, s25
	s_mul_i32 s1, s11, s26
	s_sub_i32 s1, s20, s1
	s_mul_hi_u32 s2, s1, s27
	s_add_i32 s2, s1, s2
	s_lshr_b32 s25, s2, s28
	s_mul_i32 s2, s25, s29
	s_sub_i32 s1, s1, s2
	;; [unrolled: 5-line block ×3, first 2 shown]
	s_mul_hi_u32 s1, s0, s16
	s_add_i32 s0, s0, s1
	s_lshr_b32 s26, s0, s17
	s_lshl_b32 s0, s26, 4
	s_add_i32 s0, s0, s7
	s_cmp_lt_i32 s0, s12
	s_cselect_b64 s[0:1], -1, 0
	s_add_i32 s2, s24, s8
	s_cmp_lt_i32 s2, s14
	s_cselect_b64 s[2:3], -1, 0
	s_and_b64 s[0:1], s[0:1], s[2:3]
	s_andn2_b64 vcc, exec, s[0:1]
	s_cbranch_vccnz .LBB61_24
; %bb.8:
	s_load_dwordx4 s[0:3], s[4:5], 0x0
	s_lshl_b32 s4, s9, 6
	s_mov_b32 s5, s10
	s_add_i32 s21, s7, s8
	s_lshl_b64 s[4:5], s[4:5], 2
	s_waitcnt lgkmcnt(0)
	s_add_u32 s22, s2, s4
	s_mul_i32 s4, s11, s12
	s_addc_u32 s23, s3, s5
	s_add_i32 s4, s4, s7
	s_mul_i32 s4, s4, s13
	s_mul_i32 s25, s25, s14
	s_add_i32 s4, s4, s8
	s_add_i32 s4, s4, s25
	s_mul_i32 s5, s13, s26
	s_add_i32 s4, s4, s24
	s_lshl_b32 s5, s5, 11
	s_lshl_b32 s4, s4, 7
	s_add_i32 s5, s5, s4
	v_or_b32_e32 v2, s5, v0
	v_ashrrev_i32_e32 v3, 31, v2
	v_lshlrev_b64 v[2:3], 2, v[2:3]
	v_mov_b32_e32 v1, s1
	v_add_co_u32_e32 v2, vcc, s0, v2
	v_addc_co_u32_e32 v3, vcc, v1, v3, vcc
	global_load_dword v5, v[2:3], off
	v_lshl_or_b32 v4, s21, 7, v0
	v_cvt_f32_u32_e32 v0, s9
	v_cvt_f32_ubyte0_e32 v1, 0
	s_lshl_b32 s0, s6, 4
	s_add_i32 s0, s0, s21
	v_mac_f32_e32 v0, 0x4f800000, v1
	v_rcp_f32_e32 v0, v0
	v_cvt_f32_u32_e32 v1, s9
	s_ashr_i32 s1, s0, 31
	s_lshl_b64 s[0:1], s[0:1], 3
	v_mul_f32_e32 v0, 0x5f7ffffc, v0
	v_rcp_iflag_f32_e32 v1, v1
	s_add_u32 s0, s2, s0
	v_mul_f32_e32 v9, 0x2f800000, v0
	s_addc_u32 s1, s3, s1
	v_trunc_f32_e32 v10, v9
	s_load_dwordx2 s[0:1], s[0:1], 0x0
	v_mac_f32_e32 v0, 0xcf800000, v10
	v_cvt_u32_f32_e32 v9, v0
	v_mul_f32_e32 v0, 0x4f7ffffe, v1
	v_cvt_u32_f32_e32 v10, v10
	v_cvt_u32_f32_e32 v11, v0
	s_add_i32 s8, s6, -1
	s_waitcnt lgkmcnt(0)
	v_mov_b32_e32 v6, s1
	v_mov_b32_e32 v7, s0
	;; [unrolled: 1-line block ×3, first 2 shown]
	s_mov_b32 s6, 0x3fb8aa3b
	s_mov_b32 s7, 0xc2ce8ed0
	;; [unrolled: 1-line block ×4, first 2 shown]
	v_mov_b32_e32 v12, 0x7f800000
	s_mul_hi_i32 s11, s8, s15
	s_cmp_lg_u64 s[10:11], 0
	s_mul_i32 s4, s8, s15
	s_cbranch_scc0 .LBB61_15
.LBB61_9:
	s_sub_u32 s0, 0, s9
	v_readfirstlane_b32 s5, v9
	v_readfirstlane_b32 s24, v10
	s_subb_u32 s1, 0, 0
	s_mul_hi_u32 s20, s0, s5
	s_mul_i32 s25, s0, s24
	s_mul_i32 s14, s1, s5
	s_add_i32 s20, s20, s25
	s_add_i32 s20, s20, s14
	s_mul_i32 s26, s0, s5
	s_mul_hi_u32 s14, s5, s20
	s_mul_i32 s25, s5, s20
	s_mul_hi_u32 s5, s5, s26
	s_add_u32 s5, s5, s25
	s_addc_u32 s14, 0, s14
	s_mul_hi_u32 s27, s24, s26
	s_mul_i32 s26, s24, s26
	s_add_u32 s5, s5, s26
	s_mul_hi_u32 s25, s24, s20
	s_addc_u32 s5, s14, s27
	s_addc_u32 s14, s25, 0
	s_mul_i32 s20, s24, s20
	s_add_u32 s5, s5, s20
	s_addc_u32 s14, 0, s14
	v_add_co_u32_e32 v0, vcc, s5, v9
	s_cmp_lg_u64 vcc, 0
	s_addc_u32 s5, s24, s14
	v_readfirstlane_b32 s20, v0
	s_mul_i32 s14, s0, s5
	s_mul_hi_u32 s24, s0, s20
	s_add_i32 s14, s24, s14
	s_mul_i32 s1, s1, s20
	s_add_i32 s14, s14, s1
	s_mul_i32 s0, s0, s20
	s_mul_hi_u32 s24, s5, s0
	s_mul_i32 s25, s5, s0
	s_mul_i32 s27, s20, s14
	s_mul_hi_u32 s0, s20, s0
	s_mul_hi_u32 s26, s20, s14
	s_add_u32 s0, s0, s27
	s_addc_u32 s20, 0, s26
	s_add_u32 s0, s0, s25
	s_mul_hi_u32 s1, s5, s14
	s_addc_u32 s0, s20, s24
	s_addc_u32 s1, s1, 0
	s_mul_i32 s14, s5, s14
	s_add_u32 s0, s0, s14
	s_addc_u32 s1, 0, s1
	v_add_co_u32_e32 v0, vcc, s0, v0
	s_cmp_lg_u64 vcc, 0
	s_addc_u32 s5, s5, s1
	s_ashr_i32 s0, s11, 31
	s_add_u32 s24, s4, s0
	s_mov_b32 s1, s0
	s_addc_u32 s25, s11, s0
	s_xor_b64 s[24:25], s[24:25], s[0:1]
	v_readfirstlane_b32 s14, v0
	s_mul_i32 s11, s24, s5
	s_mul_hi_u32 s20, s24, s14
	s_mul_hi_u32 s1, s24, s5
	s_add_u32 s11, s20, s11
	s_addc_u32 s1, 0, s1
	s_mul_hi_u32 s26, s25, s14
	s_mul_i32 s14, s25, s14
	s_add_u32 s11, s11, s14
	s_mul_hi_u32 s20, s25, s5
	s_addc_u32 s1, s1, s26
	s_addc_u32 s11, s20, 0
	s_mul_i32 s5, s25, s5
	s_add_u32 s1, s1, s5
	s_addc_u32 s5, 0, s11
	s_mul_i32 s5, s9, s5
	s_mul_hi_u32 s20, s9, s1
	s_add_i32 s20, s20, s5
	s_mul_i32 s5, s9, s1
	v_mov_b32_e32 v0, s5
	s_add_u32 s11, s1, 1
	s_add_u32 s14, s1, 2
	v_sub_co_u32_e32 v0, vcc, s24, v0
	s_cmp_lg_u64 vcc, 0
	s_subb_u32 s5, s25, s20
	v_subrev_co_u32_e32 v1, vcc, s9, v0
	s_cmp_lg_u64 vcc, 0
	s_subb_u32 s20, s5, 0
	v_cmp_le_u32_e32 vcc, s9, v1
	s_cmp_eq_u32 s20, 0
	v_cndmask_b32_e64 v1, 0, -1, vcc
	s_cselect_b64 vcc, -1, 0
	v_cndmask_b32_e32 v1, -1, v1, vcc
	v_mov_b32_e32 v13, s11
	v_mov_b32_e32 v14, s14
	v_cmp_ne_u32_e32 vcc, 0, v1
	v_cndmask_b32_e32 v1, v13, v14, vcc
	v_cmp_le_u32_e32 vcc, s9, v0
	s_cmp_eq_u32 s5, 0
	v_cndmask_b32_e64 v0, 0, -1, vcc
	s_cselect_b64 vcc, -1, 0
	v_cndmask_b32_e32 v0, -1, v0, vcc
	v_mov_b32_e32 v13, s1
	v_cmp_ne_u32_e32 vcc, 0, v0
	v_cndmask_b32_e32 v0, v13, v1, vcc
	v_xor_b32_e32 v0, s0, v0
	v_subrev_co_u32_e32 v0, vcc, s0, v0
	s_cbranch_execnz .LBB61_11
.LBB61_10:
	s_sub_i32 s0, 0, s9
	v_mul_lo_u32 v0, s0, v11
	v_mul_hi_u32 v0, v11, v0
	v_add_u32_e32 v0, v11, v0
	v_mul_hi_u32 v0, s4, v0
	v_mul_lo_u32 v13, v0, s9
	v_sub_u32_e32 v13, s4, v13
	v_add_u32_e32 v1, 1, v0
	v_subrev_u32_e32 v14, s9, v13
	v_cmp_le_u32_e32 vcc, s9, v13
	v_cndmask_b32_e32 v13, v13, v14, vcc
	v_cndmask_b32_e32 v0, v0, v1, vcc
	v_add_u32_e32 v1, 1, v0
	v_cmp_le_u32_e32 vcc, s9, v13
	v_cndmask_b32_e32 v0, v0, v1, vcc
.LBB61_11:
	v_cmp_ne_u32_e32 vcc, v8, v0
	s_cbranch_vccz .LBB61_14
; %bb.12:
	s_add_i32 s0, s8, s9
	s_lshl_b32 s0, s0, 4
	v_mul_hi_u32 v1, v0, s16
	s_add_i32 s0, s0, s21
	s_mov_b32 s1, s10
	v_add_u32_e32 v1, v1, v0
	s_lshl_b64 s[0:1], s[0:1], 3
	v_lshrrev_b32_e32 v1, s17, v1
	s_add_u32 s4, s2, s0
	v_mul_lo_u32 v13, v1, s18
	s_addc_u32 s5, s3, s1
	v_cmp_eq_u32_e32 vcc, v13, v0
	v_cmp_gt_u32_e64 s[0:1], s19, v1
	s_or_b64 s[0:1], s[0:1], vcc
	s_and_b64 vcc, exec, s[0:1]
	s_cbranch_vccnz .LBB61_16
; %bb.13:
	s_add_i32 s11, s8, -1
	s_mov_b64 s[0:1], 0
	s_branch .LBB61_17
.LBB61_14:
                                        ; implicit-def: $sgpr0_sgpr1
                                        ; implicit-def: $vgpr14
                                        ; implicit-def: $vgpr1
                                        ; implicit-def: $vgpr13
                                        ; implicit-def: $sgpr11
                                        ; implicit-def: $vgpr0
	s_branch .LBB61_18
.LBB61_15:
                                        ; implicit-def: $vgpr0_vgpr1
	s_branch .LBB61_10
.LBB61_16:
	s_mov_b64 s[0:1], -1
	s_mov_b32 s11, s8
	v_mov_b32_e32 v0, v8
.LBB61_17:
	v_lshl_add_u32 v14, s8, 11, v4
	v_ashrrev_i32_e32 v15, 31, v14
	v_lshlrev_b64 v[14:15], 2, v[14:15]
	v_mov_b32_e32 v1, s23
	v_add_co_u32_e32 v14, vcc, s22, v14
	v_addc_co_u32_e32 v15, vcc, v1, v15, vcc
	global_load_dword v14, v[14:15], off
	s_load_dwordx2 s[4:5], s[4:5], 0x0
	v_max_f32_e32 v1, v7, v7
	s_waitcnt lgkmcnt(0)
	v_max_f32_e64 v13, s4, s4
	v_max_f32_e32 v1, v1, v13
	v_sub_f32_e32 v13, v7, v1
	v_sub_f32_e32 v15, s4, v1
	v_mul_f32_e32 v16, 0x3fb8aa3b, v13
	v_mul_f32_e32 v17, 0x3fb8aa3b, v15
	v_fma_f32 v18, v13, s6, -v16
	v_rndne_f32_e32 v19, v16
	v_fma_f32 v20, v15, s6, -v17
	v_rndne_f32_e32 v21, v17
	v_fmac_f32_e32 v18, 0x32a5705f, v13
	v_sub_f32_e32 v16, v16, v19
	v_fmac_f32_e32 v20, 0x32a5705f, v15
	v_sub_f32_e32 v17, v17, v21
	v_add_f32_e32 v16, v16, v18
	v_cvt_i32_f32_e32 v19, v19
	v_add_f32_e32 v17, v17, v20
	v_exp_f32_e32 v16, v16
	v_cvt_i32_f32_e32 v21, v21
	v_exp_f32_e32 v17, v17
	v_cmp_ngt_f32_e32 vcc, s7, v13
	v_ldexp_f32 v16, v16, v19
	v_cndmask_b32_e32 v16, 0, v16, vcc
	v_ldexp_f32 v17, v17, v21
	v_cmp_ngt_f32_e32 vcc, s7, v15
	v_cndmask_b32_e32 v17, 0, v17, vcc
	v_cmp_nlt_f32_e32 vcc, s12, v13
	v_cndmask_b32_e32 v16, v12, v16, vcc
	v_cmp_nlt_f32_e32 vcc, s12, v15
	v_cndmask_b32_e32 v17, v12, v17, vcc
	v_cmp_le_f32_e32 vcc, s13, v13
	v_cndmask_b32_e32 v16, 0, v16, vcc
	v_cmp_le_f32_e32 vcc, s13, v15
	v_cndmask_b32_e32 v15, 0, v17, vcc
	v_mul_f32_e32 v13, s5, v15
	v_fmac_f32_e32 v13, v6, v16
	s_waitcnt vmcnt(0)
	v_mul_f32_e32 v14, v14, v15
	v_fmac_f32_e32 v14, v5, v16
	s_cbranch_execnz .LBB61_19
.LBB61_18:
	s_add_i32 s11, s8, -1
	s_mov_b64 s[0:1], 0
	v_mov_b32_e32 v0, v8
	v_mov_b32_e32 v13, v6
	;; [unrolled: 1-line block ×3, first 2 shown]
	s_waitcnt vmcnt(0)
	v_mov_b32_e32 v14, v5
.LBB61_19:
	s_andn2_b64 vcc, exec, s[0:1]
	s_cbranch_vccz .LBB61_23
; %bb.20:
	v_mov_b32_e32 v8, v0
	s_mov_b32 s8, s11
	v_mov_b32_e32 v6, v13
	v_mov_b32_e32 v7, v1
	s_waitcnt vmcnt(0)
	v_mov_b32_e32 v5, v14
	s_mul_hi_i32 s11, s8, s15
	s_cmp_lg_u64 s[10:11], 0
	s_mul_i32 s4, s8, s15
	s_cbranch_scc1 .LBB61_9
	s_branch .LBB61_15
.LBB61_21:
                                        ; implicit-def: $sgpr20_sgpr21
	s_load_dwordx4 s[16:19], s[4:5], 0x44
	s_branch .LBB61_2
.LBB61_22:
                                        ; implicit-def: $vgpr2_vgpr3
	s_branch .LBB61_5
.LBB61_23:
	v_div_scale_f32 v0, s[0:1], v13, v13, v14
	v_rcp_f32_e32 v1, v0
	v_div_scale_f32 v4, vcc, v14, v13, v14
	s_waitcnt vmcnt(0)
	v_fma_f32 v5, -v0, v1, 1.0
	v_fmac_f32_e32 v1, v5, v1
	v_mul_f32_e32 v5, v4, v1
	v_fma_f32 v6, -v0, v5, v4
	v_fmac_f32_e32 v5, v6, v1
	v_fma_f32 v0, -v0, v5, v4
	v_div_fmas_f32 v0, v0, v1, v5
	v_div_fixup_f32 v0, v0, v13, v14
	global_store_dword v[2:3], v0, off
.LBB61_24:
	s_endpgm
	.section	.rodata,"a",@progbits
	.p2align	6, 0x0
	.amdhsa_kernel _ZL33flash_attn_stream_k_fixup_generalILi128ELi16ELi1EEvPfPK15HIP_vector_typeIfLj2EEiiiiS1_IjLj3EES5_S5_S5_
		.amdhsa_group_segment_fixed_size 0
		.amdhsa_private_segment_fixed_size 0
		.amdhsa_kernarg_size 336
		.amdhsa_user_sgpr_count 6
		.amdhsa_user_sgpr_private_segment_buffer 1
		.amdhsa_user_sgpr_dispatch_ptr 0
		.amdhsa_user_sgpr_queue_ptr 0
		.amdhsa_user_sgpr_kernarg_segment_ptr 1
		.amdhsa_user_sgpr_dispatch_id 0
		.amdhsa_user_sgpr_flat_scratch_init 0
		.amdhsa_user_sgpr_kernarg_preload_length 0
		.amdhsa_user_sgpr_kernarg_preload_offset 0
		.amdhsa_user_sgpr_private_segment_size 0
		.amdhsa_uses_dynamic_stack 0
		.amdhsa_system_sgpr_private_segment_wavefront_offset 0
		.amdhsa_system_sgpr_workgroup_id_x 1
		.amdhsa_system_sgpr_workgroup_id_y 1
		.amdhsa_system_sgpr_workgroup_id_z 1
		.amdhsa_system_sgpr_workgroup_info 0
		.amdhsa_system_vgpr_workitem_id 0
		.amdhsa_next_free_vgpr 22
		.amdhsa_next_free_sgpr 32
		.amdhsa_accum_offset 24
		.amdhsa_reserve_vcc 1
		.amdhsa_reserve_flat_scratch 0
		.amdhsa_float_round_mode_32 0
		.amdhsa_float_round_mode_16_64 0
		.amdhsa_float_denorm_mode_32 3
		.amdhsa_float_denorm_mode_16_64 3
		.amdhsa_dx10_clamp 1
		.amdhsa_ieee_mode 1
		.amdhsa_fp16_overflow 0
		.amdhsa_tg_split 0
		.amdhsa_exception_fp_ieee_invalid_op 0
		.amdhsa_exception_fp_denorm_src 0
		.amdhsa_exception_fp_ieee_div_zero 0
		.amdhsa_exception_fp_ieee_overflow 0
		.amdhsa_exception_fp_ieee_underflow 0
		.amdhsa_exception_fp_ieee_inexact 0
		.amdhsa_exception_int_div_zero 0
	.end_amdhsa_kernel
	.section	.text._ZL33flash_attn_stream_k_fixup_generalILi128ELi16ELi1EEvPfPK15HIP_vector_typeIfLj2EEiiiiS1_IjLj3EES5_S5_S5_,"axG",@progbits,_ZL33flash_attn_stream_k_fixup_generalILi128ELi16ELi1EEvPfPK15HIP_vector_typeIfLj2EEiiiiS1_IjLj3EES5_S5_S5_,comdat
.Lfunc_end61:
	.size	_ZL33flash_attn_stream_k_fixup_generalILi128ELi16ELi1EEvPfPK15HIP_vector_typeIfLj2EEiiiiS1_IjLj3EES5_S5_S5_, .Lfunc_end61-_ZL33flash_attn_stream_k_fixup_generalILi128ELi16ELi1EEvPfPK15HIP_vector_typeIfLj2EEiiiiS1_IjLj3EES5_S5_S5_
                                        ; -- End function
	.section	.AMDGPU.csdata,"",@progbits
; Kernel info:
; codeLenInByte = 2816
; NumSgprs: 36
; NumVgprs: 22
; NumAgprs: 0
; TotalNumVgprs: 22
; ScratchSize: 0
; MemoryBound: 0
; FloatMode: 240
; IeeeMode: 1
; LDSByteSize: 0 bytes/workgroup (compile time only)
; SGPRBlocks: 4
; VGPRBlocks: 2
; NumSGPRsForWavesPerEU: 36
; NumVGPRsForWavesPerEU: 22
; AccumOffset: 24
; Occupancy: 8
; WaveLimiterHint : 0
; COMPUTE_PGM_RSRC2:SCRATCH_EN: 0
; COMPUTE_PGM_RSRC2:USER_SGPR: 6
; COMPUTE_PGM_RSRC2:TRAP_HANDLER: 0
; COMPUTE_PGM_RSRC2:TGID_X_EN: 1
; COMPUTE_PGM_RSRC2:TGID_Y_EN: 1
; COMPUTE_PGM_RSRC2:TGID_Z_EN: 1
; COMPUTE_PGM_RSRC2:TIDIG_COMP_CNT: 0
; COMPUTE_PGM_RSRC3_GFX90A:ACCUM_OFFSET: 5
; COMPUTE_PGM_RSRC3_GFX90A:TG_SPLIT: 0
	.section	.text._ZL15flash_attn_tileILi128ELi128ELi8ELi1ELb0EEvPKcS1_S1_S1_S1_PKiPfP15HIP_vector_typeIfLj2EEffffjfiS5_IjLj3EEiiiiiiiiiiiliiliiiiil,"axG",@progbits,_ZL15flash_attn_tileILi128ELi128ELi8ELi1ELb0EEvPKcS1_S1_S1_S1_PKiPfP15HIP_vector_typeIfLj2EEffffjfiS5_IjLj3EEiiiiiiiiiiiliiliiiiil,comdat
	.globl	_ZL15flash_attn_tileILi128ELi128ELi8ELi1ELb0EEvPKcS1_S1_S1_S1_PKiPfP15HIP_vector_typeIfLj2EEffffjfiS5_IjLj3EEiiiiiiiiiiiliiliiiiil ; -- Begin function _ZL15flash_attn_tileILi128ELi128ELi8ELi1ELb0EEvPKcS1_S1_S1_S1_PKiPfP15HIP_vector_typeIfLj2EEffffjfiS5_IjLj3EEiiiiiiiiiiiliiliiiiil
	.p2align	8
	.type	_ZL15flash_attn_tileILi128ELi128ELi8ELi1ELb0EEvPKcS1_S1_S1_S1_PKiPfP15HIP_vector_typeIfLj2EEffffjfiS5_IjLj3EEiiiiiiiiiiiliiliiiiil,@function
_ZL15flash_attn_tileILi128ELi128ELi8ELi1ELb0EEvPKcS1_S1_S1_S1_PKiPfP15HIP_vector_typeIfLj2EEffffjfiS5_IjLj3EEiiiiiiiiiiiliiliiiiil: ; @_ZL15flash_attn_tileILi128ELi128ELi8ELi1ELb0EEvPKcS1_S1_S1_S1_PKiPfP15HIP_vector_typeIfLj2EEffffjfiS5_IjLj3EEiiiiiiiiiiiliiliiiiil
; %bb.0:
	s_load_dwordx4 s[36:39], s[4:5], 0x5c
	s_load_dwordx2 s[14:15], s[4:5], 0x80
	s_add_u32 flat_scratch_lo, s6, s11
	s_addc_u32 flat_scratch_hi, s7, 0
	s_add_u32 s0, s0, s11
	s_waitcnt lgkmcnt(0)
	v_cvt_f32_u32_e32 v1, s39
	s_addc_u32 s1, s1, 0
	s_sub_i32 s6, 0, s39
	s_load_dwordx16 s[16:31], s[4:5], 0x0
	v_rcp_iflag_f32_e32 v1, v1
	s_load_dwordx2 s[46:47], s[4:5], 0xb8
	s_mov_b64 s[44:45], 0
	v_mul_f32_e32 v1, 0x4f7ffffe, v1
	v_cvt_u32_f32_e32 v1, v1
	v_readfirstlane_b32 s7, v1
	s_mul_i32 s6, s6, s7
	s_mul_hi_u32 s6, s7, s6
	s_add_i32 s7, s7, s6
	s_mul_hi_u32 s6, s10, s7
	s_mul_i32 s7, s6, s39
	s_sub_i32 s7, s10, s7
	s_add_i32 s11, s6, 1
	s_sub_i32 s12, s7, s39
	s_cmp_ge_u32 s7, s39
	s_cselect_b32 s6, s11, s6
	s_cselect_b32 s7, s12, s7
	s_add_i32 s11, s6, 1
	s_cmp_ge_u32 s7, s39
	s_cselect_b32 s33, s11, s6
	s_abs_i32 s6, s15
	v_cvt_f32_u32_e32 v1, s6
	s_mul_i32 s12, s33, s39
	s_sub_i32 s13, 0, s6
	s_sub_i32 s34, s10, s12
	v_rcp_iflag_f32_e32 v1, v1
	s_abs_i32 s11, s39
	s_xor_b32 s7, s39, s15
	s_ashr_i32 s7, s7, 31
	v_mul_f32_e32 v1, 0x4f7ffffe, v1
	v_cvt_u32_f32_e32 v1, v1
	v_readfirstlane_b32 s10, v1
	s_mul_i32 s13, s13, s10
	s_mul_hi_u32 s12, s10, s13
	s_add_i32 s10, s10, s12
	s_mul_hi_u32 s10, s11, s10
	s_mul_i32 s12, s10, s6
	s_sub_i32 s11, s11, s12
	s_add_i32 s13, s10, 1
	s_sub_i32 s12, s11, s6
	s_cmp_ge_u32 s11, s6
	s_cselect_b32 s10, s13, s10
	s_cselect_b32 s11, s12, s11
	s_add_i32 s12, s10, 1
	s_cmp_ge_u32 s11, s6
	s_cselect_b32 s6, s12, s10
	s_xor_b32 s6, s6, s7
	s_sub_i32 s15, s6, s7
	s_abs_i32 s48, s15
	v_cvt_f32_u32_e32 v1, s48
	s_sub_i32 s6, 0, s48
	s_abs_i32 s49, s34
	v_rcp_iflag_f32_e32 v1, v1
	v_mul_f32_e32 v1, 0x4f7ffffe, v1
	v_cvt_u32_f32_e32 v1, v1
	v_readfirstlane_b32 s7, v1
	s_mul_i32 s6, s6, s7
	s_mul_hi_u32 s6, s7, s6
	s_add_i32 s6, s7, s6
	s_waitcnt lgkmcnt(0)
	s_cmp_eq_u64 s[22:23], 0
	s_cbranch_scc1 .LBB62_2
; %bb.1:
	s_abs_i32 s7, s46
	v_cvt_f32_u32_e32 v1, s7
	s_sub_i32 s35, 0, s7
	s_abs_i32 s13, s33
	s_ashr_i32 s12, s33, 31
	v_rcp_iflag_f32_e32 v1, v1
	s_load_dwordx2 s[10:11], s[4:5], 0xc8
	v_mul_f32_e32 v1, 0x4f7ffffe, v1
	v_cvt_u32_f32_e32 v1, v1
	v_readfirstlane_b32 s40, v1
	s_mul_i32 s35, s35, s40
	s_mul_hi_u32 s35, s40, s35
	s_add_i32 s40, s40, s35
	s_mul_hi_u32 s35, s13, s40
	s_mul_i32 s35, s35, s7
	s_sub_i32 s13, s13, s35
	s_sub_i32 s35, s13, s7
	s_cmp_ge_u32 s13, s7
	s_cselect_b32 s13, s35, s13
	s_sub_i32 s35, s13, s7
	s_cmp_ge_u32 s13, s7
	s_cselect_b32 s7, s35, s13
	s_xor_b32 s7, s7, s12
	s_sub_i32 s7, s7, s12
	s_ashr_i32 s12, s7, 31
	s_waitcnt lgkmcnt(0)
	s_mul_i32 s11, s7, s11
	s_mul_hi_u32 s13, s7, s10
	s_add_i32 s11, s13, s11
	s_mul_i32 s12, s12, s10
	s_add_i32 s11, s11, s12
	s_mul_i32 s7, s7, s10
	s_add_u32 s44, s22, s7
	s_addc_u32 s45, s23, s11
.LBB62_2:
	s_load_dwordx4 s[40:43], s[4:5], 0x40
	s_mul_hi_u32 s22, s49, s6
	s_load_dword s6, s[4:5], 0x50
	v_mov_b32_e32 v34, 1.0
	s_waitcnt lgkmcnt(0)
	v_cmp_le_f32_e64 s[10:11], s41, 0
	s_and_b64 vcc, exec, s[10:11]
	s_cbranch_vccnz .LBB62_4
; %bb.3:
	s_sub_i32 s7, s34, s6
	s_lshl_b32 s7, s7, 1
	s_add_i32 s10, s34, 1
	s_or_b32 s11, s7, 1
	s_cmp_lt_u32 s34, s6
	s_cselect_b64 vcc, -1, 0
	s_and_b64 s[6:7], vcc, exec
	v_mov_b32_e32 v1, s43
	v_mov_b32_e32 v2, s42
	s_cselect_b32 s6, s10, s11
	v_cndmask_b32_e32 v18, v1, v2, vcc
	v_cvt_f32_i32_e32 v1, s6
	v_cmp_neq_f32_e32 vcc, 1.0, v18
	s_mov_b32 s6, 0x3f2aaaab
	s_movk_i32 s10, 0x204
	v_cndmask_b32_e32 v19, 1.0, v1, vcc
	v_cmp_eq_f32_e32 vcc, 0, v19
	v_cndmask_b32_e64 v20, |v18|, 1.0, vcc
	v_frexp_mant_f32_e32 v1, v20
	v_cmp_gt_f32_e64 s[6:7], s6, v1
	v_cndmask_b32_e64 v2, 1.0, 2.0, s[6:7]
	v_mul_f32_e32 v1, v1, v2
	v_add_f32_e32 v2, 1.0, v1
	v_rcp_f32_e32 v10, v2
	v_add_f32_e32 v3, -1.0, v2
	v_sub_f32_e32 v5, v1, v3
	v_add_f32_e32 v3, -1.0, v1
	v_mul_f32_e32 v1, v3, v10
	v_mul_f32_e32 v4, v2, v1
	v_fma_f32 v6, v1, v2, -v4
	v_fmac_f32_e32 v6, v1, v5
	v_add_f32_e32 v2, v4, v6
	v_sub_f32_e32 v5, v3, v2
	v_pk_add_f32 v[8:9], v[2:3], v[4:5] neg_lo:[0,1] neg_hi:[0,1]
	v_mov_b32_e32 v7, v2
	v_pk_add_f32 v[2:3], v[8:9], v[6:7] neg_lo:[0,1] neg_hi:[0,1]
	v_add_f32_e32 v2, v2, v3
	v_add_f32_e32 v2, v5, v2
	v_mul_f32_e32 v3, v10, v2
	v_add_f32_e32 v2, v1, v3
	v_sub_f32_e32 v1, v2, v1
	v_sub_f32_e32 v1, v3, v1
	v_mul_f32_e32 v3, v2, v2
	v_fma_f32 v5, v2, v2, -v3
	v_add_f32_e32 v4, v1, v1
	v_fmac_f32_e32 v5, v2, v4
	v_add_f32_e32 v4, v3, v5
	v_mov_b32_e32 v6, 0x3e91f4c4
	v_fmac_f32_e32 v6, 0x3e76c4e1, v4
	v_mov_b32_e32 v7, 0x3ecccdef
	v_fmac_f32_e32 v7, v4, v6
	v_sub_f32_e32 v3, v4, v3
	v_sub_f32_e32 v12, v5, v3
	v_mul_f32_e32 v3, v4, v7
	v_fma_f32 v5, v4, v7, -v3
	v_fmac_f32_e32 v5, v12, v7
	v_add_f32_e32 v6, v3, v5
	v_add_f32_e32 v7, 0x3f2aaaaa, v6
	v_sub_f32_e32 v3, v6, v3
	v_sub_f32_e32 v3, v5, v3
	v_add_f32_e32 v5, 0xbf2aaaaa, v7
	v_add_f32_e32 v3, 0x31739010, v3
	v_sub_f32_e32 v5, v6, v5
	v_pk_mul_f32 v[8:9], v[2:3], v[4:5]
	v_fma_f32 v6, v4, v2, -v8
	v_pk_add_f32 v[10:11], v[2:3], v[4:5]
	v_fmac_f32_e32 v6, v4, v1
	v_mov_b32_e32 v9, v11
	v_fmac_f32_e32 v6, v12, v2
	v_pk_add_f32 v[4:5], v[8:9], v[6:7]
	v_sub_f32_e32 v3, v4, v8
	v_sub_f32_e32 v3, v6, v3
	;; [unrolled: 1-line block ×3, first 2 shown]
	v_add_f32_e32 v9, v11, v6
	v_mov_b32_e32 v6, v5
	v_pk_mul_f32 v[6:7], v[4:5], v[6:7]
	v_cvt_f64_f32_e32 v[10:11], v20
	v_frexp_exp_i32_f64_e32 v7, v[10:11]
	v_subbrev_co_u32_e64 v7, s[6:7], 0, v7, s[6:7]
	v_cvt_f32_i32_e32 v7, v7
	v_fma_f32 v8, v4, v5, -v6
	v_fmac_f32_e32 v8, v4, v9
	s_mov_b32 s6, 0x3f317218
	v_mul_f32_e32 v4, 0x3f317218, v7
	v_fmac_f32_e32 v8, v3, v5
	v_fma_f32 v10, v7, s6, -v4
	v_fmac_f32_e32 v10, 0xb102e308, v7
	v_ldexp_f32 v11, v2, 1
	v_add_f32_e32 v5, v6, v8
	v_pk_add_f32 v[2:3], v[4:5], v[10:11]
	v_mov_b32_e32 v12, v5
	v_mov_b32_e32 v13, v3
	;; [unrolled: 1-line block ×3, first 2 shown]
	v_pk_add_f32 v[6:7], v[12:13], v[6:7] neg_lo:[0,1] neg_hi:[0,1]
	v_mov_b32_e32 v9, v5
	v_ldexp_f32 v1, v1, 1
	v_pk_add_f32 v[6:7], v[8:9], v[6:7] neg_lo:[0,1] neg_hi:[0,1]
	v_add_f32_e32 v1, v1, v6
	v_add_f32_e32 v5, v1, v7
	v_pk_add_f32 v[6:7], v[2:3], v[4:5] neg_lo:[0,1] neg_hi:[0,1]
	v_pk_add_f32 v[8:9], v[2:3], v[4:5]
	v_mov_b32_e32 v12, v6
	v_mov_b32_e32 v13, v9
	;; [unrolled: 1-line block ×3, first 2 shown]
	v_pk_add_f32 v[12:13], v[10:11], v[12:13]
	v_mov_b32_e32 v4, v13
	v_pk_add_f32 v[14:15], v[4:5], v[2:3] neg_lo:[0,1] neg_hi:[0,1]
	v_mov_b32_e32 v1, v14
	v_mov_b32_e32 v12, v9
	;; [unrolled: 1-line block ×4, first 2 shown]
	v_pk_add_f32 v[6:7], v[10:11], v[6:7] neg_lo:[0,1] neg_hi:[0,1]
	v_pk_add_f32 v[16:17], v[8:9], v[0:1] neg_lo:[0,1] neg_hi:[0,1]
	;; [unrolled: 1-line block ×3, first 2 shown]
	v_mov_b32_e32 v10, v5
	v_pk_add_f32 v[2:3], v[10:11], v[2:3] neg_lo:[0,1] neg_hi:[0,1]
	v_mov_b32_e32 v16, v6
	v_pk_add_f32 v[8:9], v[16:17], v[2:3]
	v_mov_b32_e32 v10, v9
	v_pk_add_f32 v[10:11], v[8:9], v[10:11]
	v_pk_add_f32 v[4:5], v[4:5], v[10:11]
	v_mov_b32_e32 v7, v13
	v_mov_b32_e32 v9, v4
	v_pk_add_f32 v[12:13], v[8:9], v[6:7] neg_lo:[0,1] neg_hi:[0,1]
	v_mov_b32_e32 v3, v10
	v_sub_f32_e32 v1, v8, v12
	v_pk_add_f32 v[2:3], v[2:3], v[12:13] neg_lo:[0,1] neg_hi:[0,1]
	v_sub_f32_e32 v1, v6, v1
	v_add_f32_e32 v1, v2, v1
	v_add_f32_e32 v1, v1, v3
	;; [unrolled: 1-line block ×3, first 2 shown]
	v_sub_f32_e32 v3, v2, v4
	v_sub_f32_e32 v1, v1, v3
	v_mul_f32_e32 v3, v19, v2
	v_fma_f32 v2, v19, v2, -v3
	v_fmac_f32_e32 v2, v19, v1
	v_add_f32_e32 v1, v3, v2
	v_cmp_class_f32_e64 s[6:7], v3, s10
	v_sub_f32_e32 v4, v1, v3
	v_cndmask_b32_e64 v1, v1, v3, s[6:7]
	s_mov_b32 s12, 0x42b17218
	v_mov_b32_e32 v3, 0x37000000
	v_cmp_eq_f32_e64 s[6:7], s12, v1
	v_cndmask_b32_e64 v3, 0, v3, s[6:7]
	v_sub_f32_e32 v2, v2, v4
	v_sub_f32_e32 v4, v1, v3
	s_mov_b32 s6, 0x3fb8aa3b
	v_mul_f32_e32 v5, 0x3fb8aa3b, v4
	v_fma_f32 v6, v4, s6, -v5
	v_rndne_f32_e32 v7, v5
	v_fmac_f32_e32 v6, 0x32a5705f, v4
	v_sub_f32_e32 v5, v5, v7
	v_add_f32_e32 v5, v5, v6
	v_exp_f32_e32 v5, v5
	v_cvt_i32_f32_e32 v6, v7
	s_mov_b32 s11, 0x7f800000
	v_cmp_neq_f32_e64 s[6:7], |v1|, s11
	v_cndmask_b32_e64 v1, 0, v2, s[6:7]
	s_mov_b32 s6, 0xc2ce8ed0
	v_ldexp_f32 v2, v5, v6
	v_cmp_ngt_f32_e64 s[6:7], s6, v4
	v_add_f32_e32 v1, v3, v1
	v_cndmask_b32_e64 v2, 0, v2, s[6:7]
	v_mov_b32_e32 v3, 0x7f800000
	v_cmp_nlt_f32_e64 s[6:7], s12, v4
	v_cndmask_b32_e64 v2, v3, v2, s[6:7]
	v_fma_f32 v1, v2, v1, v2
	v_cmp_class_f32_e64 s[6:7], v2, s10
	v_trunc_f32_e32 v4, v19
	v_cndmask_b32_e64 v1, v1, v2, s[6:7]
	v_cndmask_b32_e64 v2, v18, 1.0, vcc
	v_cmp_eq_f32_e32 vcc, v4, v19
	v_mul_f32_e32 v4, 0.5, v19
	v_trunc_f32_e32 v6, v4
	v_cmp_neq_f32_e64 s[6:7], v6, v4
	s_and_b64 s[6:7], vcc, s[6:7]
	v_cndmask_b32_e64 v4, 1.0, v2, s[6:7]
	s_brev_b32 s23, -2
	v_mov_b32_e32 v5, 0x7fc00000
	v_bfi_b32 v1, s23, v1, v4
	v_cndmask_b32_e32 v4, v5, v1, vcc
	v_cmp_gt_f32_e32 vcc, 0, v2
	v_cndmask_b32_e32 v1, v1, v4, vcc
	v_cmp_eq_f32_e32 vcc, s11, v20
	v_cmp_eq_f32_e64 s[10:11], 0, v2
	v_cmp_gt_f32_e64 s[12:13], 0, v19
	s_xor_b64 s[12:13], s[12:13], s[10:11]
	v_cndmask_b32_e64 v3, v3, 0, s[12:13]
	v_cndmask_b32_e64 v4, 0, v2, s[6:7]
	v_bfi_b32 v3, s23, v3, v4
	s_or_b64 vcc, vcc, s[10:11]
	v_cndmask_b32_e32 v1, v1, v3, vcc
	v_cmp_o_f32_e32 vcc, v2, v2
	v_cndmask_b32_e32 v34, v5, v1, vcc
.LBB62_4:
	s_load_dwordx4 s[52:55], s[4:5], 0x70
	v_bfe_u32 v32, v0, 10, 10
	v_lshl_add_u32 v5, s8, 3, v32
	s_ashr_i32 s35, s34, 31
	s_ashr_i32 s6, s15, 31
	s_waitcnt lgkmcnt(0)
	s_mul_i32 s7, s33, s54
	s_ashr_i32 s11, s7, 31
	v_mul_hi_u32 v1, s36, v5
	s_mul_i32 s10, s34, s53
	s_add_u32 s7, s16, s7
	v_add_u32_e32 v1, v5, v1
	s_addc_u32 s11, s17, s11
	s_ashr_i32 s12, s10, 31
	v_lshrrev_b32_e32 v1, s37, v1
	s_add_u32 s7, s7, s10
	v_mul_lo_u32 v1, v1, s38
	s_addc_u32 s12, s11, s12
	v_sub_u32_e32 v36, v5, v1
	s_ashr_i32 s13, s52, 31
	v_mov_b32_e32 v1, s52
	v_alignbit_b32 v1, s13, v1, 2
	v_mad_u64_u32 v[2:3], s[10:11], v1, v36, 0
	v_mov_b32_e32 v4, v3
	s_lshr_b32 s10, s13, 2
	v_mad_u64_u32 v[6:7], s[10:11], s10, v36, v[4:5]
	v_mov_b32_e32 v3, v6
	v_and_b32_e32 v4, 0x3ff, v0
	v_lshlrev_b64 v[0:1], 2, v[2:3]
	v_mov_b32_e32 v2, s12
	v_add_co_u32_e32 v0, vcc, s7, v0
	v_addc_co_u32_e32 v1, vcc, v2, v1, vcc
	v_lshlrev_b32_e32 v2, 4, v4
	v_add_co_u32_e32 v0, vcc, v0, v2
	v_addc_co_u32_e32 v1, vcc, 0, v1, vcc
	global_load_dwordx4 v[0:3], v[0:1], off
	v_lshlrev_b32_e32 v6, 6, v32
	v_lshlrev_b32_e32 v33, 1, v4
	v_mov_b32_e32 v7, 0
	s_cmp_eq_u64 s[26:27], 0
	s_waitcnt vmcnt(0)
	v_pk_mul_f32 v[0:1], v[0:1], s[40:41] op_sel_hi:[1,0]
	v_pk_mul_f32 v[2:3], v[2:3], s[40:41] op_sel_hi:[1,0]
	v_cvt_f16_f32_e32 v8, v1
	v_cvt_f16_f32_e32 v1, v3
	;; [unrolled: 1-line block ×4, first 2 shown]
	v_add_lshl_u32 v3, v6, v33, 2
	v_pack_b32_f16 v1, v2, v1
	v_pack_b32_f16 v0, v0, v8
	ds_write_b64 v3, v[0:1] offset:17408
	s_waitcnt lgkmcnt(0)
	s_barrier
	s_cbranch_scc1 .LBB62_6
; %bb.5:
	s_load_dword s7, s[4:5], 0xd0
	s_mov_b32 s11, 0
	s_waitcnt lgkmcnt(0)
	s_mul_i32 s7, s7, s33
	s_add_i32 s10, s7, s8
	s_lshl_b64 s[10:11], s[10:11], 2
	s_add_u32 s10, s26, s10
	s_addc_u32 s11, s27, s11
	s_load_dword s14, s[10:11], 0x0
.LBB62_6:
	s_nop 0
	s_load_dwordx2 s[10:11], s[4:5], 0x8c
	s_load_dwordx4 s[40:43], s[4:5], 0x98
	s_ashr_i32 s7, s33, 31
	s_ashr_i32 s15, s47, 1
	s_mul_i32 s16, s22, s48
	s_waitcnt lgkmcnt(0)
	s_ashr_i32 s12, s10, 2
	s_mul_i32 s10, s33, s41
	s_mul_hi_u32 s13, s33, s40
	s_add_i32 s10, s13, s10
	s_mul_i32 s13, s7, s40
	s_ashr_i32 s8, s42, 2
	s_add_i32 s10, s10, s13
	s_mul_i32 s13, s33, s40
	s_add_u32 s13, s18, s13
	s_addc_u32 s10, s19, s10
	s_sub_i32 s16, s49, s16
	s_xor_b32 s6, s35, s6
	s_add_i32 s17, s22, 1
	s_sub_i32 s18, s16, s48
	s_cmp_ge_u32 s16, s48
	s_cselect_b32 s17, s17, s22
	s_cselect_b32 s16, s18, s16
	s_add_i32 s18, s17, 1
	s_cmp_ge_u32 s16, s48
	s_cselect_b32 s16, s18, s17
	s_load_dwordx2 s[26:27], s[4:5], 0xa8
	s_xor_b32 s16, s16, s6
	s_sub_i32 s6, s16, s6
	s_mul_i32 s11, s6, s11
	s_ashr_i32 s16, s11, 31
	s_add_u32 s13, s13, s11
	s_addc_u32 s16, s10, s16
	s_waitcnt lgkmcnt(0)
	s_mul_i32 s10, s33, s27
	s_mul_hi_u32 s11, s33, s26
	s_add_i32 s10, s11, s10
	s_mul_i32 s7, s7, s26
	s_add_i32 s10, s10, s7
	s_mul_i32 s7, s33, s26
	s_add_u32 s7, s20, s7
	s_mul_i32 s6, s6, s43
	s_addc_u32 s10, s21, s10
	s_ashr_i32 s11, s6, 31
	s_add_u32 s20, s7, s6
	v_lshlrev_b32_e32 v28, 2, v4
	s_addc_u32 s21, s10, s11
	s_lshl_b32 s22, s9, 6
	s_sub_i32 s17, s14, 64
	s_cmp_ge_i32 s22, s17
	v_mov_b32_e32 v6, 0xfeffffff
	v_mov_b32_e32 v31, 0
	v_lshrrev_b32_e32 v1, 4, v4
	v_and_b32_e32 v0, 60, v28
	v_lshlrev_b32_e32 v29, 3, v4
	v_mbcnt_lo_u32_b32 v35, -1, 0
	s_cbranch_scc1 .LBB62_15
; %bb.7:
	v_lshl_add_u32 v8, v32, 1, v1
	v_lshlrev_b32_e32 v9, 2, v0
	s_movk_i32 s6, 0x110
	v_mad_u32_u24 v37, v8, s6, v9
	v_mul_lo_u32 v6, s12, v8
	s_lshl_b32 s6, s12, 4
	v_add_u32_e32 v10, s6, v6
	v_add_u32_e32 v12, s6, v10
	v_mov_b32_e32 v2, 0x4400
	v_add_u32_e32 v14, s6, v12
	v_lshl_add_u32 v41, v32, 8, v2
	s_cmp_lg_u64 s[44:45], 0
	v_mad_u64_u32 v[2:3], s[6:7], v36, s15, v[4:5]
	v_mul_lo_u32 v16, s8, v8
	s_cselect_b64 s[6:7], -1, 0
	s_lshl_b32 s10, s8, 4
	v_add_u32_e32 v18, s10, v16
	v_add_u32_e32 v20, s10, v18
	;; [unrolled: 1-line block ×3, first 2 shown]
	s_add_u32 s10, s4, 0xd0
	v_ashrrev_i32_e32 v7, 31, v6
	v_mov_b32_e32 v3, 0x4c00
	s_addc_u32 s11, s5, 0
	v_ashrrev_i32_e32 v11, 31, v10
	v_ashrrev_i32_e32 v13, 31, v12
	;; [unrolled: 1-line block ×3, first 2 shown]
	v_lshl_add_u32 v3, v32, 7, v3
	v_lshl_or_b32 v44, v8, 8, v9
	v_ashrrev_i32_e32 v17, 31, v16
	v_ashrrev_i32_e32 v19, 31, v18
	;; [unrolled: 1-line block ×4, first 2 shown]
	s_add_u32 s18, s44, 64
	v_lshlrev_b64 v[8:9], 2, v[6:7]
	v_cndmask_b32_e64 v6, 0, 1, s[6:7]
	v_mov_b32_e32 v30, 0
	v_add_u32_e32 v38, 0x1100, v37
	v_add_u32_e32 v39, 0x2200, v37
	;; [unrolled: 1-line block ×3, first 2 shown]
	v_mul_u32_u24_e32 v42, 0x110, v4
	v_lshl_add_u32 v43, v4, 1, v3
	v_add_u32_e32 v45, 0x1000, v44
	v_add_u32_e32 v46, 0x2000, v44
	;; [unrolled: 1-line block ×3, first 2 shown]
	s_addc_u32 s19, s45, 0
	v_mov_b32_e32 v52, 0xfeffffff
	v_lshlrev_b32_e32 v48, 2, v0
	v_lshlrev_b64 v[10:11], 2, v[10:11]
	v_lshlrev_b64 v[12:13], 2, v[12:13]
	;; [unrolled: 1-line block ×3, first 2 shown]
	v_mbcnt_hi_u32_b32 v49, -1, v35
	s_mov_b32 s23, 0x3fb8aa3b
	s_mov_b32 s26, 0xc2ce8ed0
	;; [unrolled: 1-line block ×3, first 2 shown]
	v_lshlrev_b64 v[16:17], 2, v[16:17]
	v_lshlrev_b64 v[18:19], 2, v[18:19]
	;; [unrolled: 1-line block ×4, first 2 shown]
	v_cmp_ne_u32_e64 s[6:7], 1, v6
	v_mov_b32_e32 v50, 0x7f800000
	v_mov_b32_e32 v31, 0
	;; [unrolled: 1-line block ×3, first 2 shown]
.LBB62_8:                               ; =>This Inner Loop Header: Depth=1
	s_mul_hi_i32 s37, s22, s12
	s_mul_i32 s36, s22, s12
	s_lshl_b64 s[36:37], s[36:37], 2
	s_add_u32 s36, s13, s36
	s_addc_u32 s37, s16, s37
	v_mov_b32_e32 v6, s37
	v_add_co_u32_e32 v7, vcc, s36, v8
	v_addc_co_u32_e32 v24, vcc, v6, v9, vcc
	v_add_co_u32_e32 v6, vcc, v7, v48
	v_addc_co_u32_e32 v7, vcc, 0, v24, vcc
	v_mov_b32_e32 v24, s37
	v_add_co_u32_e32 v25, vcc, s36, v10
	v_addc_co_u32_e32 v24, vcc, v24, v11, vcc
	v_add_co_u32_e32 v58, vcc, v25, v48
	v_addc_co_u32_e32 v59, vcc, 0, v24, vcc
	global_load_dwordx4 v[24:27], v[6:7], off
	global_load_dwordx4 v[54:57], v[58:59], off
	v_mov_b32_e32 v6, s37
	v_add_co_u32_e32 v7, vcc, s36, v12
	v_addc_co_u32_e32 v53, vcc, v6, v13, vcc
	v_add_co_u32_e32 v6, vcc, v7, v48
	v_addc_co_u32_e32 v7, vcc, 0, v53, vcc
	v_mov_b32_e32 v53, s37
	v_add_co_u32_e32 v58, vcc, s36, v14
	v_addc_co_u32_e32 v53, vcc, v53, v15, vcc
	v_add_co_u32_e32 v66, vcc, v58, v48
	v_addc_co_u32_e32 v67, vcc, 0, v53, vcc
	global_load_dwordx4 v[58:61], v[6:7], off
	global_load_dwordx4 v[62:65], v[66:67], off
	v_mov_b32_e32 v6, 0
	v_mov_b32_e32 v7, 0
	s_and_b64 vcc, exec, s[6:7]
	s_waitcnt vmcnt(3)
	ds_write_b128 v37, v[24:27]
	s_waitcnt vmcnt(2)
	ds_write_b128 v38, v[54:57]
	;; [unrolled: 2-line block ×4, first 2 shown]
	s_waitcnt lgkmcnt(0)
	s_barrier
	ds_read_b128 v[24:27], v42
	ds_read_b128 v[54:57], v41
	ds_read_b128 v[58:61], v42 offset:8704
	s_waitcnt lgkmcnt(1)
	;;#ASMSTART
	v_dot2_f32_f16 v6, v24, v54, v6
	;;#ASMEND
	;;#ASMSTART
	v_dot2_f32_f16 v6, v25, v55, v6
	;;#ASMEND
	;;#ASMSTART
	v_dot2_f32_f16 v6, v26, v56, v6
	;;#ASMEND
	;;#ASMSTART
	v_dot2_f32_f16 v6, v27, v57, v6
	;;#ASMEND
	s_waitcnt lgkmcnt(0)
	;;#ASMSTART
	v_dot2_f32_f16 v7, v58, v54, v7
	;;#ASMEND
	;;#ASMSTART
	v_dot2_f32_f16 v7, v59, v55, v7
	;;#ASMEND
	;;#ASMSTART
	v_dot2_f32_f16 v7, v60, v56, v7
	;;#ASMEND
	;;#ASMSTART
	v_dot2_f32_f16 v7, v61, v57, v7
	;;#ASMEND
	ds_read_b128 v[24:27], v42 offset:16
	ds_read_b128 v[54:57], v41 offset:16
	ds_read_b128 v[58:61], v42 offset:8720
	s_waitcnt lgkmcnt(1)
	;;#ASMSTART
	v_dot2_f32_f16 v6, v24, v54, v6
	;;#ASMEND
	;;#ASMSTART
	v_dot2_f32_f16 v6, v25, v55, v6
	;;#ASMEND
	;;#ASMSTART
	v_dot2_f32_f16 v6, v26, v56, v6
	;;#ASMEND
	;;#ASMSTART
	v_dot2_f32_f16 v6, v27, v57, v6
	;;#ASMEND
	s_waitcnt lgkmcnt(0)
	;;#ASMSTART
	v_dot2_f32_f16 v7, v58, v54, v7
	;;#ASMEND
	;;#ASMSTART
	v_dot2_f32_f16 v7, v59, v55, v7
	;;#ASMEND
	;;#ASMSTART
	v_dot2_f32_f16 v7, v60, v56, v7
	;;#ASMEND
	;;#ASMSTART
	v_dot2_f32_f16 v7, v61, v57, v7
	;;#ASMEND
	ds_read_b128 v[24:27], v42 offset:32
	ds_read_b128 v[54:57], v41 offset:32
	ds_read_b128 v[58:61], v42 offset:8736
	s_waitcnt lgkmcnt(1)
	;;#ASMSTART
	v_dot2_f32_f16 v6, v24, v54, v6
	;;#ASMEND
	;;#ASMSTART
	v_dot2_f32_f16 v6, v25, v55, v6
	;;#ASMEND
	;;#ASMSTART
	v_dot2_f32_f16 v6, v26, v56, v6
	;;#ASMEND
	;;#ASMSTART
	v_dot2_f32_f16 v6, v27, v57, v6
	;;#ASMEND
	s_waitcnt lgkmcnt(0)
	;;#ASMSTART
	v_dot2_f32_f16 v7, v58, v54, v7
	;;#ASMEND
	;;#ASMSTART
	v_dot2_f32_f16 v7, v59, v55, v7
	;;#ASMEND
	;;#ASMSTART
	v_dot2_f32_f16 v7, v60, v56, v7
	;;#ASMEND
	;;#ASMSTART
	v_dot2_f32_f16 v7, v61, v57, v7
	;;#ASMEND
	ds_read_b128 v[24:27], v42 offset:48
	ds_read_b128 v[54:57], v41 offset:48
	ds_read_b128 v[58:61], v42 offset:8752
	s_waitcnt lgkmcnt(1)
	;;#ASMSTART
	v_dot2_f32_f16 v6, v24, v54, v6
	;;#ASMEND
	;;#ASMSTART
	v_dot2_f32_f16 v6, v25, v55, v6
	;;#ASMEND
	;;#ASMSTART
	v_dot2_f32_f16 v6, v26, v56, v6
	;;#ASMEND
	;;#ASMSTART
	v_dot2_f32_f16 v6, v27, v57, v6
	;;#ASMEND
	s_waitcnt lgkmcnt(0)
	;;#ASMSTART
	v_dot2_f32_f16 v7, v58, v54, v7
	;;#ASMEND
	;;#ASMSTART
	v_dot2_f32_f16 v7, v59, v55, v7
	;;#ASMEND
	;;#ASMSTART
	v_dot2_f32_f16 v7, v60, v56, v7
	;;#ASMEND
	;;#ASMSTART
	v_dot2_f32_f16 v7, v61, v57, v7
	;;#ASMEND
	ds_read_b128 v[24:27], v42 offset:64
	ds_read_b128 v[54:57], v41 offset:64
	ds_read_b128 v[58:61], v42 offset:8768
	s_waitcnt lgkmcnt(1)
	;;#ASMSTART
	v_dot2_f32_f16 v6, v24, v54, v6
	;;#ASMEND
	;;#ASMSTART
	v_dot2_f32_f16 v6, v25, v55, v6
	;;#ASMEND
	;;#ASMSTART
	v_dot2_f32_f16 v6, v26, v56, v6
	;;#ASMEND
	;;#ASMSTART
	v_dot2_f32_f16 v6, v27, v57, v6
	;;#ASMEND
	s_waitcnt lgkmcnt(0)
	;;#ASMSTART
	v_dot2_f32_f16 v7, v58, v54, v7
	;;#ASMEND
	;;#ASMSTART
	v_dot2_f32_f16 v7, v59, v55, v7
	;;#ASMEND
	;;#ASMSTART
	v_dot2_f32_f16 v7, v60, v56, v7
	;;#ASMEND
	;;#ASMSTART
	v_dot2_f32_f16 v7, v61, v57, v7
	;;#ASMEND
	ds_read_b128 v[24:27], v42 offset:80
	ds_read_b128 v[54:57], v41 offset:80
	ds_read_b128 v[58:61], v42 offset:8784
	s_waitcnt lgkmcnt(1)
	;;#ASMSTART
	v_dot2_f32_f16 v6, v24, v54, v6
	;;#ASMEND
	;;#ASMSTART
	v_dot2_f32_f16 v6, v25, v55, v6
	;;#ASMEND
	;;#ASMSTART
	v_dot2_f32_f16 v6, v26, v56, v6
	;;#ASMEND
	;;#ASMSTART
	v_dot2_f32_f16 v6, v27, v57, v6
	;;#ASMEND
	s_waitcnt lgkmcnt(0)
	;;#ASMSTART
	v_dot2_f32_f16 v7, v58, v54, v7
	;;#ASMEND
	;;#ASMSTART
	v_dot2_f32_f16 v7, v59, v55, v7
	;;#ASMEND
	;;#ASMSTART
	v_dot2_f32_f16 v7, v60, v56, v7
	;;#ASMEND
	;;#ASMSTART
	v_dot2_f32_f16 v7, v61, v57, v7
	;;#ASMEND
	ds_read_b128 v[24:27], v42 offset:96
	ds_read_b128 v[54:57], v41 offset:96
	ds_read_b128 v[58:61], v42 offset:8800
	s_waitcnt lgkmcnt(1)
	;;#ASMSTART
	v_dot2_f32_f16 v6, v24, v54, v6
	;;#ASMEND
	;;#ASMSTART
	v_dot2_f32_f16 v6, v25, v55, v6
	;;#ASMEND
	;;#ASMSTART
	v_dot2_f32_f16 v6, v26, v56, v6
	;;#ASMEND
	;;#ASMSTART
	v_dot2_f32_f16 v6, v27, v57, v6
	;;#ASMEND
	s_waitcnt lgkmcnt(0)
	;;#ASMSTART
	v_dot2_f32_f16 v7, v58, v54, v7
	;;#ASMEND
	;;#ASMSTART
	v_dot2_f32_f16 v7, v59, v55, v7
	;;#ASMEND
	;;#ASMSTART
	v_dot2_f32_f16 v7, v60, v56, v7
	;;#ASMEND
	;;#ASMSTART
	v_dot2_f32_f16 v7, v61, v57, v7
	;;#ASMEND
	ds_read_b128 v[24:27], v42 offset:112
	ds_read_b128 v[54:57], v41 offset:112
	ds_read_b128 v[58:61], v42 offset:8816
	s_waitcnt lgkmcnt(1)
	;;#ASMSTART
	v_dot2_f32_f16 v6, v24, v54, v6
	;;#ASMEND
	;;#ASMSTART
	v_dot2_f32_f16 v6, v25, v55, v6
	;;#ASMEND
	;;#ASMSTART
	v_dot2_f32_f16 v6, v26, v56, v6
	;;#ASMEND
	;;#ASMSTART
	v_dot2_f32_f16 v6, v27, v57, v6
	;;#ASMEND
	s_waitcnt lgkmcnt(0)
	;;#ASMSTART
	v_dot2_f32_f16 v7, v58, v54, v7
	;;#ASMEND
	;;#ASMSTART
	v_dot2_f32_f16 v7, v59, v55, v7
	;;#ASMEND
	;;#ASMSTART
	v_dot2_f32_f16 v7, v60, v56, v7
	;;#ASMEND
	;;#ASMSTART
	v_dot2_f32_f16 v7, v61, v57, v7
	;;#ASMEND
	ds_read_b128 v[24:27], v42 offset:128
	ds_read_b128 v[54:57], v41 offset:128
	ds_read_b128 v[58:61], v42 offset:8832
	s_waitcnt lgkmcnt(1)
	;;#ASMSTART
	v_dot2_f32_f16 v6, v24, v54, v6
	;;#ASMEND
	;;#ASMSTART
	v_dot2_f32_f16 v6, v25, v55, v6
	;;#ASMEND
	;;#ASMSTART
	v_dot2_f32_f16 v6, v26, v56, v6
	;;#ASMEND
	;;#ASMSTART
	v_dot2_f32_f16 v6, v27, v57, v6
	;;#ASMEND
	s_waitcnt lgkmcnt(0)
	;;#ASMSTART
	v_dot2_f32_f16 v7, v58, v54, v7
	;;#ASMEND
	;;#ASMSTART
	v_dot2_f32_f16 v7, v59, v55, v7
	;;#ASMEND
	;;#ASMSTART
	v_dot2_f32_f16 v7, v60, v56, v7
	;;#ASMEND
	;;#ASMSTART
	v_dot2_f32_f16 v7, v61, v57, v7
	;;#ASMEND
	ds_read_b128 v[24:27], v42 offset:144
	ds_read_b128 v[54:57], v41 offset:144
	ds_read_b128 v[58:61], v42 offset:8848
	s_waitcnt lgkmcnt(1)
	;;#ASMSTART
	v_dot2_f32_f16 v6, v24, v54, v6
	;;#ASMEND
	;;#ASMSTART
	v_dot2_f32_f16 v6, v25, v55, v6
	;;#ASMEND
	;;#ASMSTART
	v_dot2_f32_f16 v6, v26, v56, v6
	;;#ASMEND
	;;#ASMSTART
	v_dot2_f32_f16 v6, v27, v57, v6
	;;#ASMEND
	s_waitcnt lgkmcnt(0)
	;;#ASMSTART
	v_dot2_f32_f16 v7, v58, v54, v7
	;;#ASMEND
	;;#ASMSTART
	v_dot2_f32_f16 v7, v59, v55, v7
	;;#ASMEND
	;;#ASMSTART
	v_dot2_f32_f16 v7, v60, v56, v7
	;;#ASMEND
	;;#ASMSTART
	v_dot2_f32_f16 v7, v61, v57, v7
	;;#ASMEND
	ds_read_b128 v[24:27], v42 offset:160
	ds_read_b128 v[54:57], v41 offset:160
	ds_read_b128 v[58:61], v42 offset:8864
	s_waitcnt lgkmcnt(1)
	;;#ASMSTART
	v_dot2_f32_f16 v6, v24, v54, v6
	;;#ASMEND
	;;#ASMSTART
	v_dot2_f32_f16 v6, v25, v55, v6
	;;#ASMEND
	;;#ASMSTART
	v_dot2_f32_f16 v6, v26, v56, v6
	;;#ASMEND
	;;#ASMSTART
	v_dot2_f32_f16 v6, v27, v57, v6
	;;#ASMEND
	s_waitcnt lgkmcnt(0)
	;;#ASMSTART
	v_dot2_f32_f16 v7, v58, v54, v7
	;;#ASMEND
	;;#ASMSTART
	v_dot2_f32_f16 v7, v59, v55, v7
	;;#ASMEND
	;;#ASMSTART
	v_dot2_f32_f16 v7, v60, v56, v7
	;;#ASMEND
	;;#ASMSTART
	v_dot2_f32_f16 v7, v61, v57, v7
	;;#ASMEND
	ds_read_b128 v[24:27], v42 offset:176
	ds_read_b128 v[54:57], v41 offset:176
	ds_read_b128 v[58:61], v42 offset:8880
	s_waitcnt lgkmcnt(1)
	;;#ASMSTART
	v_dot2_f32_f16 v6, v24, v54, v6
	;;#ASMEND
	;;#ASMSTART
	v_dot2_f32_f16 v6, v25, v55, v6
	;;#ASMEND
	;;#ASMSTART
	v_dot2_f32_f16 v6, v26, v56, v6
	;;#ASMEND
	;;#ASMSTART
	v_dot2_f32_f16 v6, v27, v57, v6
	;;#ASMEND
	s_waitcnt lgkmcnt(0)
	;;#ASMSTART
	v_dot2_f32_f16 v7, v58, v54, v7
	;;#ASMEND
	;;#ASMSTART
	v_dot2_f32_f16 v7, v59, v55, v7
	;;#ASMEND
	;;#ASMSTART
	v_dot2_f32_f16 v7, v60, v56, v7
	;;#ASMEND
	;;#ASMSTART
	v_dot2_f32_f16 v7, v61, v57, v7
	;;#ASMEND
	ds_read_b128 v[24:27], v42 offset:192
	ds_read_b128 v[54:57], v41 offset:192
	ds_read_b128 v[58:61], v42 offset:8896
	s_waitcnt lgkmcnt(1)
	;;#ASMSTART
	v_dot2_f32_f16 v6, v24, v54, v6
	;;#ASMEND
	;;#ASMSTART
	v_dot2_f32_f16 v6, v25, v55, v6
	;;#ASMEND
	;;#ASMSTART
	v_dot2_f32_f16 v6, v26, v56, v6
	;;#ASMEND
	;;#ASMSTART
	v_dot2_f32_f16 v6, v27, v57, v6
	;;#ASMEND
	s_waitcnt lgkmcnt(0)
	;;#ASMSTART
	v_dot2_f32_f16 v7, v58, v54, v7
	;;#ASMEND
	;;#ASMSTART
	v_dot2_f32_f16 v7, v59, v55, v7
	;;#ASMEND
	;;#ASMSTART
	v_dot2_f32_f16 v7, v60, v56, v7
	;;#ASMEND
	;;#ASMSTART
	v_dot2_f32_f16 v7, v61, v57, v7
	;;#ASMEND
	ds_read_b128 v[24:27], v42 offset:208
	ds_read_b128 v[54:57], v41 offset:208
	ds_read_b128 v[58:61], v42 offset:8912
	s_waitcnt lgkmcnt(1)
	;;#ASMSTART
	v_dot2_f32_f16 v6, v24, v54, v6
	;;#ASMEND
	;;#ASMSTART
	v_dot2_f32_f16 v6, v25, v55, v6
	;;#ASMEND
	;;#ASMSTART
	v_dot2_f32_f16 v6, v26, v56, v6
	;;#ASMEND
	;;#ASMSTART
	v_dot2_f32_f16 v6, v27, v57, v6
	;;#ASMEND
	s_waitcnt lgkmcnt(0)
	;;#ASMSTART
	v_dot2_f32_f16 v7, v58, v54, v7
	;;#ASMEND
	;;#ASMSTART
	v_dot2_f32_f16 v7, v59, v55, v7
	;;#ASMEND
	;;#ASMSTART
	v_dot2_f32_f16 v7, v60, v56, v7
	;;#ASMEND
	;;#ASMSTART
	v_dot2_f32_f16 v7, v61, v57, v7
	;;#ASMEND
	ds_read_b128 v[24:27], v42 offset:224
	ds_read_b128 v[54:57], v41 offset:224
	ds_read_b128 v[58:61], v42 offset:8928
	s_waitcnt lgkmcnt(1)
	;;#ASMSTART
	v_dot2_f32_f16 v6, v24, v54, v6
	;;#ASMEND
	;;#ASMSTART
	v_dot2_f32_f16 v6, v25, v55, v6
	;;#ASMEND
	;;#ASMSTART
	v_dot2_f32_f16 v6, v26, v56, v6
	;;#ASMEND
	;;#ASMSTART
	v_dot2_f32_f16 v6, v27, v57, v6
	;;#ASMEND
	s_waitcnt lgkmcnt(0)
	;;#ASMSTART
	v_dot2_f32_f16 v7, v58, v54, v7
	;;#ASMEND
	;;#ASMSTART
	v_dot2_f32_f16 v7, v59, v55, v7
	;;#ASMEND
	;;#ASMSTART
	v_dot2_f32_f16 v7, v60, v56, v7
	;;#ASMEND
	;;#ASMSTART
	v_dot2_f32_f16 v7, v61, v57, v7
	;;#ASMEND
	ds_read_b128 v[54:57], v42 offset:240
	ds_read_b128 v[58:61], v41 offset:240
	ds_read_b128 v[62:65], v42 offset:8944
	s_waitcnt lgkmcnt(1)
	;;#ASMSTART
	v_dot2_f32_f16 v6, v54, v58, v6
	;;#ASMEND
	;;#ASMSTART
	v_dot2_f32_f16 v6, v55, v59, v6
	;;#ASMEND
	;; [unrolled: 3-line block ×4, first 2 shown]
	s_waitcnt lgkmcnt(0)
	;;#ASMSTART
	v_dot2_f32_f16 v7, v62, v58, v7
	;;#ASMEND
	v_add_u32_e32 v24, s22, v2
	;;#ASMSTART
	v_dot2_f32_f16 v7, v63, v59, v7
	;;#ASMEND
	v_ashrrev_i32_e32 v25, 31, v24
	;;#ASMSTART
	v_dot2_f32_f16 v7, v64, v60, v7
	;;#ASMEND
	v_mov_b32_e32 v26, 0
	;;#ASMSTART
	v_dot2_f32_f16 v7, v65, v61, v7
	;;#ASMEND
	s_cbranch_vccnz .LBB62_10
; %bb.9:                                ;   in Loop: Header=BB62_8 Depth=1
	v_lshlrev_b64 v[26:27], 1, v[24:25]
	v_mov_b32_e32 v53, s45
	v_add_co_u32_e32 v26, vcc, s44, v26
	v_addc_co_u32_e32 v27, vcc, v53, v27, vcc
	flat_load_ushort v26, v[26:27]
	s_waitcnt vmcnt(0) lgkmcnt(0)
	v_cvt_f32_f16_e32 v26, v26
	v_mul_f32_e32 v26, v34, v26
.LBB62_10:                              ;   in Loop: Header=BB62_8 Depth=1
	s_and_b64 vcc, exec, s[6:7]
	s_cbranch_vccnz .LBB62_12
; %bb.11:                               ;   in Loop: Header=BB62_8 Depth=1
	v_lshlrev_b64 v[24:25], 1, v[24:25]
	v_mov_b32_e32 v27, s19
	v_add_co_u32_e32 v24, vcc, s18, v24
	v_addc_co_u32_e32 v25, vcc, v27, v25, vcc
	flat_load_ushort v24, v[24:25]
	s_waitcnt vmcnt(0) lgkmcnt(0)
	v_cvt_f32_f16_e32 v24, v24
	v_mul_f32_e32 v27, v34, v24
	s_branch .LBB62_13
.LBB62_12:                              ;   in Loop: Header=BB62_8 Depth=1
	v_mov_b32_e32 v27, 0
.LBB62_13:                              ;   in Loop: Header=BB62_8 Depth=1
	v_pk_add_f32 v[66:67], v[6:7], v[26:27]
	v_add_f32_e32 v6, 0x40051340, v66
	v_add_f32_e32 v7, 0x40051340, v67
	v_max3_f32 v6, v52, v6, v7
	v_and_b32_e32 v7, 0x60, v49
	v_add_u32_e32 v53, 32, v7
	v_xor_b32_e32 v7, 16, v49
	v_cmp_lt_i32_e32 vcc, v7, v53
	v_cndmask_b32_e32 v7, v49, v7, vcc
	v_lshlrev_b32_e32 v7, 2, v7
	ds_bpermute_b32 v7, v7, v6
	s_mul_hi_i32 s37, s22, s8
	s_mul_i32 s36, s22, s8
	s_lshl_b64 s[36:37], s[36:37], 2
	s_add_u32 s36, s20, s36
	s_waitcnt lgkmcnt(0)
	v_max_f32_e32 v7, v7, v7
	v_max_f32_e32 v6, v6, v7
	v_xor_b32_e32 v7, 8, v49
	v_cmp_lt_i32_e32 vcc, v7, v53
	v_cndmask_b32_e32 v7, v49, v7, vcc
	v_lshlrev_b32_e32 v7, 2, v7
	ds_bpermute_b32 v7, v7, v6
	s_addc_u32 s37, s21, s37
	s_waitcnt lgkmcnt(0)
	s_barrier
	v_max_f32_e32 v7, v7, v7
	v_max_f32_e32 v70, v6, v7
	v_xor_b32_e32 v6, 4, v49
	v_cmp_lt_i32_e32 vcc, v6, v53
	v_cndmask_b32_e32 v6, v49, v6, vcc
	v_lshlrev_b32_e32 v6, 2, v6
	ds_bpermute_b32 v71, v6, v70
	v_mov_b32_e32 v6, s37
	v_add_co_u32_e32 v7, vcc, s36, v16
	v_addc_co_u32_e32 v24, vcc, v6, v17, vcc
	v_add_co_u32_e32 v6, vcc, v7, v48
	v_addc_co_u32_e32 v7, vcc, 0, v24, vcc
	v_mov_b32_e32 v24, s37
	v_add_co_u32_e32 v25, vcc, s36, v18
	v_addc_co_u32_e32 v24, vcc, v24, v19, vcc
	v_add_co_u32_e32 v58, vcc, v25, v48
	v_addc_co_u32_e32 v59, vcc, 0, v24, vcc
	global_load_dwordx4 v[24:27], v[6:7], off
	global_load_dwordx4 v[54:57], v[58:59], off
	v_mov_b32_e32 v6, s37
	v_add_co_u32_e32 v7, vcc, s36, v20
	v_addc_co_u32_e32 v58, vcc, v6, v21, vcc
	v_add_co_u32_e32 v6, vcc, v7, v48
	v_addc_co_u32_e32 v7, vcc, 0, v58, vcc
	v_mov_b32_e32 v58, s37
	v_add_co_u32_e32 v59, vcc, s36, v22
	v_addc_co_u32_e32 v58, vcc, v58, v23, vcc
	v_add_co_u32_e32 v68, vcc, v59, v48
	v_addc_co_u32_e32 v69, vcc, 0, v58, vcc
	global_load_dwordx4 v[58:61], v[6:7], off
	global_load_dwordx4 v[62:65], v[68:69], off
	v_xor_b32_e32 v7, 2, v49
	v_cmp_lt_i32_e32 vcc, v7, v53
	s_waitcnt lgkmcnt(0)
	v_max_f32_e32 v6, v71, v71
	v_cndmask_b32_e32 v7, v49, v7, vcc
	v_max_f32_e32 v6, v70, v6
	v_lshlrev_b32_e32 v7, 2, v7
	ds_bpermute_b32 v7, v7, v6
	s_waitcnt lgkmcnt(0)
	v_max_f32_e32 v7, v7, v7
	v_max_f32_e32 v6, v6, v7
	v_xor_b32_e32 v7, 1, v49
	v_cmp_lt_i32_e32 vcc, v7, v53
	v_cndmask_b32_e32 v7, v49, v7, vcc
	v_lshlrev_b32_e32 v7, 2, v7
	ds_bpermute_b32 v7, v7, v6
	s_waitcnt lgkmcnt(0)
	v_max_f32_e32 v7, v7, v7
	v_max_f32_e32 v6, v6, v7
	v_pk_add_f32 v[66:67], v[66:67], v[6:7] op_sel_hi:[1,0] neg_lo:[0,1] neg_hi:[0,1]
	v_mul_f32_e32 v7, 0x3fb8aa3b, v67
	v_fma_f32 v53, v67, s23, -v7
	v_rndne_f32_e32 v68, v7
	v_fmac_f32_e32 v53, 0x32a5705f, v67
	v_sub_f32_e32 v7, v7, v68
	v_add_f32_e32 v7, v7, v53
	v_exp_f32_e32 v7, v7
	v_cvt_i32_f32_e32 v53, v68
	v_cmp_ngt_f32_e32 vcc, s26, v67
	v_sub_f32_e32 v52, v52, v6
	v_ldexp_f32 v7, v7, v53
	v_mul_f32_e32 v53, 0x3fb8aa3b, v66
	v_fma_f32 v68, v66, s23, -v53
	v_rndne_f32_e32 v69, v53
	v_fmac_f32_e32 v68, 0x32a5705f, v66
	v_sub_f32_e32 v53, v53, v69
	v_add_f32_e32 v53, v53, v68
	v_exp_f32_e32 v53, v53
	v_cvt_i32_f32_e32 v68, v69
	v_cndmask_b32_e32 v7, 0, v7, vcc
	v_cmp_nlt_f32_e32 vcc, s27, v67
	v_cndmask_b32_e32 v67, v50, v7, vcc
	v_ldexp_f32 v7, v53, v68
	v_cmp_ngt_f32_e32 vcc, s26, v66
	v_mul_f32_e32 v53, 0x3fb8aa3b, v52
	v_cndmask_b32_e32 v7, 0, v7, vcc
	v_cmp_nlt_f32_e32 vcc, s27, v66
	v_fma_f32 v66, v52, s23, -v53
	v_rndne_f32_e32 v68, v53
	v_fmac_f32_e32 v66, 0x32a5705f, v52
	v_sub_f32_e32 v53, v53, v68
	v_add_f32_e32 v53, v53, v66
	v_exp_f32_e32 v53, v53
	v_cvt_i32_f32_e32 v66, v68
	v_cndmask_b32_e32 v7, v50, v7, vcc
	v_cvt_f16_f32_e32 v68, v7
	v_add_f32_e32 v7, v7, v67
	v_cvt_f16_f32_e32 v67, v67
	v_ldexp_f32 v53, v53, v66
	v_cmp_ngt_f32_e32 vcc, s26, v52
	v_cndmask_b32_e32 v53, 0, v53, vcc
	v_cmp_nlt_f32_e32 vcc, s27, v52
	v_cndmask_b32_e32 v66, v50, v53, vcc
	ds_write_b16 v43, v68
	ds_write_b16 v43, v67 offset:64
	s_waitcnt vmcnt(3)
	ds_write_b128 v44, v[24:27]
	s_waitcnt vmcnt(2)
	ds_write_b128 v45, v[54:57]
	;; [unrolled: 2-line block ×4, first 2 shown]
	s_waitcnt lgkmcnt(0)
	s_barrier
	ds_read2_b64 v[24:27], v29 offset1:32
	ds_read_b128 v[52:55], v3
	v_fmac_f32_e32 v7, v51, v66
	v_cvt_f16_f32_e32 v51, v66
	ds_read_b128 v[56:59], v3 offset:16
	ds_read_b128 v[60:63], v3 offset:32
	;; [unrolled: 1-line block ×3, first 2 shown]
	ds_read2_b64 v[68:71], v29 offset0:64 offset1:96
	s_waitcnt lgkmcnt(4)
	v_pk_mul_f16 v24, v24, v52 op_sel_hi:[1,0]
	v_pk_fma_f16 v24, v30, v51, v24 op_sel_hi:[1,0,1]
	v_pk_mul_f16 v25, v25, v52 op_sel_hi:[1,0]
	v_pk_fma_f16 v25, v31, v51, v25 op_sel_hi:[1,0,1]
	v_pk_fma_f16 v24, v26, v52, v24 op_sel:[0,1,0]
	v_pk_fma_f16 v30, v27, v52, v25 op_sel:[0,1,0]
	s_waitcnt lgkmcnt(0)
	v_pk_fma_f16 v31, v68, v53, v24 op_sel_hi:[1,0,1]
	ds_read2_b64 v[24:27], v29 offset0:128 offset1:160
	v_pk_fma_f16 v30, v69, v53, v30 op_sel_hi:[1,0,1]
	v_pk_fma_f16 v31, v70, v53, v31 op_sel:[0,1,0]
	v_pk_fma_f16 v30, v71, v53, v30 op_sel:[0,1,0]
	ds_read2_b64 v[68:71], v29 offset0:192 offset1:224
	s_waitcnt lgkmcnt(1)
	v_pk_fma_f16 v24, v24, v54, v31 op_sel_hi:[1,0,1]
	v_pk_fma_f16 v25, v25, v54, v30 op_sel_hi:[1,0,1]
	v_pk_fma_f16 v24, v26, v54, v24 op_sel:[0,1,0]
	v_add_u32_e32 v51, 0x800, v29
	v_pk_fma_f16 v30, v27, v54, v25 op_sel:[0,1,0]
	s_waitcnt lgkmcnt(0)
	v_pk_fma_f16 v31, v68, v55, v24 op_sel_hi:[1,0,1]
	ds_read2_b64 v[24:27], v51 offset1:32
	v_pk_fma_f16 v30, v69, v55, v30 op_sel_hi:[1,0,1]
	v_pk_fma_f16 v31, v70, v55, v31 op_sel:[0,1,0]
	v_pk_fma_f16 v30, v71, v55, v30 op_sel:[0,1,0]
	ds_read2_b64 v[52:55], v51 offset0:64 offset1:96
	s_waitcnt lgkmcnt(1)
	v_pk_fma_f16 v24, v24, v56, v31 op_sel_hi:[1,0,1]
	v_pk_fma_f16 v25, v25, v56, v30 op_sel_hi:[1,0,1]
	v_pk_fma_f16 v24, v26, v56, v24 op_sel:[0,1,0]
	v_pk_fma_f16 v30, v27, v56, v25 op_sel:[0,1,0]
	s_waitcnt lgkmcnt(0)
	v_pk_fma_f16 v31, v52, v57, v24 op_sel_hi:[1,0,1]
	ds_read2_b64 v[24:27], v51 offset0:128 offset1:160
	v_pk_fma_f16 v30, v53, v57, v30 op_sel_hi:[1,0,1]
	v_pk_fma_f16 v31, v54, v57, v31 op_sel:[0,1,0]
	v_pk_fma_f16 v30, v55, v57, v30 op_sel:[0,1,0]
	ds_read2_b64 v[52:55], v51 offset0:192 offset1:224
	s_waitcnt lgkmcnt(1)
	v_pk_fma_f16 v24, v24, v58, v31 op_sel_hi:[1,0,1]
	v_pk_fma_f16 v25, v25, v58, v30 op_sel_hi:[1,0,1]
	v_pk_fma_f16 v24, v26, v58, v24 op_sel:[0,1,0]
	v_add_u32_e32 v51, 0x1000, v29
	v_pk_fma_f16 v30, v27, v58, v25 op_sel:[0,1,0]
	s_waitcnt lgkmcnt(0)
	v_pk_fma_f16 v31, v52, v59, v24 op_sel_hi:[1,0,1]
	ds_read2_b64 v[24:27], v51 offset1:32
	v_pk_fma_f16 v30, v53, v59, v30 op_sel_hi:[1,0,1]
	v_pk_fma_f16 v31, v54, v59, v31 op_sel:[0,1,0]
	v_pk_fma_f16 v30, v55, v59, v30 op_sel:[0,1,0]
	ds_read2_b64 v[52:55], v51 offset0:64 offset1:96
	s_waitcnt lgkmcnt(1)
	v_pk_fma_f16 v24, v24, v60, v31 op_sel_hi:[1,0,1]
	;; [unrolled: 25-line block ×3, first 2 shown]
	v_pk_fma_f16 v25, v25, v64, v30 op_sel_hi:[1,0,1]
	v_pk_fma_f16 v24, v26, v64, v24 op_sel:[0,1,0]
	v_pk_fma_f16 v30, v27, v64, v25 op_sel:[0,1,0]
	s_waitcnt lgkmcnt(0)
	v_pk_fma_f16 v31, v52, v65, v24 op_sel_hi:[1,0,1]
	ds_read2_b64 v[24:27], v51 offset0:128 offset1:160
	v_pk_fma_f16 v30, v53, v65, v30 op_sel_hi:[1,0,1]
	v_pk_fma_f16 v31, v54, v65, v31 op_sel:[0,1,0]
	v_pk_fma_f16 v30, v55, v65, v30 op_sel:[0,1,0]
	ds_read2_b64 v[52:55], v51 offset0:192 offset1:224
	s_waitcnt lgkmcnt(1)
	v_pk_fma_f16 v24, v24, v66, v31 op_sel_hi:[1,0,1]
	v_pk_fma_f16 v25, v25, v66, v30 op_sel_hi:[1,0,1]
	v_pk_fma_f16 v24, v26, v66, v24 op_sel:[0,1,0]
	v_pk_fma_f16 v25, v27, v66, v25 op_sel:[0,1,0]
	v_add_u32_e32 v51, 0x2000, v29
	s_waitcnt lgkmcnt(0)
	v_pk_fma_f16 v30, v52, v67, v24 op_sel_hi:[1,0,1]
	v_pk_fma_f16 v31, v53, v67, v25 op_sel_hi:[1,0,1]
	ds_read2_b64 v[24:27], v51 offset1:32
	ds_read_b128 v[56:59], v3 offset:64
	v_pk_fma_f16 v30, v54, v67, v30 op_sel:[0,1,0]
	v_pk_fma_f16 v31, v55, v67, v31 op_sel:[0,1,0]
	ds_read2_b64 v[52:55], v51 offset0:64 offset1:96
	ds_read_b128 v[60:63], v3 offset:80
	s_waitcnt lgkmcnt(2)
	v_pk_fma_f16 v24, v24, v56, v30 op_sel_hi:[1,0,1]
	v_pk_fma_f16 v25, v25, v56, v31 op_sel_hi:[1,0,1]
	v_pk_fma_f16 v24, v26, v56, v24 op_sel:[0,1,0]
	v_pk_fma_f16 v30, v27, v56, v25 op_sel:[0,1,0]
	s_waitcnt lgkmcnt(1)
	v_pk_fma_f16 v31, v52, v57, v24 op_sel_hi:[1,0,1]
	ds_read2_b64 v[24:27], v51 offset0:128 offset1:160
	v_pk_fma_f16 v30, v53, v57, v30 op_sel_hi:[1,0,1]
	v_pk_fma_f16 v31, v54, v57, v31 op_sel:[0,1,0]
	v_pk_fma_f16 v30, v55, v57, v30 op_sel:[0,1,0]
	ds_read2_b64 v[52:55], v51 offset0:192 offset1:224
	s_waitcnt lgkmcnt(1)
	v_pk_fma_f16 v24, v24, v58, v31 op_sel_hi:[1,0,1]
	v_pk_fma_f16 v25, v25, v58, v30 op_sel_hi:[1,0,1]
	v_pk_fma_f16 v24, v26, v58, v24 op_sel:[0,1,0]
	v_add_u32_e32 v51, 0x2800, v29
	v_pk_fma_f16 v30, v27, v58, v25 op_sel:[0,1,0]
	s_waitcnt lgkmcnt(0)
	v_pk_fma_f16 v31, v52, v59, v24 op_sel_hi:[1,0,1]
	ds_read2_b64 v[24:27], v51 offset1:32
	v_pk_fma_f16 v30, v53, v59, v30 op_sel_hi:[1,0,1]
	v_pk_fma_f16 v31, v54, v59, v31 op_sel:[0,1,0]
	v_pk_fma_f16 v30, v55, v59, v30 op_sel:[0,1,0]
	ds_read2_b64 v[52:55], v51 offset0:64 offset1:96
	s_waitcnt lgkmcnt(1)
	v_pk_fma_f16 v24, v24, v60, v31 op_sel_hi:[1,0,1]
	v_pk_fma_f16 v25, v25, v60, v30 op_sel_hi:[1,0,1]
	v_pk_fma_f16 v24, v26, v60, v24 op_sel:[0,1,0]
	v_pk_fma_f16 v30, v27, v60, v25 op_sel:[0,1,0]
	s_waitcnt lgkmcnt(0)
	v_pk_fma_f16 v31, v52, v61, v24 op_sel_hi:[1,0,1]
	ds_read2_b64 v[24:27], v51 offset0:128 offset1:160
	v_pk_fma_f16 v30, v53, v61, v30 op_sel_hi:[1,0,1]
	v_pk_fma_f16 v31, v54, v61, v31 op_sel:[0,1,0]
	v_pk_fma_f16 v30, v55, v61, v30 op_sel:[0,1,0]
	ds_read2_b64 v[52:55], v51 offset0:192 offset1:224
	s_waitcnt lgkmcnt(1)
	v_pk_fma_f16 v24, v24, v62, v31 op_sel_hi:[1,0,1]
	v_pk_fma_f16 v25, v25, v62, v30 op_sel_hi:[1,0,1]
	v_pk_fma_f16 v24, v26, v62, v24 op_sel:[0,1,0]
	v_add_u32_e32 v51, 0x3000, v29
	v_pk_fma_f16 v30, v27, v62, v25 op_sel:[0,1,0]
	s_waitcnt lgkmcnt(0)
	v_pk_fma_f16 v31, v52, v63, v24 op_sel_hi:[1,0,1]
	ds_read2_b64 v[24:27], v51 offset1:32
	ds_read_b128 v[56:59], v3 offset:96
	v_pk_fma_f16 v30, v53, v63, v30 op_sel_hi:[1,0,1]
	v_pk_fma_f16 v31, v54, v63, v31 op_sel:[0,1,0]
	v_pk_fma_f16 v30, v55, v63, v30 op_sel:[0,1,0]
	ds_read2_b64 v[60:63], v51 offset0:64 offset1:96
	s_waitcnt lgkmcnt(1)
	v_pk_fma_f16 v24, v24, v56, v31 op_sel_hi:[1,0,1]
	v_pk_fma_f16 v25, v25, v56, v30 op_sel_hi:[1,0,1]
	v_pk_fma_f16 v30, v26, v56, v24 op_sel:[0,1,0]
	v_pk_fma_f16 v31, v27, v56, v25 op_sel:[0,1,0]
	ds_read2_b64 v[24:27], v51 offset0:128 offset1:160
	s_waitcnt lgkmcnt(1)
	v_pk_fma_f16 v30, v60, v57, v30 op_sel_hi:[1,0,1]
	;; [unrolled: 6-line block ×3, first 2 shown]
	v_pk_fma_f16 v25, v25, v58, v31 op_sel_hi:[1,0,1]
	v_add_u32_e32 v51, 0x3800, v29
	ds_read_b128 v[52:55], v3 offset:112
	v_pk_fma_f16 v30, v26, v58, v24 op_sel:[0,1,0]
	v_pk_fma_f16 v31, v27, v58, v25 op_sel:[0,1,0]
	ds_read2_b64 v[24:27], v51 offset1:32
	s_waitcnt lgkmcnt(2)
	v_pk_fma_f16 v30, v60, v59, v30 op_sel_hi:[1,0,1]
	v_pk_fma_f16 v31, v61, v59, v31 op_sel_hi:[1,0,1]
	v_pk_fma_f16 v30, v62, v59, v30 op_sel:[0,1,0]
	v_pk_fma_f16 v31, v63, v59, v31 op_sel:[0,1,0]
	ds_read2_b64 v[56:59], v51 offset0:64 offset1:96
	s_waitcnt lgkmcnt(1)
	v_pk_fma_f16 v24, v24, v52, v30 op_sel_hi:[1,0,1]
	v_pk_fma_f16 v25, v25, v52, v31 op_sel_hi:[1,0,1]
	v_pk_fma_f16 v30, v26, v52, v24 op_sel:[0,1,0]
	v_pk_fma_f16 v31, v27, v52, v25 op_sel:[0,1,0]
	ds_read2_b64 v[24:27], v51 offset0:128 offset1:160
	;; [unrolled: 6-line block ×3, first 2 shown]
	s_waitcnt lgkmcnt(0)
	s_barrier
	s_load_dword s36, s[10:11], 0x4
	v_pk_fma_f16 v24, v24, v54, v30 op_sel_hi:[1,0,1]
	v_pk_fma_f16 v25, v25, v54, v31 op_sel_hi:[1,0,1]
	v_pk_fma_f16 v24, v26, v54, v24 op_sel:[0,1,0]
	v_pk_fma_f16 v25, v27, v54, v25 op_sel:[0,1,0]
	s_waitcnt lgkmcnt(0)
	s_lshl_b32 s36, s36, 6
	v_pk_fma_f16 v24, v56, v55, v24 op_sel_hi:[1,0,1]
	v_pk_fma_f16 v25, v57, v55, v25 op_sel_hi:[1,0,1]
	s_add_i32 s22, s36, s22
	v_pk_fma_f16 v30, v58, v55, v24 op_sel:[0,1,0]
	s_cmp_lt_i32 s22, s17
	v_pk_fma_f16 v31, v59, v55, v25 op_sel:[0,1,0]
	s_cbranch_scc0 .LBB62_16
; %bb.14:                               ;   in Loop: Header=BB62_8 Depth=1
	v_mov_b32_e32 v52, v6
	v_mov_b32_e32 v51, v7
	s_branch .LBB62_8
.LBB62_15:
	v_mov_b32_e32 v30, 0
.LBB62_16:
	s_cmp_gt_i32 s14, s22
	s_cbranch_scc1 .LBB62_18
; %bb.17:
	v_mbcnt_hi_u32_b32 v12, -1, v35
	v_and_b32_e32 v2, 0x60, v12
	v_add_u32_e32 v13, 32, v2
	v_xor_b32_e32 v14, 16, v12
	v_xor_b32_e32 v15, 8, v12
	;; [unrolled: 1-line block ×5, first 2 shown]
	v_pk_mov_b32 v[8:9], v[6:7], v[6:7] op_sel:[0,1]
	s_cbranch_execz .LBB62_19
	s_branch .LBB62_29
.LBB62_18:
                                        ; implicit-def: $vgpr12
                                        ; implicit-def: $vgpr13
                                        ; implicit-def: $vgpr14
                                        ; implicit-def: $vgpr15
                                        ; implicit-def: $vgpr16
                                        ; implicit-def: $vgpr17
                                        ; implicit-def: $vgpr18
                                        ; implicit-def: $vgpr8_vgpr9
.LBB62_19:
	s_mul_hi_i32 s7, s22, s12
	s_mul_i32 s6, s22, s12
	v_lshl_add_u32 v2, v32, 1, v1
	s_sub_i32 s23, s14, s22
	s_lshl_b64 s[6:7], s[6:7], 2
	v_lshlrev_b32_e32 v9, 2, v0
	v_mul_lo_u32 v0, s12, v2
	s_add_u32 s13, s13, s6
	v_ashrrev_i32_e32 v1, 31, v0
	s_addc_u32 s14, s16, s7
	v_lshlrev_b64 v[10:11], 2, v[0:1]
	v_mov_b32_e32 v1, s14
	v_add_co_u32_e32 v3, vcc, s13, v10
	v_addc_co_u32_e32 v1, vcc, v1, v11, vcc
	s_mov_b64 s[6:7], src_private_base
	v_add_co_u32_e32 v3, vcc, v3, v9
	v_mov_b32_e32 v8, 0
	v_addc_co_u32_e32 v1, vcc, 0, v1, vcc
	v_mov_b32_e32 v18, s7
	v_cmp_gt_i32_e64 s[6:7], s23, v2
	v_mov_b32_e32 v19, 0
	buffer_store_dword v8, off, s[0:3], 0
	buffer_store_dword v8, off, s[0:3], 0 offset:8
	buffer_store_dword v8, off, s[0:3], 0 offset:4
	;; [unrolled: 1-line block ×3, first 2 shown]
	v_cndmask_b32_e64 v11, v18, v1, s[6:7]
	v_cndmask_b32_e64 v10, v19, v3, s[6:7]
	flat_load_dwordx4 v[10:13], v[10:11]
	s_lshl_b32 s12, s12, 4
	v_add_u32_e32 v0, s12, v0
	v_ashrrev_i32_e32 v1, 31, v0
	v_lshlrev_b64 v[14:15], 2, v[0:1]
	v_mov_b32_e32 v16, s14
	v_add_co_u32_e32 v1, vcc, s13, v14
	v_addc_co_u32_e32 v14, vcc, v16, v15, vcc
	s_movk_i32 s10, 0x110
	v_add_u32_e32 v3, 16, v2
	v_add_co_u32_e32 v1, vcc, v1, v9
	v_mad_u32_u24 v20, v2, s10, v9
	v_addc_co_u32_e32 v14, vcc, 0, v14, vcc
	v_cmp_gt_i32_e64 s[10:11], s23, v3
	buffer_store_dword v8, off, s[0:3], 0
	buffer_store_dword v8, off, s[0:3], 0 offset:8
	buffer_store_dword v8, off, s[0:3], 0 offset:4
	buffer_store_dword v8, off, s[0:3], 0 offset:12
	v_cndmask_b32_e64 v15, v18, v14, s[10:11]
	v_cndmask_b32_e64 v14, v19, v1, s[10:11]
	v_add_u32_e32 v0, s12, v0
	v_ashrrev_i32_e32 v1, 31, v0
	v_lshlrev_b64 v[16:17], 2, v[0:1]
	v_add_co_u32_e32 v1, vcc, s13, v16
	v_add_u32_e32 v0, s12, v0
	v_mul_lo_u32 v26, v36, s15
	s_cmp_lg_u64 s[44:45], 0
	s_waitcnt vmcnt(0) lgkmcnt(0)
	ds_write_b128 v20, v[10:13]
	flat_load_dwordx4 v[12:15], v[14:15]
	v_mov_b32_e32 v11, s14
	v_addc_co_u32_e32 v11, vcc, v11, v17, vcc
	v_add_u32_e32 v10, 32, v2
	v_add_co_u32_e32 v1, vcc, v1, v9
	v_addc_co_u32_e32 v11, vcc, 0, v11, vcc
	v_cmp_gt_i32_e64 s[16:17], s23, v10
	v_cndmask_b32_e64 v17, v18, v11, s[16:17]
	v_cndmask_b32_e64 v16, v19, v1, s[16:17]
	buffer_store_dword v8, off, s[0:3], 0
	buffer_store_dword v8, off, s[0:3], 0 offset:8
	buffer_store_dword v8, off, s[0:3], 0 offset:4
	;; [unrolled: 1-line block ×3, first 2 shown]
	v_ashrrev_i32_e32 v1, 31, v0
	v_lshlrev_b64 v[0:1], 2, v[0:1]
	v_add_co_u32_e32 v0, vcc, s13, v0
	v_add_u32_e32 v11, 48, v2
	v_cmp_gt_i32_e64 s[12:13], s23, v11
	s_waitcnt vmcnt(0) lgkmcnt(0)
	ds_write_b128 v20, v[12:15] offset:4352
	flat_load_dwordx4 v[12:15], v[16:17]
	v_mov_b32_e32 v16, s14
	v_addc_co_u32_e32 v1, vcc, v16, v1, vcc
	v_add_co_u32_e32 v0, vcc, v0, v9
	v_addc_co_u32_e32 v1, vcc, 0, v1, vcc
	v_cndmask_b32_e64 v1, v18, v1, s[12:13]
	v_cndmask_b32_e64 v0, v19, v0, s[12:13]
	buffer_store_dword v8, off, s[0:3], 0
	buffer_store_dword v8, off, s[0:3], 0 offset:8
	buffer_store_dword v8, off, s[0:3], 0 offset:4
	;; [unrolled: 1-line block ×3, first 2 shown]
	s_cselect_b64 s[14:15], -1, 0
	v_cmp_gt_i32_e32 vcc, s23, v4
	s_waitcnt vmcnt(0) lgkmcnt(0)
	ds_write_b128 v20, v[12:15] offset:8704
	flat_load_dwordx4 v[14:17], v[0:1]
	v_mul_u32_u24_e32 v12, 0x110, v4
	v_lshlrev_b32_e32 v13, 8, v32
	v_mov_b32_e32 v0, 0
	v_mov_b32_e32 v1, 0
	s_waitcnt vmcnt(0) lgkmcnt(0)
	ds_write_b128 v20, v[14:17] offset:13056
	s_waitcnt lgkmcnt(0)
	s_barrier
	ds_read_b128 v[14:17], v12
	ds_read_b128 v[18:21], v13 offset:17408
	ds_read_b128 v[22:25], v12 offset:8704
	s_waitcnt lgkmcnt(1)
	;;#ASMSTART
	v_dot2_f32_f16 v0, v14, v18, v0
	;;#ASMEND
	;;#ASMSTART
	v_dot2_f32_f16 v0, v15, v19, v0
	;;#ASMEND
	;;#ASMSTART
	v_dot2_f32_f16 v0, v16, v20, v0
	;;#ASMEND
	;;#ASMSTART
	v_dot2_f32_f16 v0, v17, v21, v0
	;;#ASMEND
	s_waitcnt lgkmcnt(0)
	;;#ASMSTART
	v_dot2_f32_f16 v1, v22, v18, v1
	;;#ASMEND
	;;#ASMSTART
	v_dot2_f32_f16 v1, v23, v19, v1
	;;#ASMEND
	;;#ASMSTART
	v_dot2_f32_f16 v1, v24, v20, v1
	;;#ASMEND
	;;#ASMSTART
	v_dot2_f32_f16 v1, v25, v21, v1
	;;#ASMEND
	ds_read_b128 v[14:17], v12 offset:16
	ds_read_b128 v[18:21], v13 offset:17424
	ds_read_b128 v[22:25], v12 offset:8720
	s_waitcnt lgkmcnt(1)
	;;#ASMSTART
	v_dot2_f32_f16 v0, v14, v18, v0
	;;#ASMEND
	;;#ASMSTART
	v_dot2_f32_f16 v0, v15, v19, v0
	;;#ASMEND
	;;#ASMSTART
	v_dot2_f32_f16 v0, v16, v20, v0
	;;#ASMEND
	;;#ASMSTART
	v_dot2_f32_f16 v0, v17, v21, v0
	;;#ASMEND
	s_waitcnt lgkmcnt(0)
	;;#ASMSTART
	v_dot2_f32_f16 v1, v22, v18, v1
	;;#ASMEND
	;;#ASMSTART
	v_dot2_f32_f16 v1, v23, v19, v1
	;;#ASMEND
	;;#ASMSTART
	v_dot2_f32_f16 v1, v24, v20, v1
	;;#ASMEND
	;;#ASMSTART
	v_dot2_f32_f16 v1, v25, v21, v1
	;;#ASMEND
	ds_read_b128 v[14:17], v12 offset:32
	ds_read_b128 v[18:21], v13 offset:17440
	ds_read_b128 v[22:25], v12 offset:8736
	s_waitcnt lgkmcnt(1)
	;;#ASMSTART
	v_dot2_f32_f16 v0, v14, v18, v0
	;;#ASMEND
	;;#ASMSTART
	v_dot2_f32_f16 v0, v15, v19, v0
	;;#ASMEND
	;;#ASMSTART
	v_dot2_f32_f16 v0, v16, v20, v0
	;;#ASMEND
	;;#ASMSTART
	v_dot2_f32_f16 v0, v17, v21, v0
	;;#ASMEND
	s_waitcnt lgkmcnt(0)
	;;#ASMSTART
	v_dot2_f32_f16 v1, v22, v18, v1
	;;#ASMEND
	;;#ASMSTART
	v_dot2_f32_f16 v1, v23, v19, v1
	;;#ASMEND
	;;#ASMSTART
	v_dot2_f32_f16 v1, v24, v20, v1
	;;#ASMEND
	;;#ASMSTART
	v_dot2_f32_f16 v1, v25, v21, v1
	;;#ASMEND
	ds_read_b128 v[14:17], v12 offset:48
	ds_read_b128 v[18:21], v13 offset:17456
	ds_read_b128 v[22:25], v12 offset:8752
	s_waitcnt lgkmcnt(1)
	;;#ASMSTART
	v_dot2_f32_f16 v0, v14, v18, v0
	;;#ASMEND
	;;#ASMSTART
	v_dot2_f32_f16 v0, v15, v19, v0
	;;#ASMEND
	;;#ASMSTART
	v_dot2_f32_f16 v0, v16, v20, v0
	;;#ASMEND
	;;#ASMSTART
	v_dot2_f32_f16 v0, v17, v21, v0
	;;#ASMEND
	s_waitcnt lgkmcnt(0)
	;;#ASMSTART
	v_dot2_f32_f16 v1, v22, v18, v1
	;;#ASMEND
	;;#ASMSTART
	v_dot2_f32_f16 v1, v23, v19, v1
	;;#ASMEND
	;;#ASMSTART
	v_dot2_f32_f16 v1, v24, v20, v1
	;;#ASMEND
	;;#ASMSTART
	v_dot2_f32_f16 v1, v25, v21, v1
	;;#ASMEND
	ds_read_b128 v[14:17], v12 offset:64
	ds_read_b128 v[18:21], v13 offset:17472
	ds_read_b128 v[22:25], v12 offset:8768
	s_waitcnt lgkmcnt(1)
	;;#ASMSTART
	v_dot2_f32_f16 v0, v14, v18, v0
	;;#ASMEND
	;;#ASMSTART
	v_dot2_f32_f16 v0, v15, v19, v0
	;;#ASMEND
	;;#ASMSTART
	v_dot2_f32_f16 v0, v16, v20, v0
	;;#ASMEND
	;;#ASMSTART
	v_dot2_f32_f16 v0, v17, v21, v0
	;;#ASMEND
	s_waitcnt lgkmcnt(0)
	;;#ASMSTART
	v_dot2_f32_f16 v1, v22, v18, v1
	;;#ASMEND
	;;#ASMSTART
	v_dot2_f32_f16 v1, v23, v19, v1
	;;#ASMEND
	;;#ASMSTART
	v_dot2_f32_f16 v1, v24, v20, v1
	;;#ASMEND
	;;#ASMSTART
	v_dot2_f32_f16 v1, v25, v21, v1
	;;#ASMEND
	ds_read_b128 v[14:17], v12 offset:80
	ds_read_b128 v[18:21], v13 offset:17488
	ds_read_b128 v[22:25], v12 offset:8784
	s_waitcnt lgkmcnt(1)
	;;#ASMSTART
	v_dot2_f32_f16 v0, v14, v18, v0
	;;#ASMEND
	;;#ASMSTART
	v_dot2_f32_f16 v0, v15, v19, v0
	;;#ASMEND
	;;#ASMSTART
	v_dot2_f32_f16 v0, v16, v20, v0
	;;#ASMEND
	;;#ASMSTART
	v_dot2_f32_f16 v0, v17, v21, v0
	;;#ASMEND
	s_waitcnt lgkmcnt(0)
	;;#ASMSTART
	v_dot2_f32_f16 v1, v22, v18, v1
	;;#ASMEND
	;;#ASMSTART
	v_dot2_f32_f16 v1, v23, v19, v1
	;;#ASMEND
	;;#ASMSTART
	v_dot2_f32_f16 v1, v24, v20, v1
	;;#ASMEND
	;;#ASMSTART
	v_dot2_f32_f16 v1, v25, v21, v1
	;;#ASMEND
	ds_read_b128 v[14:17], v12 offset:96
	ds_read_b128 v[18:21], v13 offset:17504
	ds_read_b128 v[22:25], v12 offset:8800
	s_waitcnt lgkmcnt(1)
	;;#ASMSTART
	v_dot2_f32_f16 v0, v14, v18, v0
	;;#ASMEND
	;;#ASMSTART
	v_dot2_f32_f16 v0, v15, v19, v0
	;;#ASMEND
	;;#ASMSTART
	v_dot2_f32_f16 v0, v16, v20, v0
	;;#ASMEND
	;;#ASMSTART
	v_dot2_f32_f16 v0, v17, v21, v0
	;;#ASMEND
	s_waitcnt lgkmcnt(0)
	;;#ASMSTART
	v_dot2_f32_f16 v1, v22, v18, v1
	;;#ASMEND
	;;#ASMSTART
	v_dot2_f32_f16 v1, v23, v19, v1
	;;#ASMEND
	;;#ASMSTART
	v_dot2_f32_f16 v1, v24, v20, v1
	;;#ASMEND
	;;#ASMSTART
	v_dot2_f32_f16 v1, v25, v21, v1
	;;#ASMEND
	ds_read_b128 v[14:17], v12 offset:112
	ds_read_b128 v[18:21], v13 offset:17520
	ds_read_b128 v[22:25], v12 offset:8816
	s_waitcnt lgkmcnt(1)
	;;#ASMSTART
	v_dot2_f32_f16 v0, v14, v18, v0
	;;#ASMEND
	;;#ASMSTART
	v_dot2_f32_f16 v0, v15, v19, v0
	;;#ASMEND
	;;#ASMSTART
	v_dot2_f32_f16 v0, v16, v20, v0
	;;#ASMEND
	;;#ASMSTART
	v_dot2_f32_f16 v0, v17, v21, v0
	;;#ASMEND
	s_waitcnt lgkmcnt(0)
	;;#ASMSTART
	v_dot2_f32_f16 v1, v22, v18, v1
	;;#ASMEND
	;;#ASMSTART
	v_dot2_f32_f16 v1, v23, v19, v1
	;;#ASMEND
	;;#ASMSTART
	v_dot2_f32_f16 v1, v24, v20, v1
	;;#ASMEND
	;;#ASMSTART
	v_dot2_f32_f16 v1, v25, v21, v1
	;;#ASMEND
	ds_read_b128 v[14:17], v12 offset:128
	ds_read_b128 v[18:21], v13 offset:17536
	ds_read_b128 v[22:25], v12 offset:8832
	s_waitcnt lgkmcnt(1)
	;;#ASMSTART
	v_dot2_f32_f16 v0, v14, v18, v0
	;;#ASMEND
	;;#ASMSTART
	v_dot2_f32_f16 v0, v15, v19, v0
	;;#ASMEND
	;;#ASMSTART
	v_dot2_f32_f16 v0, v16, v20, v0
	;;#ASMEND
	;;#ASMSTART
	v_dot2_f32_f16 v0, v17, v21, v0
	;;#ASMEND
	s_waitcnt lgkmcnt(0)
	;;#ASMSTART
	v_dot2_f32_f16 v1, v22, v18, v1
	;;#ASMEND
	;;#ASMSTART
	v_dot2_f32_f16 v1, v23, v19, v1
	;;#ASMEND
	;;#ASMSTART
	v_dot2_f32_f16 v1, v24, v20, v1
	;;#ASMEND
	;;#ASMSTART
	v_dot2_f32_f16 v1, v25, v21, v1
	;;#ASMEND
	ds_read_b128 v[14:17], v12 offset:144
	ds_read_b128 v[18:21], v13 offset:17552
	ds_read_b128 v[22:25], v12 offset:8848
	s_waitcnt lgkmcnt(1)
	;;#ASMSTART
	v_dot2_f32_f16 v0, v14, v18, v0
	;;#ASMEND
	;;#ASMSTART
	v_dot2_f32_f16 v0, v15, v19, v0
	;;#ASMEND
	;;#ASMSTART
	v_dot2_f32_f16 v0, v16, v20, v0
	;;#ASMEND
	;;#ASMSTART
	v_dot2_f32_f16 v0, v17, v21, v0
	;;#ASMEND
	s_waitcnt lgkmcnt(0)
	;;#ASMSTART
	v_dot2_f32_f16 v1, v22, v18, v1
	;;#ASMEND
	;;#ASMSTART
	v_dot2_f32_f16 v1, v23, v19, v1
	;;#ASMEND
	;;#ASMSTART
	v_dot2_f32_f16 v1, v24, v20, v1
	;;#ASMEND
	;;#ASMSTART
	v_dot2_f32_f16 v1, v25, v21, v1
	;;#ASMEND
	ds_read_b128 v[14:17], v12 offset:160
	ds_read_b128 v[18:21], v13 offset:17568
	ds_read_b128 v[22:25], v12 offset:8864
	s_waitcnt lgkmcnt(1)
	;;#ASMSTART
	v_dot2_f32_f16 v0, v14, v18, v0
	;;#ASMEND
	;;#ASMSTART
	v_dot2_f32_f16 v0, v15, v19, v0
	;;#ASMEND
	;;#ASMSTART
	v_dot2_f32_f16 v0, v16, v20, v0
	;;#ASMEND
	;;#ASMSTART
	v_dot2_f32_f16 v0, v17, v21, v0
	;;#ASMEND
	s_waitcnt lgkmcnt(0)
	;;#ASMSTART
	v_dot2_f32_f16 v1, v22, v18, v1
	;;#ASMEND
	;;#ASMSTART
	v_dot2_f32_f16 v1, v23, v19, v1
	;;#ASMEND
	;;#ASMSTART
	v_dot2_f32_f16 v1, v24, v20, v1
	;;#ASMEND
	;;#ASMSTART
	v_dot2_f32_f16 v1, v25, v21, v1
	;;#ASMEND
	ds_read_b128 v[14:17], v12 offset:176
	ds_read_b128 v[18:21], v13 offset:17584
	ds_read_b128 v[22:25], v12 offset:8880
	s_waitcnt lgkmcnt(1)
	;;#ASMSTART
	v_dot2_f32_f16 v0, v14, v18, v0
	;;#ASMEND
	;;#ASMSTART
	v_dot2_f32_f16 v0, v15, v19, v0
	;;#ASMEND
	;;#ASMSTART
	v_dot2_f32_f16 v0, v16, v20, v0
	;;#ASMEND
	;;#ASMSTART
	v_dot2_f32_f16 v0, v17, v21, v0
	;;#ASMEND
	s_waitcnt lgkmcnt(0)
	;;#ASMSTART
	v_dot2_f32_f16 v1, v22, v18, v1
	;;#ASMEND
	;;#ASMSTART
	v_dot2_f32_f16 v1, v23, v19, v1
	;;#ASMEND
	;;#ASMSTART
	v_dot2_f32_f16 v1, v24, v20, v1
	;;#ASMEND
	;;#ASMSTART
	v_dot2_f32_f16 v1, v25, v21, v1
	;;#ASMEND
	ds_read_b128 v[14:17], v12 offset:192
	ds_read_b128 v[18:21], v13 offset:17600
	ds_read_b128 v[22:25], v12 offset:8896
	s_waitcnt lgkmcnt(1)
	;;#ASMSTART
	v_dot2_f32_f16 v0, v14, v18, v0
	;;#ASMEND
	;;#ASMSTART
	v_dot2_f32_f16 v0, v15, v19, v0
	;;#ASMEND
	;;#ASMSTART
	v_dot2_f32_f16 v0, v16, v20, v0
	;;#ASMEND
	;;#ASMSTART
	v_dot2_f32_f16 v0, v17, v21, v0
	;;#ASMEND
	s_waitcnt lgkmcnt(0)
	;;#ASMSTART
	v_dot2_f32_f16 v1, v22, v18, v1
	;;#ASMEND
	;;#ASMSTART
	v_dot2_f32_f16 v1, v23, v19, v1
	;;#ASMEND
	;;#ASMSTART
	v_dot2_f32_f16 v1, v24, v20, v1
	;;#ASMEND
	;;#ASMSTART
	v_dot2_f32_f16 v1, v25, v21, v1
	;;#ASMEND
	ds_read_b128 v[14:17], v12 offset:208
	ds_read_b128 v[18:21], v13 offset:17616
	ds_read_b128 v[22:25], v12 offset:8912
	s_waitcnt lgkmcnt(1)
	;;#ASMSTART
	v_dot2_f32_f16 v0, v14, v18, v0
	;;#ASMEND
	;;#ASMSTART
	v_dot2_f32_f16 v0, v15, v19, v0
	;;#ASMEND
	;;#ASMSTART
	v_dot2_f32_f16 v0, v16, v20, v0
	;;#ASMEND
	;;#ASMSTART
	v_dot2_f32_f16 v0, v17, v21, v0
	;;#ASMEND
	s_waitcnt lgkmcnt(0)
	;;#ASMSTART
	v_dot2_f32_f16 v1, v22, v18, v1
	;;#ASMEND
	;;#ASMSTART
	v_dot2_f32_f16 v1, v23, v19, v1
	;;#ASMEND
	;;#ASMSTART
	v_dot2_f32_f16 v1, v24, v20, v1
	;;#ASMEND
	;;#ASMSTART
	v_dot2_f32_f16 v1, v25, v21, v1
	;;#ASMEND
	ds_read_b128 v[16:19], v12 offset:224
	ds_read_b128 v[20:23], v13 offset:17632
	v_add_u32_e32 v14, s22, v26
	ds_read_b128 v[24:27], v12 offset:8928
	s_waitcnt lgkmcnt(1)
	;;#ASMSTART
	v_dot2_f32_f16 v0, v16, v20, v0
	;;#ASMEND
	;;#ASMSTART
	v_dot2_f32_f16 v0, v17, v21, v0
	;;#ASMEND
	;;#ASMSTART
	v_dot2_f32_f16 v0, v18, v22, v0
	;;#ASMEND
	;;#ASMSTART
	v_dot2_f32_f16 v0, v19, v23, v0
	;;#ASMEND
	s_waitcnt lgkmcnt(0)
	;;#ASMSTART
	v_dot2_f32_f16 v1, v24, v20, v1
	;;#ASMEND
	;;#ASMSTART
	v_dot2_f32_f16 v1, v25, v21, v1
	;;#ASMEND
	;; [unrolled: 3-line block ×4, first 2 shown]
	ds_read_b128 v[16:19], v12 offset:240
	ds_read_b128 v[20:23], v13 offset:17648
	;; [unrolled: 1-line block ×3, first 2 shown]
	s_waitcnt lgkmcnt(1)
	;;#ASMSTART
	v_dot2_f32_f16 v0, v16, v20, v0
	;;#ASMEND
	;;#ASMSTART
	v_dot2_f32_f16 v0, v17, v21, v0
	;;#ASMEND
	;; [unrolled: 3-line block ×4, first 2 shown]
	s_waitcnt lgkmcnt(0)
	;;#ASMSTART
	v_dot2_f32_f16 v1, v24, v20, v1
	;;#ASMEND
	v_cndmask_b32_e64 v13, 0, 1, s[14:15]
	;;#ASMSTART
	v_dot2_f32_f16 v1, v25, v21, v1
	;;#ASMEND
	v_cmp_ne_u32_e64 s[14:15], 1, v13
	;;#ASMSTART
	v_dot2_f32_f16 v1, v26, v22, v1
	;;#ASMEND
	v_mov_b32_e32 v15, v6
	;;#ASMSTART
	v_dot2_f32_f16 v1, v27, v23, v1
	;;#ASMEND
	s_and_saveexec_b64 s[18:19], vcc
	s_cbranch_execz .LBB62_23
; %bb.20:
	s_and_b64 vcc, exec, s[14:15]
	s_cbranch_vccnz .LBB62_22
; %bb.21:
	v_add_u32_e32 v12, v14, v4
	v_ashrrev_i32_e32 v13, 31, v12
	v_lshlrev_b64 v[12:13], 1, v[12:13]
	v_mov_b32_e32 v8, s45
	v_add_co_u32_e32 v12, vcc, s44, v12
	v_addc_co_u32_e32 v13, vcc, v8, v13, vcc
	flat_load_ushort v8, v[12:13]
	s_waitcnt vmcnt(0) lgkmcnt(0)
	v_cvt_f32_f16_e32 v8, v8
	v_mul_f32_e32 v8, v34, v8
.LBB62_22:
	v_add_f32_e32 v0, v0, v8
	v_add_f32_e32 v8, 0x40051340, v0
	v_max_f32_e32 v12, v6, v6
	v_max_f32_e32 v15, v12, v8
.LBB62_23:
	s_or_b64 exec, exec, s[18:19]
	v_add_u32_e32 v19, 32, v4
	v_cmp_gt_i32_e32 vcc, s23, v19
	s_and_saveexec_b64 s[18:19], vcc
	s_cbranch_execz .LBB62_28
; %bb.24:
	s_and_b64 vcc, exec, s[14:15]
	s_cbranch_vccnz .LBB62_26
; %bb.25:
	v_ashrrev_i32_e32 v8, 31, v14
	v_add_co_u32_e32 v12, vcc, v14, v4
	v_addc_co_u32_e32 v13, vcc, 0, v8, vcc
	v_lshlrev_b64 v[12:13], 1, v[12:13]
	v_mov_b32_e32 v8, s45
	v_add_co_u32_e32 v12, vcc, s44, v12
	v_addc_co_u32_e32 v13, vcc, v8, v13, vcc
	flat_load_ushort v8, v[12:13] offset:64
	s_waitcnt vmcnt(0) lgkmcnt(0)
	v_cvt_f32_f16_e32 v8, v8
	v_mul_f32_e32 v8, v34, v8
	s_branch .LBB62_27
.LBB62_26:
	v_mov_b32_e32 v8, 0
.LBB62_27:
	v_add_f32_e32 v1, v1, v8
	v_add_f32_e32 v8, 0x40051340, v1
	v_max_f32_e32 v12, v15, v15
	v_max_f32_e32 v15, v12, v8
.LBB62_28:
	s_or_b64 exec, exec, s[18:19]
	v_mbcnt_hi_u32_b32 v12, -1, v35
	v_and_b32_e32 v8, 0x60, v12
	v_add_u32_e32 v13, 32, v8
	v_xor_b32_e32 v14, 16, v12
	v_cmp_lt_i32_e32 vcc, v14, v13
	v_cndmask_b32_e32 v8, v12, v14, vcc
	v_lshlrev_b32_e32 v8, 2, v8
	ds_bpermute_b32 v8, v8, v15
	v_max_f32_e32 v16, v15, v15
	v_xor_b32_e32 v15, 8, v12
	v_cmp_lt_i32_e32 vcc, v15, v13
	s_mov_b32 s18, 0x3fb8aa3b
	s_waitcnt lgkmcnt(0)
	v_max_f32_e32 v8, v8, v8
	v_max_f32_e32 v8, v16, v8
	v_cndmask_b32_e32 v16, v12, v15, vcc
	v_lshlrev_b32_e32 v16, 2, v16
	ds_bpermute_b32 v17, v16, v8
	v_xor_b32_e32 v16, 4, v12
	v_cmp_lt_i32_e32 vcc, v16, v13
	s_mov_b32 s14, 0xc2ce8ed0
	s_mov_b32 s15, 0x42b17218
	s_waitcnt lgkmcnt(0)
	v_max_f32_e32 v17, v17, v17
	v_max_f32_e32 v8, v8, v17
	v_cndmask_b32_e32 v17, v12, v16, vcc
	v_lshlrev_b32_e32 v17, 2, v17
	ds_bpermute_b32 v18, v17, v8
	v_xor_b32_e32 v17, 2, v12
	v_cmp_lt_i32_e32 vcc, v17, v13
	v_mov_b32_e32 v27, 0x7f800000
	v_lshlrev_b32_e32 v156, 7, v32
	s_waitcnt lgkmcnt(0)
	v_max_f32_e32 v18, v18, v18
	v_max_f32_e32 v8, v8, v18
	v_cndmask_b32_e32 v18, v12, v17, vcc
	v_lshlrev_b32_e32 v18, 2, v18
	ds_bpermute_b32 v20, v18, v8
	v_xor_b32_e32 v18, 1, v12
	v_cmp_lt_i32_e32 vcc, v18, v13
	s_movk_i32 s19, 0x4c00
	s_waitcnt lgkmcnt(0)
	v_max_f32_e32 v20, v20, v20
	v_max_f32_e32 v8, v8, v20
	v_cndmask_b32_e32 v20, v12, v18, vcc
	v_lshlrev_b32_e32 v20, 2, v20
	ds_bpermute_b32 v20, v20, v8
	s_barrier
	s_waitcnt lgkmcnt(0)
	v_mov_b32_e32 v26, 0
	v_lshl_or_b32 v10, v10, 8, v9
	v_max_f32_e32 v20, v20, v20
	v_max_f32_e32 v8, v8, v20
	v_pk_add_f32 v[0:1], v[0:1], v[8:9] op_sel_hi:[1,0] neg_lo:[0,1] neg_hi:[0,1]
	v_mul_f32_e32 v20, 0x3fb8aa3b, v0
	v_fma_f32 v21, v0, s18, -v20
	v_rndne_f32_e32 v22, v20
	v_fmac_f32_e32 v21, 0x32a5705f, v0
	v_sub_f32_e32 v20, v20, v22
	v_add_f32_e32 v20, v20, v21
	v_exp_f32_e32 v20, v20
	v_cvt_i32_f32_e32 v21, v22
	v_cmp_ngt_f32_e32 vcc, s14, v0
	v_add_u32_e32 v96, 0x1800, v29
	v_add_u32_e32 v112, 0x2000, v29
	v_ldexp_f32 v20, v20, v21
	v_mul_f32_e32 v21, 0x3fb8aa3b, v1
	v_fma_f32 v22, v1, s18, -v21
	v_rndne_f32_e32 v23, v21
	v_fmac_f32_e32 v22, 0x32a5705f, v1
	v_sub_f32_e32 v21, v21, v23
	v_add_f32_e32 v21, v21, v22
	v_exp_f32_e32 v21, v21
	v_cvt_i32_f32_e32 v22, v23
	v_cndmask_b32_e32 v20, 0, v20, vcc
	v_cmp_nlt_f32_e32 vcc, s15, v0
	v_cndmask_b32_e32 v0, v27, v20, vcc
	v_ldexp_f32 v20, v21, v22
	v_cmp_ngt_f32_e32 vcc, s14, v1
	v_cndmask_b32_e32 v20, 0, v20, vcc
	v_cmp_nlt_f32_e32 vcc, s15, v1
	v_cndmask_b32_e32 v1, v27, v20, vcc
	v_cmp_gt_u32_e32 vcc, s23, v19
	v_cndmask_b32_e32 v19, 0, v1, vcc
	v_cmp_gt_u32_e32 vcc, s23, v4
	v_cndmask_b32_e32 v34, 0, v0, vcc
	v_cvt_f16_f32_e32 v0, v34
	v_cvt_f16_f32_e32 v1, v19
	v_add3_u32 v20, v156, s19, v33
	s_mul_hi_i32 s23, s22, s8
	s_mul_i32 s22, s22, s8
	ds_write_b16 v20, v0
	ds_write_b16 v20, v1 offset:64
	s_lshl_b64 s[22:23], s[22:23], 2
	v_mul_lo_u32 v0, s8, v2
	s_add_u32 s19, s20, s22
	v_ashrrev_i32_e32 v1, 31, v0
	s_addc_u32 s22, s21, s23
	v_lshlrev_b64 v[20:21], 2, v[0:1]
	v_mov_b32_e32 v1, s22
	v_add_co_u32_e32 v20, vcc, s19, v20
	v_addc_co_u32_e32 v1, vcc, v1, v21, vcc
	s_mov_b64 s[20:21], src_private_base
	v_add_co_u32_e32 v20, vcc, v20, v9
	v_addc_co_u32_e32 v1, vcc, 0, v1, vcc
	v_mov_b32_e32 v32, s21
	v_mov_b32_e32 v33, 0
	buffer_store_dword v26, off, s[0:3], 0
	buffer_store_dword v26, off, s[0:3], 0 offset:8
	buffer_store_dword v26, off, s[0:3], 0 offset:4
	;; [unrolled: 1-line block ×3, first 2 shown]
	v_cndmask_b32_e64 v21, v32, v1, s[6:7]
	v_cndmask_b32_e64 v20, v33, v20, s[6:7]
	flat_load_dwordx4 v[20:23], v[20:21]
	s_lshl_b32 s6, s8, 4
	v_add_u32_e32 v0, s6, v0
	v_ashrrev_i32_e32 v1, 31, v0
	v_lshlrev_b64 v[24:25], 2, v[0:1]
	v_mov_b32_e32 v35, s22
	v_add_co_u32_e32 v1, vcc, s19, v24
	v_addc_co_u32_e32 v24, vcc, v35, v25, vcc
	v_add_co_u32_e32 v1, vcc, v1, v9
	v_lshl_or_b32 v2, v2, 8, v9
	v_addc_co_u32_e32 v25, vcc, 0, v24, vcc
	v_cndmask_b32_e64 v24, v33, v1, s[10:11]
	v_cndmask_b32_e64 v25, v32, v25, s[10:11]
	buffer_store_dword v26, off, s[0:3], 0
	buffer_store_dword v26, off, s[0:3], 0 offset:8
	buffer_store_dword v26, off, s[0:3], 0 offset:4
	;; [unrolled: 1-line block ×3, first 2 shown]
	v_add_u32_e32 v136, 0x2800, v29
	v_add_u32_e32 v152, 0x3000, v29
	v_add_f32_e32 v19, v34, v19
	v_add_u32_e32 v160, 0x3800, v29
	s_waitcnt vmcnt(0) lgkmcnt(0)
	ds_write_b128 v2, v[20:23]
	flat_load_dwordx4 v[20:23], v[24:25]
	v_add_u32_e32 v24, s6, v0
	v_ashrrev_i32_e32 v25, 31, v24
	v_lshlrev_b64 v[0:1], 2, v[24:25]
	v_lshl_or_b32 v2, v3, 8, v9
	v_mov_b32_e32 v3, s22
	v_add_co_u32_e32 v0, vcc, s19, v0
	v_addc_co_u32_e32 v1, vcc, v3, v1, vcc
	v_add_co_u32_e32 v0, vcc, v0, v9
	v_addc_co_u32_e32 v1, vcc, 0, v1, vcc
	v_cndmask_b32_e64 v0, v33, v0, s[16:17]
	v_cndmask_b32_e64 v1, v32, v1, s[16:17]
	buffer_store_dword v26, off, s[0:3], 0
	buffer_store_dword v26, off, s[0:3], 0 offset:8
	buffer_store_dword v26, off, s[0:3], 0 offset:4
	;; [unrolled: 1-line block ×3, first 2 shown]
	s_waitcnt vmcnt(0) lgkmcnt(0)
	ds_write_b128 v2, v[20:23]
	flat_load_dwordx4 v[0:3], v[0:1]
	v_add_u32_e32 v20, s6, v24
	v_ashrrev_i32_e32 v21, 31, v20
	v_lshlrev_b64 v[20:21], 2, v[20:21]
	v_mov_b32_e32 v22, s22
	v_add_co_u32_e32 v20, vcc, s19, v20
	v_addc_co_u32_e32 v21, vcc, v22, v21, vcc
	v_add_co_u32_e32 v20, vcc, v20, v9
	v_addc_co_u32_e32 v21, vcc, 0, v21, vcc
	v_cndmask_b32_e64 v20, v33, v20, s[12:13]
	v_cndmask_b32_e64 v21, v32, v21, s[12:13]
	buffer_store_dword v26, off, s[0:3], 0
	buffer_store_dword v26, off, s[0:3], 0 offset:8
	buffer_store_dword v26, off, s[0:3], 0 offset:4
	;; [unrolled: 1-line block ×3, first 2 shown]
	v_lshl_or_b32 v9, v11, 8, v9
	v_add_u32_e32 v11, 0x1000, v29
	s_waitcnt vmcnt(0) lgkmcnt(0)
	ds_write_b128 v10, v[0:3]
	flat_load_dwordx4 v[0:3], v[20:21]
	v_sub_f32_e32 v20, v6, v8
	v_mul_f32_e32 v6, 0x3fb8aa3b, v20
	v_fma_f32 v21, v20, s18, -v6
	v_rndne_f32_e32 v22, v6
	v_fmac_f32_e32 v21, 0x32a5705f, v20
	v_sub_f32_e32 v6, v6, v22
	v_add_f32_e32 v6, v6, v21
	v_cvt_i32_f32_e32 v22, v22
	v_exp_f32_e32 v21, v6
	v_cmp_ngt_f32_e32 vcc, s14, v20
	v_cmp_nlt_f32_e64 s[6:7], s15, v20
	v_add_u32_e32 v10, 0x800, v29
	v_ldexp_f32 v20, v21, v22
	v_cndmask_b32_e32 v20, 0, v20, vcc
	v_cndmask_b32_e64 v20, v27, v20, s[6:7]
	v_cvt_f16_f32_e32 v157, v20
	v_fmac_f32_e32 v19, v7, v20
	v_mov_b32_e32 v6, v8
	s_waitcnt vmcnt(0) lgkmcnt(0)
	ds_write_b128 v9, v[0:3]
	s_waitcnt lgkmcnt(0)
	s_barrier
	ds_read2_b64 v[0:3], v29 offset1:32
	ds_read_b128 v[20:23], v156 offset:19456
	ds_read_b128 v[24:27], v156 offset:19472
	;; [unrolled: 1-line block ×4, first 2 shown]
	ds_read2_b64 v[40:43], v29 offset0:64 offset1:96
	ds_read2_b64 v[44:47], v29 offset0:128 offset1:160
	ds_read2_b64 v[48:51], v29 offset0:192 offset1:224
	ds_read2_b64 v[52:55], v10 offset1:32
	ds_read2_b64 v[56:59], v10 offset0:64 offset1:96
	ds_read2_b64 v[60:63], v10 offset0:128 offset1:160
	ds_read2_b64 v[64:67], v10 offset0:192 offset1:224
	ds_read2_b64 v[68:71], v11 offset1:32
	;; [unrolled: 4-line block ×5, first 2 shown]
	ds_read_b128 v[120:123], v156 offset:19520
	ds_read_b128 v[124:127], v156 offset:19536
	ds_read2_b64 v[128:131], v136 offset0:64 offset1:96
	ds_read2_b64 v[132:135], v136 offset0:128 offset1:160
	;; [unrolled: 1-line block ×3, first 2 shown]
	ds_read2_b64 v[140:143], v152 offset1:32
	ds_read2_b64 v[144:147], v152 offset0:64 offset1:96
	ds_read2_b64 v[148:151], v152 offset0:128 offset1:160
	;; [unrolled: 1-line block ×3, first 2 shown]
	s_waitcnt lgkmcnt(14)
	v_pk_mul_f16 v0, v0, v20 op_sel_hi:[1,0]
	v_pk_mul_f16 v1, v1, v20 op_sel_hi:[1,0]
	v_pk_fma_f16 v0, v30, v157, v0 op_sel_hi:[1,0,1]
	v_pk_fma_f16 v1, v31, v157, v1 op_sel_hi:[1,0,1]
	v_pk_fma_f16 v7, v2, v20, v0 op_sel:[0,1,0]
	v_pk_fma_f16 v9, v3, v20, v1 op_sel:[0,1,0]
	v_pk_fma_f16 v7, v40, v21, v7 op_sel_hi:[1,0,1]
	v_pk_fma_f16 v9, v41, v21, v9 op_sel_hi:[1,0,1]
	v_pk_fma_f16 v7, v42, v21, v7 op_sel:[0,1,0]
	v_pk_fma_f16 v9, v43, v21, v9 op_sel:[0,1,0]
	;; [unrolled: 4-line block ×16, first 2 shown]
	s_waitcnt lgkmcnt(8)
	v_pk_fma_f16 v7, v100, v120, v7 op_sel_hi:[1,0,1]
	v_pk_fma_f16 v9, v101, v120, v9 op_sel_hi:[1,0,1]
	v_pk_fma_f16 v7, v102, v120, v7 op_sel:[0,1,0]
	v_pk_fma_f16 v9, v103, v120, v9 op_sel:[0,1,0]
	v_pk_fma_f16 v7, v104, v121, v7 op_sel_hi:[1,0,1]
	v_pk_fma_f16 v9, v105, v121, v9 op_sel_hi:[1,0,1]
	v_pk_fma_f16 v7, v106, v121, v7 op_sel:[0,1,0]
	v_pk_fma_f16 v9, v107, v121, v9 op_sel:[0,1,0]
	;; [unrolled: 4-line block ×4, first 2 shown]
	s_waitcnt lgkmcnt(7)
	v_pk_fma_f16 v7, v116, v124, v7 op_sel_hi:[1,0,1]
	v_pk_fma_f16 v9, v117, v124, v9 op_sel_hi:[1,0,1]
	v_pk_fma_f16 v7, v118, v124, v7 op_sel:[0,1,0]
	v_pk_fma_f16 v9, v119, v124, v9 op_sel:[0,1,0]
	s_waitcnt lgkmcnt(6)
	v_pk_fma_f16 v7, v128, v125, v7 op_sel_hi:[1,0,1]
	v_pk_fma_f16 v9, v129, v125, v9 op_sel_hi:[1,0,1]
	v_pk_fma_f16 v7, v130, v125, v7 op_sel:[0,1,0]
	v_pk_fma_f16 v9, v131, v125, v9 op_sel:[0,1,0]
	ds_read2_b64 v[0:3], v160 offset1:32
	ds_read_b128 v[40:43], v156 offset:19552
	ds_read_b128 v[156:159], v156 offset:19568
	s_waitcnt lgkmcnt(8)
	v_pk_fma_f16 v7, v132, v126, v7 op_sel_hi:[1,0,1]
	v_pk_fma_f16 v9, v133, v126, v9 op_sel_hi:[1,0,1]
	v_pk_fma_f16 v7, v134, v126, v7 op_sel:[0,1,0]
	v_pk_fma_f16 v9, v135, v126, v9 op_sel:[0,1,0]
	s_waitcnt lgkmcnt(7)
	v_pk_fma_f16 v7, v136, v127, v7 op_sel_hi:[1,0,1]
	v_pk_fma_f16 v9, v137, v127, v9 op_sel_hi:[1,0,1]
	v_pk_fma_f16 v7, v138, v127, v7 op_sel:[0,1,0]
	v_pk_fma_f16 v9, v139, v127, v9 op_sel:[0,1,0]
	;; [unrolled: 5-line block ×3, first 2 shown]
	v_pk_fma_f16 v7, v144, v41, v7 op_sel_hi:[1,0,1]
	v_pk_fma_f16 v9, v145, v41, v9 op_sel_hi:[1,0,1]
	v_pk_fma_f16 v7, v146, v41, v7 op_sel:[0,1,0]
	v_pk_fma_f16 v9, v147, v41, v9 op_sel:[0,1,0]
	v_pk_fma_f16 v7, v148, v42, v7 op_sel_hi:[1,0,1]
	v_pk_fma_f16 v9, v149, v42, v9 op_sel_hi:[1,0,1]
	ds_read2_b64 v[44:47], v160 offset0:64 offset1:96
	v_pk_fma_f16 v7, v150, v42, v7 op_sel:[0,1,0]
	v_pk_fma_f16 v9, v151, v42, v9 op_sel:[0,1,0]
	v_pk_fma_f16 v7, v152, v43, v7 op_sel_hi:[1,0,1]
	v_pk_fma_f16 v9, v153, v43, v9 op_sel_hi:[1,0,1]
	v_pk_fma_f16 v7, v154, v43, v7 op_sel:[0,1,0]
	v_pk_fma_f16 v9, v155, v43, v9 op_sel:[0,1,0]
	ds_read2_b64 v[20:23], v160 offset0:128 offset1:160
	ds_read2_b64 v[48:51], v160 offset0:192 offset1:224
	s_waitcnt lgkmcnt(3)
	v_pk_fma_f16 v0, v0, v156, v7 op_sel_hi:[1,0,1]
	v_pk_fma_f16 v1, v1, v156, v9 op_sel_hi:[1,0,1]
	v_pk_fma_f16 v0, v2, v156, v0 op_sel:[0,1,0]
	v_pk_fma_f16 v1, v3, v156, v1 op_sel:[0,1,0]
	s_waitcnt lgkmcnt(2)
	v_pk_fma_f16 v0, v44, v157, v0 op_sel_hi:[1,0,1]
	v_pk_fma_f16 v1, v45, v157, v1 op_sel_hi:[1,0,1]
	v_pk_fma_f16 v0, v46, v157, v0 op_sel:[0,1,0]
	v_pk_fma_f16 v1, v47, v157, v1 op_sel:[0,1,0]
	;; [unrolled: 5-line block ×4, first 2 shown]
	v_mov_b32_e32 v7, v19
	s_barrier
.LBB62_29:
	v_cmp_lt_i32_e32 vcc, v14, v13
	v_cndmask_b32_e32 v0, v12, v14, vcc
	v_lshlrev_b32_e32 v0, 2, v0
	ds_bpermute_b32 v0, v0, v7
	v_cmp_lt_i32_e32 vcc, v15, v13
	v_cndmask_b32_e32 v1, v12, v15, vcc
	v_lshlrev_b32_e32 v1, 2, v1
	v_cmp_lt_i32_e32 vcc, v16, v13
	s_waitcnt lgkmcnt(0)
	v_add_f32_e32 v0, v7, v0
	ds_bpermute_b32 v1, v1, v0
	v_cndmask_b32_e32 v2, v12, v16, vcc
	v_lshlrev_b32_e32 v2, 2, v2
	v_cmp_lt_i32_e32 vcc, v17, v13
	s_cmp_eq_u64 s[24:25], 0
	s_waitcnt lgkmcnt(0)
	v_add_f32_e32 v0, v0, v1
	ds_bpermute_b32 v1, v2, v0
	v_cndmask_b32_e32 v2, v12, v17, vcc
	v_lshlrev_b32_e32 v2, 2, v2
	v_cmp_lt_i32_e32 vcc, v18, v13
	s_cselect_b64 s[6:7], -1, 0
	s_waitcnt lgkmcnt(0)
	v_add_f32_e32 v0, v0, v1
	ds_bpermute_b32 v1, v2, v0
	v_cndmask_b32_e32 v2, v12, v18, vcc
	v_lshlrev_b32_e32 v2, 2, v2
	s_cmp_lg_u32 s9, 0
	s_cselect_b64 s[10:11], -1, 0
	s_waitcnt lgkmcnt(0)
	v_add_f32_e32 v0, v0, v1
	ds_bpermute_b32 v1, v2, v0
	s_or_b64 s[6:7], s[10:11], s[6:7]
	s_and_b64 vcc, exec, s[6:7]
	s_waitcnt lgkmcnt(0)
	v_add_f32_e32 v9, v0, v1
	s_cbranch_vccnz .LBB62_32
; %bb.30:
	s_lshl_b64 s[6:7], s[34:35], 2
	s_add_u32 s6, s24, s6
	s_addc_u32 s7, s25, s7
	v_mov_b32_e32 v0, 0
	global_load_dword v1, v0, s[6:7]
	v_max_f32_e32 v0, v6, v6
	s_mov_b32 s6, 0x3fb8aa3b
	s_mov_b32 s7, 0xc2ce8ed0
	s_waitcnt vmcnt(0)
	v_max_f32_e32 v2, v1, v1
	v_max_f32_e32 v0, v0, v2
	v_sub_f32_e32 v2, v6, v0
	v_sub_f32_e32 v1, v1, v0
	v_mul_f32_e32 v3, 0x3fb8aa3b, v2
	v_mul_f32_e32 v6, 0x3fb8aa3b, v1
	v_fma_f32 v7, v2, s6, -v3
	v_rndne_f32_e32 v8, v3
	v_fma_f32 v10, v1, s6, -v6
	v_rndne_f32_e32 v11, v6
	v_fmac_f32_e32 v7, 0x32a5705f, v2
	v_sub_f32_e32 v3, v3, v8
	v_fmac_f32_e32 v10, 0x32a5705f, v1
	v_sub_f32_e32 v6, v6, v11
	v_add_f32_e32 v3, v3, v7
	v_cvt_i32_f32_e32 v8, v8
	v_add_f32_e32 v6, v6, v10
	v_exp_f32_e32 v3, v3
	v_cvt_i32_f32_e32 v11, v11
	v_exp_f32_e32 v6, v6
	v_cmp_ngt_f32_e32 vcc, s7, v2
	v_ldexp_f32 v3, v3, v8
	s_mov_b32 s6, 0x42b17218
	v_ldexp_f32 v6, v6, v11
	v_cndmask_b32_e32 v3, 0, v3, vcc
	v_cmp_ngt_f32_e32 vcc, s7, v1
	v_mov_b32_e32 v7, 0x7f800000
	v_cndmask_b32_e32 v6, 0, v6, vcc
	v_cmp_nlt_f32_e32 vcc, s6, v2
	v_cndmask_b32_e32 v2, v7, v3, vcc
	v_cvt_f16_f32_e32 v3, v2
	v_cmp_nlt_f32_e32 vcc, s6, v1
	v_cndmask_b32_e32 v1, v7, v6, vcc
	v_fmac_f32_e32 v1, v9, v2
	v_pk_mul_f16 v30, v3, v30 op_sel_hi:[0,1]
	v_pk_mul_f16 v31, v3, v31 op_sel_hi:[0,1]
	v_mov_b32_e32 v9, v1
	v_cmp_gt_i32_e32 vcc, s38, v5
	s_and_saveexec_b64 s[6:7], vcc
	s_cbranch_execnz .LBB62_33
.LBB62_31:
	s_endpgm
.LBB62_32:
	v_pk_mov_b32 v[0:1], v[8:9], v[8:9] op_sel:[0,1]
	v_cmp_gt_i32_e32 vcc, s38, v5
	s_and_saveexec_b64 s[6:7], vcc
	s_cbranch_execz .LBB62_31
.LBB62_33:
	s_load_dword s6, s[4:5], 0xd4
	v_div_scale_f32 v2, s[4:5], v9, v9, 1.0
	v_rcp_f32_e32 v3, v2
	s_mul_i32 s33, s33, s38
	s_waitcnt lgkmcnt(0)
	s_cmp_lg_u32 s6, 1
	s_cselect_b64 s[4:5], -1, 0
	v_fma_f32 v6, -v2, v3, 1.0
	v_fmac_f32_e32 v3, v6, v3
	v_div_scale_f32 v6, vcc, 1.0, v9, 1.0
	v_mul_f32_e32 v7, v6, v3
	v_fma_f32 v8, -v2, v7, v6
	v_fmac_f32_e32 v7, v8, v3
	v_fma_f32 v2, -v2, v7, v6
	v_div_fmas_f32 v2, v2, v3, v7
	v_div_fixup_f32 v2, v2, v9, 1.0
	v_cndmask_b32_e64 v8, v2, 1.0, s[4:5]
	v_add_u32_e32 v2, s33, v5
	v_mul_lo_u32 v2, v2, s39
	v_add_u32_e32 v2, s34, v2
	v_mul_lo_u32 v2, s6, v2
	v_add_u32_e32 v2, s9, v2
	v_lshl_add_u32 v6, v2, 7, v28
	v_mov_b32_e32 v7, 0
	v_lshlrev_b64 v[6:7], 2, v[6:7]
	v_cvt_f32_f16_sdwa v11, v30 dst_sel:DWORD dst_unused:UNUSED_PAD src0_sel:WORD_1
	v_cvt_f32_f16_e32 v10, v30
	v_cvt_f32_f16_sdwa v13, v31 dst_sel:DWORD dst_unused:UNUSED_PAD src0_sel:WORD_1
	v_cvt_f32_f16_e32 v12, v31
	v_mov_b32_e32 v3, s29
	v_add_co_u32_e32 v14, vcc, s28, v6
	v_addc_co_u32_e32 v15, vcc, v3, v7, vcc
	v_cmp_eq_u32_e32 vcc, 0, v4
	v_pk_mul_f32 v[6:7], v[8:9], v[10:11] op_sel_hi:[0,1]
	v_pk_mul_f32 v[8:9], v[8:9], v[12:13] op_sel_hi:[0,1]
	s_and_b64 s[4:5], vcc, s[4:5]
	global_store_dwordx4 v[14:15], v[6:9], off
	s_and_b64 exec, exec, s[4:5]
	s_cbranch_execz .LBB62_31
; %bb.34:
	v_ashrrev_i32_e32 v3, 31, v2
	v_lshlrev_b64 v[2:3], 3, v[2:3]
	v_mov_b32_e32 v4, s31
	v_add_co_u32_e32 v2, vcc, s30, v2
	v_addc_co_u32_e32 v3, vcc, v4, v3, vcc
	global_store_dwordx2 v[2:3], v[0:1], off
	s_endpgm
	.section	.rodata,"a",@progbits
	.p2align	6, 0x0
	.amdhsa_kernel _ZL15flash_attn_tileILi128ELi128ELi8ELi1ELb0EEvPKcS1_S1_S1_S1_PKiPfP15HIP_vector_typeIfLj2EEffffjfiS5_IjLj3EEiiiiiiiiiiiliiliiiiil
		.amdhsa_group_segment_fixed_size 20480
		.amdhsa_private_segment_fixed_size 32
		.amdhsa_kernarg_size 464
		.amdhsa_user_sgpr_count 8
		.amdhsa_user_sgpr_private_segment_buffer 1
		.amdhsa_user_sgpr_dispatch_ptr 0
		.amdhsa_user_sgpr_queue_ptr 0
		.amdhsa_user_sgpr_kernarg_segment_ptr 1
		.amdhsa_user_sgpr_dispatch_id 0
		.amdhsa_user_sgpr_flat_scratch_init 1
		.amdhsa_user_sgpr_kernarg_preload_length 0
		.amdhsa_user_sgpr_kernarg_preload_offset 0
		.amdhsa_user_sgpr_private_segment_size 0
		.amdhsa_uses_dynamic_stack 0
		.amdhsa_system_sgpr_private_segment_wavefront_offset 1
		.amdhsa_system_sgpr_workgroup_id_x 1
		.amdhsa_system_sgpr_workgroup_id_y 1
		.amdhsa_system_sgpr_workgroup_id_z 1
		.amdhsa_system_sgpr_workgroup_info 0
		.amdhsa_system_vgpr_workitem_id 1
		.amdhsa_next_free_vgpr 161
		.amdhsa_next_free_sgpr 56
		.amdhsa_accum_offset 164
		.amdhsa_reserve_vcc 1
		.amdhsa_reserve_flat_scratch 1
		.amdhsa_float_round_mode_32 0
		.amdhsa_float_round_mode_16_64 0
		.amdhsa_float_denorm_mode_32 3
		.amdhsa_float_denorm_mode_16_64 3
		.amdhsa_dx10_clamp 1
		.amdhsa_ieee_mode 1
		.amdhsa_fp16_overflow 0
		.amdhsa_tg_split 0
		.amdhsa_exception_fp_ieee_invalid_op 0
		.amdhsa_exception_fp_denorm_src 0
		.amdhsa_exception_fp_ieee_div_zero 0
		.amdhsa_exception_fp_ieee_overflow 0
		.amdhsa_exception_fp_ieee_underflow 0
		.amdhsa_exception_fp_ieee_inexact 0
		.amdhsa_exception_int_div_zero 0
	.end_amdhsa_kernel
	.section	.text._ZL15flash_attn_tileILi128ELi128ELi8ELi1ELb0EEvPKcS1_S1_S1_S1_PKiPfP15HIP_vector_typeIfLj2EEffffjfiS5_IjLj3EEiiiiiiiiiiiliiliiiiil,"axG",@progbits,_ZL15flash_attn_tileILi128ELi128ELi8ELi1ELb0EEvPKcS1_S1_S1_S1_PKiPfP15HIP_vector_typeIfLj2EEffffjfiS5_IjLj3EEiiiiiiiiiiiliiliiiiil,comdat
.Lfunc_end62:
	.size	_ZL15flash_attn_tileILi128ELi128ELi8ELi1ELb0EEvPKcS1_S1_S1_S1_PKiPfP15HIP_vector_typeIfLj2EEffffjfiS5_IjLj3EEiiiiiiiiiiiliiliiiiil, .Lfunc_end62-_ZL15flash_attn_tileILi128ELi128ELi8ELi1ELb0EEvPKcS1_S1_S1_S1_PKiPfP15HIP_vector_typeIfLj2EEffffjfiS5_IjLj3EEiiiiiiiiiiiliiliiiiil
                                        ; -- End function
	.section	.AMDGPU.csdata,"",@progbits
; Kernel info:
; codeLenInByte = 12280
; NumSgprs: 62
; NumVgprs: 161
; NumAgprs: 0
; TotalNumVgprs: 161
; ScratchSize: 32
; MemoryBound: 0
; FloatMode: 240
; IeeeMode: 1
; LDSByteSize: 20480 bytes/workgroup (compile time only)
; SGPRBlocks: 7
; VGPRBlocks: 20
; NumSGPRsForWavesPerEU: 62
; NumVGPRsForWavesPerEU: 161
; AccumOffset: 164
; Occupancy: 3
; WaveLimiterHint : 1
; COMPUTE_PGM_RSRC2:SCRATCH_EN: 1
; COMPUTE_PGM_RSRC2:USER_SGPR: 8
; COMPUTE_PGM_RSRC2:TRAP_HANDLER: 0
; COMPUTE_PGM_RSRC2:TGID_X_EN: 1
; COMPUTE_PGM_RSRC2:TGID_Y_EN: 1
; COMPUTE_PGM_RSRC2:TGID_Z_EN: 1
; COMPUTE_PGM_RSRC2:TIDIG_COMP_CNT: 1
; COMPUTE_PGM_RSRC3_GFX90A:ACCUM_OFFSET: 40
; COMPUTE_PGM_RSRC3_GFX90A:TG_SPLIT: 0
	.section	.text._ZL33flash_attn_stream_k_fixup_uniformILi128ELi8ELi1EEvPfPK15HIP_vector_typeIfLj2EEiiiiiiS1_IjLj3EES5_S5_,"axG",@progbits,_ZL33flash_attn_stream_k_fixup_uniformILi128ELi8ELi1EEvPfPK15HIP_vector_typeIfLj2EEiiiiiiS1_IjLj3EES5_S5_,comdat
	.globl	_ZL33flash_attn_stream_k_fixup_uniformILi128ELi8ELi1EEvPfPK15HIP_vector_typeIfLj2EEiiiiiiS1_IjLj3EES5_S5_ ; -- Begin function _ZL33flash_attn_stream_k_fixup_uniformILi128ELi8ELi1EEvPfPK15HIP_vector_typeIfLj2EEiiiiiiS1_IjLj3EES5_S5_
	.p2align	8
	.type	_ZL33flash_attn_stream_k_fixup_uniformILi128ELi8ELi1EEvPfPK15HIP_vector_typeIfLj2EEiiiiiiS1_IjLj3EES5_S5_,@function
_ZL33flash_attn_stream_k_fixup_uniformILi128ELi8ELi1EEvPfPK15HIP_vector_typeIfLj2EEiiiiiiS1_IjLj3EES5_S5_: ; @_ZL33flash_attn_stream_k_fixup_uniformILi128ELi8ELi1EEvPfPK15HIP_vector_typeIfLj2EEiiiiiiS1_IjLj3EES5_S5_
; %bb.0:
	s_load_dwordx8 s[12:19], s[4:5], 0x1c
	s_load_dwordx2 s[10:11], s[4:5], 0x10
	s_load_dwordx4 s[0:3], s[4:5], 0x3c
	s_waitcnt lgkmcnt(0)
	s_mul_hi_u32 s9, s15, s6
	s_add_i32 s9, s6, s9
	s_lshr_b32 s9, s9, s16
	s_mul_i32 s15, s9, s17
	s_sub_i32 s15, s6, s15
	s_mul_hi_u32 s16, s15, s18
	s_add_i32 s16, s15, s16
	s_lshr_b32 s16, s16, s19
	s_mul_i32 s0, s16, s0
	s_sub_i32 s0, s15, s0
	s_mul_hi_u32 s1, s0, s1
	s_add_i32 s1, s0, s1
	s_lshr_b32 s15, s1, s2
	s_mul_i32 s1, s15, s3
	s_sub_i32 s17, s0, s1
	s_lshl_b32 s0, s17, 3
	s_add_i32 s0, s0, s7
	s_cmp_lt_i32 s0, s10
	s_cselect_b64 s[0:1], -1, 0
	s_add_i32 s2, s15, s8
	s_cmp_lt_i32 s2, s13
	s_cselect_b64 s[2:3], -1, 0
	s_and_b64 s[0:1], s[0:1], s[2:3]
	s_andn2_b64 vcc, exec, s[0:1]
	s_cbranch_vccnz .LBB63_6
; %bb.1:
	s_load_dwordx4 s[0:3], s[4:5], 0x0
	s_mul_i32 s4, s9, s10
	s_add_i32 s4, s4, s7
	s_mul_i32 s4, s4, s11
	s_mul_i32 s16, s16, s13
	s_add_i32 s4, s4, s8
	s_add_i32 s4, s4, s16
	s_mul_i32 s5, s11, s17
	s_add_i32 s4, s4, s15
	s_lshl_b32 s5, s5, 10
	s_lshl_b32 s4, s4, 7
	s_add_i32 s5, s5, s4
	v_or_b32_e32 v2, s5, v0
	v_ashrrev_i32_e32 v3, 31, v2
	v_lshlrev_b64 v[2:3], 2, v[2:3]
	s_waitcnt lgkmcnt(0)
	v_mov_b32_e32 v1, s1
	v_add_co_u32_e32 v2, vcc, s0, v2
	v_addc_co_u32_e32 v3, vcc, v1, v3, vcc
	global_load_dword v8, v[2:3], off
	s_add_i32 s4, s7, s8
	s_mul_i32 s7, s6, s14
	s_add_i32 s5, s7, s14
	s_lshl_b32 s0, s5, 3
	s_add_i32 s0, s4, s0
	s_add_i32 s0, s0, -8
	s_ashr_i32 s1, s0, 31
	s_lshl_b64 s[0:1], s[0:1], 3
	s_add_u32 s0, s2, s0
	s_addc_u32 s1, s3, s1
	s_load_dword s10, s[0:1], 0x4
	s_add_i32 s8, s5, -2
	s_cmp_lt_i32 s8, s7
	s_cbranch_scc1 .LBB63_4
; %bb.2:
	s_lshl_b32 s8, s12, 5
	s_ashr_i32 s9, s8, 31
	s_lshl_b64 s[8:9], s[8:9], 2
	s_add_u32 s8, s2, s8
	s_addc_u32 s11, s3, s9
	s_add_i32 s6, s6, 1
	s_add_i32 s9, s5, -1
	s_mul_i32 s5, s14, s6
	s_load_dword s0, s[0:1], 0x0
	s_lshl_b32 s1, s4, 7
	s_lshl_b32 s6, s5, 10
	s_add_i32 s1, s1, s6
	v_or_b32_e32 v0, s1, v0
	s_lshl_b32 s1, s5, 3
	s_add_i32 s1, s4, s1
	s_lshl_b32 s4, s12, 3
	s_add_i32 s1, s1, s4
	v_add_u32_e32 v0, 0xfffff800, v0
	s_add_i32 s4, s1, -16
	s_waitcnt lgkmcnt(0)
	v_mov_b32_e32 v7, s10
	v_mov_b32_e32 v6, s0
	;; [unrolled: 1-line block ×3, first 2 shown]
	s_mov_b32 s6, 0x3fb8aa3b
	s_mov_b32 s10, 0xc2ce8ed0
	;; [unrolled: 1-line block ×3, first 2 shown]
	v_mov_b32_e32 v5, 0x7f800000
	s_mov_b32 s12, 0xc1a00000
.LBB63_3:                               ; =>This Inner Loop Header: Depth=1
	v_ashrrev_i32_e32 v1, 31, v0
	v_lshlrev_b64 v[10:11], 2, v[0:1]
	v_add_co_u32_e32 v10, vcc, s8, v10
	v_addc_co_u32_e32 v11, vcc, v4, v11, vcc
	global_load_dword v1, v[10:11], off
	s_ashr_i32 s5, s4, 31
	s_lshl_b64 s[0:1], s[4:5], 3
	s_add_u32 s0, s2, s0
	s_addc_u32 s1, s3, s1
	s_load_dwordx2 s[14:15], s[0:1], 0x0
	s_waitcnt vmcnt(1)
	v_mov_b32_e32 v9, v8
	v_max_f32_e32 v8, v6, v6
	v_mov_b32_e32 v10, v7
	s_add_i32 s9, s9, -1
	s_waitcnt lgkmcnt(0)
	v_max_f32_e64 v7, s14, s14
	v_max_f32_e32 v7, v8, v7
	v_sub_f32_e32 v11, s14, v7
	v_sub_f32_e32 v8, v6, v7
	v_mul_f32_e32 v12, 0x3fb8aa3b, v11
	v_mov_b32_e32 v6, v7
	v_mul_f32_e32 v7, 0x3fb8aa3b, v8
	v_fma_f32 v15, v11, s6, -v12
	v_rndne_f32_e32 v16, v12
	v_fma_f32 v13, v8, s6, -v7
	v_rndne_f32_e32 v14, v7
	v_fmac_f32_e32 v15, 0x32a5705f, v11
	v_sub_f32_e32 v12, v12, v16
	v_fmac_f32_e32 v13, 0x32a5705f, v8
	v_sub_f32_e32 v7, v7, v14
	v_add_f32_e32 v12, v12, v15
	v_cvt_i32_f32_e32 v16, v16
	v_add_f32_e32 v7, v7, v13
	v_exp_f32_e32 v12, v12
	v_cvt_i32_f32_e32 v14, v14
	v_exp_f32_e32 v7, v7
	v_cmp_ngt_f32_e32 vcc, s10, v11
	v_ldexp_f32 v12, v12, v16
	v_cmp_ngt_f32_e64 s[0:1], s10, v8
	v_ldexp_f32 v7, v7, v14
	v_cndmask_b32_e32 v12, 0, v12, vcc
	v_cmp_nlt_f32_e32 vcc, s11, v11
	v_cndmask_b32_e64 v7, 0, v7, s[0:1]
	v_cmp_nlt_f32_e64 s[0:1], s11, v8
	v_cndmask_b32_e32 v12, v5, v12, vcc
	v_cmp_le_f32_e32 vcc, s12, v11
	v_cndmask_b32_e64 v7, v5, v7, s[0:1]
	v_cmp_le_f32_e64 s[0:1], s12, v8
	v_cndmask_b32_e32 v8, 0, v12, vcc
	s_add_i32 s4, s4, -8
	v_cndmask_b32_e64 v11, 0, v7, s[0:1]
	v_mul_f32_e32 v7, s15, v8
	v_add_u32_e32 v0, 0xfffffc00, v0
	s_cmp_le_i32 s9, s7
	v_fmac_f32_e32 v7, v10, v11
	s_waitcnt vmcnt(0)
	v_mul_f32_e32 v8, v1, v8
	v_fmac_f32_e32 v8, v9, v11
	s_cbranch_scc0 .LBB63_3
	s_branch .LBB63_5
.LBB63_4:
	s_waitcnt lgkmcnt(0)
	v_mov_b32_e32 v7, s10
.LBB63_5:
	s_waitcnt vmcnt(0)
	v_div_scale_f32 v0, s[0:1], v7, v7, v8
	v_rcp_f32_e32 v1, v0
	v_div_scale_f32 v4, vcc, v8, v7, v8
	v_fma_f32 v5, -v0, v1, 1.0
	v_fmac_f32_e32 v1, v5, v1
	v_mul_f32_e32 v5, v4, v1
	v_fma_f32 v6, -v0, v5, v4
	v_fmac_f32_e32 v5, v6, v1
	v_fma_f32 v0, -v0, v5, v4
	v_div_fmas_f32 v0, v0, v1, v5
	v_div_fixup_f32 v0, v0, v7, v8
	global_store_dword v[2:3], v0, off
.LBB63_6:
	s_endpgm
	.section	.rodata,"a",@progbits
	.p2align	6, 0x0
	.amdhsa_kernel _ZL33flash_attn_stream_k_fixup_uniformILi128ELi8ELi1EEvPfPK15HIP_vector_typeIfLj2EEiiiiiiS1_IjLj3EES5_S5_
		.amdhsa_group_segment_fixed_size 0
		.amdhsa_private_segment_fixed_size 0
		.amdhsa_kernarg_size 76
		.amdhsa_user_sgpr_count 6
		.amdhsa_user_sgpr_private_segment_buffer 1
		.amdhsa_user_sgpr_dispatch_ptr 0
		.amdhsa_user_sgpr_queue_ptr 0
		.amdhsa_user_sgpr_kernarg_segment_ptr 1
		.amdhsa_user_sgpr_dispatch_id 0
		.amdhsa_user_sgpr_flat_scratch_init 0
		.amdhsa_user_sgpr_kernarg_preload_length 0
		.amdhsa_user_sgpr_kernarg_preload_offset 0
		.amdhsa_user_sgpr_private_segment_size 0
		.amdhsa_uses_dynamic_stack 0
		.amdhsa_system_sgpr_private_segment_wavefront_offset 0
		.amdhsa_system_sgpr_workgroup_id_x 1
		.amdhsa_system_sgpr_workgroup_id_y 1
		.amdhsa_system_sgpr_workgroup_id_z 1
		.amdhsa_system_sgpr_workgroup_info 0
		.amdhsa_system_vgpr_workitem_id 0
		.amdhsa_next_free_vgpr 17
		.amdhsa_next_free_sgpr 20
		.amdhsa_accum_offset 20
		.amdhsa_reserve_vcc 1
		.amdhsa_reserve_flat_scratch 0
		.amdhsa_float_round_mode_32 0
		.amdhsa_float_round_mode_16_64 0
		.amdhsa_float_denorm_mode_32 3
		.amdhsa_float_denorm_mode_16_64 3
		.amdhsa_dx10_clamp 1
		.amdhsa_ieee_mode 1
		.amdhsa_fp16_overflow 0
		.amdhsa_tg_split 0
		.amdhsa_exception_fp_ieee_invalid_op 0
		.amdhsa_exception_fp_denorm_src 0
		.amdhsa_exception_fp_ieee_div_zero 0
		.amdhsa_exception_fp_ieee_overflow 0
		.amdhsa_exception_fp_ieee_underflow 0
		.amdhsa_exception_fp_ieee_inexact 0
		.amdhsa_exception_int_div_zero 0
	.end_amdhsa_kernel
	.section	.text._ZL33flash_attn_stream_k_fixup_uniformILi128ELi8ELi1EEvPfPK15HIP_vector_typeIfLj2EEiiiiiiS1_IjLj3EES5_S5_,"axG",@progbits,_ZL33flash_attn_stream_k_fixup_uniformILi128ELi8ELi1EEvPfPK15HIP_vector_typeIfLj2EEiiiiiiS1_IjLj3EES5_S5_,comdat
.Lfunc_end63:
	.size	_ZL33flash_attn_stream_k_fixup_uniformILi128ELi8ELi1EEvPfPK15HIP_vector_typeIfLj2EEiiiiiiS1_IjLj3EES5_S5_, .Lfunc_end63-_ZL33flash_attn_stream_k_fixup_uniformILi128ELi8ELi1EEvPfPK15HIP_vector_typeIfLj2EEiiiiiiS1_IjLj3EES5_S5_
                                        ; -- End function
	.section	.AMDGPU.csdata,"",@progbits
; Kernel info:
; codeLenInByte = 836
; NumSgprs: 24
; NumVgprs: 17
; NumAgprs: 0
; TotalNumVgprs: 17
; ScratchSize: 0
; MemoryBound: 0
; FloatMode: 240
; IeeeMode: 1
; LDSByteSize: 0 bytes/workgroup (compile time only)
; SGPRBlocks: 2
; VGPRBlocks: 2
; NumSGPRsForWavesPerEU: 24
; NumVGPRsForWavesPerEU: 17
; AccumOffset: 20
; Occupancy: 8
; WaveLimiterHint : 0
; COMPUTE_PGM_RSRC2:SCRATCH_EN: 0
; COMPUTE_PGM_RSRC2:USER_SGPR: 6
; COMPUTE_PGM_RSRC2:TRAP_HANDLER: 0
; COMPUTE_PGM_RSRC2:TGID_X_EN: 1
; COMPUTE_PGM_RSRC2:TGID_Y_EN: 1
; COMPUTE_PGM_RSRC2:TGID_Z_EN: 1
; COMPUTE_PGM_RSRC2:TIDIG_COMP_CNT: 0
; COMPUTE_PGM_RSRC3_GFX90A:ACCUM_OFFSET: 4
; COMPUTE_PGM_RSRC3_GFX90A:TG_SPLIT: 0
	.section	.text._ZL33flash_attn_stream_k_fixup_generalILi128ELi8ELi1EEvPfPK15HIP_vector_typeIfLj2EEiiiiS1_IjLj3EES5_S5_S5_,"axG",@progbits,_ZL33flash_attn_stream_k_fixup_generalILi128ELi8ELi1EEvPfPK15HIP_vector_typeIfLj2EEiiiiS1_IjLj3EES5_S5_S5_,comdat
	.globl	_ZL33flash_attn_stream_k_fixup_generalILi128ELi8ELi1EEvPfPK15HIP_vector_typeIfLj2EEiiiiS1_IjLj3EES5_S5_S5_ ; -- Begin function _ZL33flash_attn_stream_k_fixup_generalILi128ELi8ELi1EEvPfPK15HIP_vector_typeIfLj2EEiiiiS1_IjLj3EES5_S5_S5_
	.p2align	8
	.type	_ZL33flash_attn_stream_k_fixup_generalILi128ELi8ELi1EEvPfPK15HIP_vector_typeIfLj2EEiiiiS1_IjLj3EES5_S5_S5_,@function
_ZL33flash_attn_stream_k_fixup_generalILi128ELi8ELi1EEvPfPK15HIP_vector_typeIfLj2EEiiiiS1_IjLj3EES5_S5_S5_: ; @_ZL33flash_attn_stream_k_fixup_generalILi128ELi8ELi1EEvPfPK15HIP_vector_typeIfLj2EEiiiiS1_IjLj3EES5_S5_S5_
; %bb.0:
	s_load_dwordx4 s[12:15], s[4:5], 0x10
	s_load_dword s9, s[4:5], 0x50
	s_mov_b32 s2, 0
	s_waitcnt lgkmcnt(0)
	s_mul_hi_i32 s3, s15, s6
	s_cmp_lg_u64 s[2:3], 0
	s_mul_i32 s2, s15, s6
	s_cbranch_scc0 .LBB64_21
; %bb.1:
	v_cvt_f32_u32_e32 v1, s9
	v_cvt_f32_ubyte0_e32 v2, 0
	s_sub_u32 s10, 0, s9
	s_subb_u32 s11, 0, 0
	v_madmk_f32 v1, v2, 0x4f800000, v1
	v_rcp_f32_e32 v1, v1
	v_mul_f32_e32 v1, 0x5f7ffffc, v1
	v_mul_f32_e32 v2, 0x2f800000, v1
	v_trunc_f32_e32 v2, v2
	v_madmk_f32 v1, v2, 0xcf800000, v1
	v_cvt_u32_f32_e32 v2, v2
	v_cvt_u32_f32_e32 v1, v1
	v_readfirstlane_b32 s16, v2
	v_readfirstlane_b32 s17, v1
	s_mul_i32 s18, s10, s16
	s_mul_hi_u32 s20, s10, s17
	s_mul_i32 s19, s11, s17
	s_add_i32 s18, s20, s18
	s_add_i32 s18, s18, s19
	s_mul_i32 s21, s10, s17
	s_mul_hi_u32 s19, s17, s18
	s_mul_i32 s20, s17, s18
	s_mul_hi_u32 s17, s17, s21
	s_add_u32 s17, s17, s20
	s_addc_u32 s19, 0, s19
	s_mul_hi_u32 s22, s16, s21
	s_mul_i32 s21, s16, s21
	s_add_u32 s17, s17, s21
	s_mul_hi_u32 s20, s16, s18
	s_addc_u32 s17, s19, s22
	s_addc_u32 s19, s20, 0
	s_mul_i32 s18, s16, s18
	s_add_u32 s17, s17, s18
	s_addc_u32 s18, 0, s19
	v_add_co_u32_e32 v1, vcc, s17, v1
	s_cmp_lg_u64 vcc, 0
	s_addc_u32 s16, s16, s18
	v_readfirstlane_b32 s18, v1
	s_mul_i32 s17, s10, s16
	s_mul_hi_u32 s19, s10, s18
	s_add_i32 s17, s19, s17
	s_mul_i32 s11, s11, s18
	s_add_i32 s17, s17, s11
	s_mul_i32 s10, s10, s18
	s_mul_hi_u32 s19, s16, s10
	s_mul_i32 s20, s16, s10
	s_mul_i32 s22, s18, s17
	s_mul_hi_u32 s10, s18, s10
	s_mul_hi_u32 s21, s18, s17
	s_add_u32 s10, s10, s22
	s_addc_u32 s18, 0, s21
	s_add_u32 s10, s10, s20
	s_mul_hi_u32 s11, s16, s17
	s_addc_u32 s10, s18, s19
	s_addc_u32 s11, s11, 0
	s_mul_i32 s17, s16, s17
	s_add_u32 s10, s10, s17
	s_addc_u32 s11, 0, s11
	v_add_co_u32_e32 v1, vcc, s10, v1
	s_cmp_lg_u64 vcc, 0
	s_addc_u32 s18, s16, s11
	s_ashr_i32 s10, s3, 31
	s_add_u32 s16, s2, s10
	s_mov_b32 s11, s10
	s_addc_u32 s17, s3, s10
	s_xor_b64 s[16:17], s[16:17], s[10:11]
	v_readfirstlane_b32 s20, v1
	s_mul_i32 s19, s16, s18
	s_mul_hi_u32 s21, s16, s20
	s_mul_hi_u32 s3, s16, s18
	s_add_u32 s19, s21, s19
	s_addc_u32 s3, 0, s3
	s_mul_hi_u32 s22, s17, s20
	s_mul_i32 s20, s17, s20
	s_add_u32 s19, s19, s20
	s_mul_hi_u32 s21, s17, s18
	s_addc_u32 s3, s3, s22
	s_addc_u32 s19, s21, 0
	s_mul_i32 s18, s17, s18
	s_add_u32 s3, s3, s18
	s_addc_u32 s18, 0, s19
	s_add_u32 s19, s3, 1
	s_addc_u32 s20, s18, 0
	s_add_u32 s21, s3, 2
	s_mul_i32 s23, s9, s18
	s_mul_hi_u32 s24, s9, s3
	s_addc_u32 s22, s18, 0
	s_add_i32 s24, s24, s23
	s_mul_i32 s23, s9, s3
	v_mov_b32_e32 v1, s23
	v_sub_co_u32_e32 v1, vcc, s16, v1
	s_cmp_lg_u64 vcc, 0
	s_subb_u32 s16, s17, s24
	v_subrev_co_u32_e32 v2, vcc, s9, v1
	s_cmp_lg_u64 vcc, 0
	s_subb_u32 s17, s16, 0
	v_readfirstlane_b32 s23, v2
	s_cmp_ge_u32 s23, s9
	s_cselect_b32 s23, -1, 0
	s_cmp_eq_u32 s17, 0
	s_cselect_b32 s17, s23, -1
	s_cmp_lg_u32 s17, 0
	s_cselect_b32 s17, s22, s20
	v_readfirstlane_b32 s20, v1
	s_cselect_b32 s19, s21, s19
	s_cmp_ge_u32 s20, s9
	s_cselect_b32 s20, -1, 0
	s_cmp_eq_u32 s16, 0
	s_cselect_b32 s16, s20, -1
	s_cmp_lg_u32 s16, 0
	s_cselect_b32 s17, s17, s18
	s_cselect_b32 s16, s19, s3
	s_xor_b64 s[16:17], s[16:17], s[10:11]
	s_sub_u32 s20, s16, s10
	s_load_dwordx4 s[16:19], s[4:5], 0x44
	s_cbranch_execnz .LBB64_3
.LBB64_2:
	v_cvt_f32_u32_e32 v1, s9
	s_sub_i32 s0, 0, s9
	v_rcp_iflag_f32_e32 v1, v1
	v_mul_f32_e32 v1, 0x4f7ffffe, v1
	v_cvt_u32_f32_e32 v1, v1
	v_readfirstlane_b32 s1, v1
	s_mul_i32 s0, s0, s1
	s_mul_hi_u32 s0, s1, s0
	s_add_i32 s1, s1, s0
	s_mul_hi_u32 s0, s2, s1
	s_mul_i32 s3, s0, s9
	s_sub_i32 s2, s2, s3
	s_add_i32 s1, s0, 1
	s_sub_i32 s3, s2, s9
	s_cmp_ge_u32 s2, s9
	s_cselect_b32 s0, s1, s0
	s_cselect_b32 s2, s3, s2
	s_add_i32 s1, s0, 1
	s_cmp_ge_u32 s2, s9
	s_cselect_b32 s20, s1, s0
.LBB64_3:
	s_add_i32 s0, s6, 1
	s_mul_hi_i32 s3, s15, s0
	s_mov_b32 s2, 0
	s_cmp_lg_u64 s[2:3], 0
	s_mul_i32 s2, s15, s0
	s_cbranch_scc0 .LBB64_22
; %bb.4:
	v_cvt_f32_u32_e32 v1, s9
	v_cvt_f32_ubyte0_e32 v2, 0
	s_sub_u32 s10, 0, s9
	s_subb_u32 s11, 0, 0
	v_madmk_f32 v1, v2, 0x4f800000, v1
	v_rcp_f32_e32 v1, v1
	v_mul_f32_e32 v1, 0x5f7ffffc, v1
	v_mul_f32_e32 v2, 0x2f800000, v1
	v_trunc_f32_e32 v2, v2
	v_madmk_f32 v1, v2, 0xcf800000, v1
	v_cvt_u32_f32_e32 v2, v2
	v_cvt_u32_f32_e32 v1, v1
	s_waitcnt lgkmcnt(0)
	v_readfirstlane_b32 s19, v2
	v_readfirstlane_b32 s21, v1
	s_mul_i32 s22, s10, s19
	s_mul_hi_u32 s24, s10, s21
	s_mul_i32 s23, s11, s21
	s_add_i32 s22, s24, s22
	s_add_i32 s22, s22, s23
	s_mul_i32 s25, s10, s21
	s_mul_hi_u32 s23, s21, s22
	s_mul_i32 s24, s21, s22
	s_mul_hi_u32 s21, s21, s25
	s_add_u32 s21, s21, s24
	s_addc_u32 s23, 0, s23
	s_mul_hi_u32 s26, s19, s25
	s_mul_i32 s25, s19, s25
	s_add_u32 s21, s21, s25
	s_mul_hi_u32 s24, s19, s22
	s_addc_u32 s21, s23, s26
	s_addc_u32 s23, s24, 0
	s_mul_i32 s22, s19, s22
	s_add_u32 s21, s21, s22
	s_addc_u32 s22, 0, s23
	v_add_co_u32_e32 v1, vcc, s21, v1
	s_cmp_lg_u64 vcc, 0
	s_addc_u32 s19, s19, s22
	v_readfirstlane_b32 s22, v1
	s_mul_i32 s21, s10, s19
	s_mul_hi_u32 s23, s10, s22
	s_add_i32 s21, s23, s21
	s_mul_i32 s11, s11, s22
	s_add_i32 s21, s21, s11
	s_mul_i32 s10, s10, s22
	s_mul_hi_u32 s23, s19, s10
	s_mul_i32 s24, s19, s10
	s_mul_i32 s26, s22, s21
	s_mul_hi_u32 s10, s22, s10
	s_mul_hi_u32 s25, s22, s21
	s_add_u32 s10, s10, s26
	s_addc_u32 s22, 0, s25
	s_add_u32 s10, s10, s24
	s_mul_hi_u32 s11, s19, s21
	s_addc_u32 s10, s22, s23
	s_addc_u32 s11, s11, 0
	s_mul_i32 s21, s19, s21
	s_add_u32 s10, s10, s21
	s_addc_u32 s11, 0, s11
	v_add_co_u32_e32 v1, vcc, s10, v1
	s_cmp_lg_u64 vcc, 0
	s_addc_u32 s19, s19, s11
	s_ashr_i32 s10, s3, 31
	s_add_u32 s22, s2, s10
	s_mov_b32 s11, s10
	s_addc_u32 s23, s3, s10
	s_xor_b64 s[22:23], s[22:23], s[10:11]
	v_readfirstlane_b32 s21, v1
	s_mul_i32 s11, s22, s19
	s_mul_hi_u32 s24, s22, s21
	s_mul_hi_u32 s3, s22, s19
	s_add_u32 s11, s24, s11
	s_addc_u32 s3, 0, s3
	s_mul_hi_u32 s25, s23, s21
	s_mul_i32 s21, s23, s21
	s_add_u32 s11, s11, s21
	s_mul_hi_u32 s24, s23, s19
	s_addc_u32 s3, s3, s25
	s_addc_u32 s11, s24, 0
	s_mul_i32 s19, s23, s19
	s_add_u32 s3, s3, s19
	s_addc_u32 s11, 0, s11
	s_mul_i32 s11, s9, s11
	s_mul_hi_u32 s24, s9, s3
	s_add_i32 s24, s24, s11
	s_mul_i32 s11, s9, s3
	v_mov_b32_e32 v1, s11
	s_add_u32 s19, s3, 1
	s_add_u32 s21, s3, 2
	v_sub_co_u32_e32 v1, vcc, s22, v1
	s_cmp_lg_u64 vcc, 0
	s_subb_u32 s11, s23, s24
	v_subrev_co_u32_e32 v2, vcc, s9, v1
	s_cmp_lg_u64 vcc, 0
	s_subb_u32 s22, s11, 0
	v_cmp_le_u32_e32 vcc, s9, v2
	s_cmp_eq_u32 s22, 0
	v_cndmask_b32_e64 v2, 0, -1, vcc
	s_cselect_b64 vcc, -1, 0
	v_cndmask_b32_e32 v2, -1, v2, vcc
	v_mov_b32_e32 v3, s19
	v_mov_b32_e32 v4, s21
	v_cmp_ne_u32_e32 vcc, 0, v2
	v_cndmask_b32_e32 v2, v3, v4, vcc
	v_cmp_le_u32_e32 vcc, s9, v1
	s_cmp_eq_u32 s11, 0
	v_cndmask_b32_e64 v1, 0, -1, vcc
	s_cselect_b64 vcc, -1, 0
	v_cndmask_b32_e32 v1, -1, v1, vcc
	v_mov_b32_e32 v3, s3
	v_cmp_ne_u32_e32 vcc, 0, v1
	v_cndmask_b32_e32 v1, v3, v2, vcc
	v_xor_b32_e32 v1, s10, v1
	v_subrev_co_u32_e32 v2, vcc, s10, v1
	s_cbranch_execnz .LBB64_6
.LBB64_5:
	v_cvt_f32_u32_e32 v1, s9
	s_sub_i32 s0, 0, s9
	s_mov_b32 s1, 0
	v_rcp_iflag_f32_e32 v1, v1
	v_mul_f32_e32 v1, 0x4f7ffffe, v1
	v_cvt_u32_f32_e32 v1, v1
	v_readfirstlane_b32 s3, v1
	s_mul_i32 s0, s0, s3
	s_mul_hi_u32 s0, s3, s0
	s_add_i32 s3, s3, s0
	s_mul_hi_u32 s0, s2, s3
	s_mul_i32 s10, s0, s9
	s_sub_i32 s2, s2, s10
	s_add_i32 s3, s0, 1
	s_sub_i32 s10, s2, s9
	s_cmp_ge_u32 s2, s9
	s_cselect_b32 s0, s3, s0
	s_cselect_b32 s2, s10, s2
	s_add_i32 s3, s0, 1
	s_cmp_ge_u32 s2, s9
	s_cselect_b32 s0, s3, s0
	v_pk_mov_b32 v[2:3], s[0:1], s[0:1] op_sel:[0,1]
.LBB64_6:
	s_waitcnt lgkmcnt(0)
	s_mul_hi_u32 s0, s20, s16
	s_add_i32 s0, s0, s20
	v_mul_hi_u32 v1, v2, s16
	s_lshr_b32 s19, s0, s17
	v_add_u32_e32 v1, v1, v2
	s_mul_i32 s0, s19, s18
	v_lshrrev_b32_e32 v1, s17, v1
	s_cmp_eq_u32 s0, s20
	v_cmp_eq_u32_e64 s[0:1], s19, v1
	v_mul_lo_u32 v1, v1, s18
	v_cmp_eq_u32_e32 vcc, s20, v2
	s_cselect_b64 s[10:11], -1, 0
	v_cmp_ne_u32_e64 s[2:3], v1, v2
	s_and_b64 s[0:1], s[0:1], s[2:3]
	s_or_b64 s[2:3], vcc, s[10:11]
	s_or_b64 s[0:1], s[2:3], s[0:1]
	s_and_b64 vcc, exec, s[0:1]
	s_cbranch_vccnz .LBB64_24
; %bb.7:
	s_load_dwordx8 s[24:31], s[4:5], 0x20
	s_load_dword s0, s[4:5], 0x40
	s_mov_b32 s10, 0
	s_waitcnt lgkmcnt(0)
	s_mul_hi_u32 s1, s20, s24
	s_add_i32 s1, s1, s20
	s_lshr_b32 s11, s1, s25
	s_mul_i32 s1, s11, s26
	s_sub_i32 s1, s20, s1
	s_mul_hi_u32 s2, s1, s27
	s_add_i32 s2, s1, s2
	s_lshr_b32 s25, s2, s28
	s_mul_i32 s2, s25, s29
	s_sub_i32 s1, s1, s2
	;; [unrolled: 5-line block ×3, first 2 shown]
	s_mul_hi_u32 s1, s0, s16
	s_add_i32 s0, s0, s1
	s_lshr_b32 s26, s0, s17
	s_lshl_b32 s0, s26, 3
	s_add_i32 s0, s0, s7
	s_cmp_lt_i32 s0, s12
	s_cselect_b64 s[0:1], -1, 0
	s_add_i32 s2, s24, s8
	s_cmp_lt_i32 s2, s14
	s_cselect_b64 s[2:3], -1, 0
	s_and_b64 s[0:1], s[0:1], s[2:3]
	s_andn2_b64 vcc, exec, s[0:1]
	s_cbranch_vccnz .LBB64_24
; %bb.8:
	s_load_dwordx4 s[0:3], s[4:5], 0x0
	s_lshl_b32 s4, s9, 5
	s_mov_b32 s5, s10
	s_add_i32 s21, s7, s8
	s_lshl_b64 s[4:5], s[4:5], 2
	s_waitcnt lgkmcnt(0)
	s_add_u32 s22, s2, s4
	s_mul_i32 s4, s11, s12
	s_addc_u32 s23, s3, s5
	s_add_i32 s4, s4, s7
	s_mul_i32 s4, s4, s13
	s_mul_i32 s25, s25, s14
	s_add_i32 s4, s4, s8
	s_add_i32 s4, s4, s25
	s_mul_i32 s5, s13, s26
	s_add_i32 s4, s4, s24
	s_lshl_b32 s5, s5, 10
	s_lshl_b32 s4, s4, 7
	s_add_i32 s5, s5, s4
	v_or_b32_e32 v2, s5, v0
	v_ashrrev_i32_e32 v3, 31, v2
	v_lshlrev_b64 v[2:3], 2, v[2:3]
	v_mov_b32_e32 v1, s1
	v_add_co_u32_e32 v2, vcc, s0, v2
	v_addc_co_u32_e32 v3, vcc, v1, v3, vcc
	global_load_dword v5, v[2:3], off
	v_lshl_or_b32 v4, s21, 7, v0
	v_cvt_f32_u32_e32 v0, s9
	v_cvt_f32_ubyte0_e32 v1, 0
	s_lshl_b32 s0, s6, 3
	s_add_i32 s0, s0, s21
	v_mac_f32_e32 v0, 0x4f800000, v1
	v_rcp_f32_e32 v0, v0
	v_cvt_f32_u32_e32 v1, s9
	s_ashr_i32 s1, s0, 31
	s_lshl_b64 s[0:1], s[0:1], 3
	v_mul_f32_e32 v0, 0x5f7ffffc, v0
	v_rcp_iflag_f32_e32 v1, v1
	s_add_u32 s0, s2, s0
	v_mul_f32_e32 v9, 0x2f800000, v0
	s_addc_u32 s1, s3, s1
	v_trunc_f32_e32 v10, v9
	s_load_dwordx2 s[0:1], s[0:1], 0x0
	v_mac_f32_e32 v0, 0xcf800000, v10
	v_cvt_u32_f32_e32 v9, v0
	v_mul_f32_e32 v0, 0x4f7ffffe, v1
	v_cvt_u32_f32_e32 v10, v10
	v_cvt_u32_f32_e32 v11, v0
	s_add_i32 s8, s6, -1
	s_waitcnt lgkmcnt(0)
	v_mov_b32_e32 v6, s1
	v_mov_b32_e32 v7, s0
	;; [unrolled: 1-line block ×3, first 2 shown]
	s_mov_b32 s6, 0x3fb8aa3b
	s_mov_b32 s7, 0xc2ce8ed0
	;; [unrolled: 1-line block ×4, first 2 shown]
	v_mov_b32_e32 v12, 0x7f800000
	s_mul_hi_i32 s11, s8, s15
	s_cmp_lg_u64 s[10:11], 0
	s_mul_i32 s4, s8, s15
	s_cbranch_scc0 .LBB64_15
.LBB64_9:
	s_sub_u32 s0, 0, s9
	v_readfirstlane_b32 s5, v9
	v_readfirstlane_b32 s24, v10
	s_subb_u32 s1, 0, 0
	s_mul_hi_u32 s20, s0, s5
	s_mul_i32 s25, s0, s24
	s_mul_i32 s14, s1, s5
	s_add_i32 s20, s20, s25
	s_add_i32 s20, s20, s14
	s_mul_i32 s26, s0, s5
	s_mul_hi_u32 s14, s5, s20
	s_mul_i32 s25, s5, s20
	s_mul_hi_u32 s5, s5, s26
	s_add_u32 s5, s5, s25
	s_addc_u32 s14, 0, s14
	s_mul_hi_u32 s27, s24, s26
	s_mul_i32 s26, s24, s26
	s_add_u32 s5, s5, s26
	s_mul_hi_u32 s25, s24, s20
	s_addc_u32 s5, s14, s27
	s_addc_u32 s14, s25, 0
	s_mul_i32 s20, s24, s20
	s_add_u32 s5, s5, s20
	s_addc_u32 s14, 0, s14
	v_add_co_u32_e32 v0, vcc, s5, v9
	s_cmp_lg_u64 vcc, 0
	s_addc_u32 s5, s24, s14
	v_readfirstlane_b32 s20, v0
	s_mul_i32 s14, s0, s5
	s_mul_hi_u32 s24, s0, s20
	s_add_i32 s14, s24, s14
	s_mul_i32 s1, s1, s20
	s_add_i32 s14, s14, s1
	s_mul_i32 s0, s0, s20
	s_mul_hi_u32 s24, s5, s0
	s_mul_i32 s25, s5, s0
	s_mul_i32 s27, s20, s14
	s_mul_hi_u32 s0, s20, s0
	s_mul_hi_u32 s26, s20, s14
	s_add_u32 s0, s0, s27
	s_addc_u32 s20, 0, s26
	s_add_u32 s0, s0, s25
	s_mul_hi_u32 s1, s5, s14
	s_addc_u32 s0, s20, s24
	s_addc_u32 s1, s1, 0
	s_mul_i32 s14, s5, s14
	s_add_u32 s0, s0, s14
	s_addc_u32 s1, 0, s1
	v_add_co_u32_e32 v0, vcc, s0, v0
	s_cmp_lg_u64 vcc, 0
	s_addc_u32 s5, s5, s1
	s_ashr_i32 s0, s11, 31
	s_add_u32 s24, s4, s0
	s_mov_b32 s1, s0
	s_addc_u32 s25, s11, s0
	s_xor_b64 s[24:25], s[24:25], s[0:1]
	v_readfirstlane_b32 s14, v0
	s_mul_i32 s11, s24, s5
	s_mul_hi_u32 s20, s24, s14
	s_mul_hi_u32 s1, s24, s5
	s_add_u32 s11, s20, s11
	s_addc_u32 s1, 0, s1
	s_mul_hi_u32 s26, s25, s14
	s_mul_i32 s14, s25, s14
	s_add_u32 s11, s11, s14
	s_mul_hi_u32 s20, s25, s5
	s_addc_u32 s1, s1, s26
	s_addc_u32 s11, s20, 0
	s_mul_i32 s5, s25, s5
	s_add_u32 s1, s1, s5
	s_addc_u32 s5, 0, s11
	s_mul_i32 s5, s9, s5
	s_mul_hi_u32 s20, s9, s1
	s_add_i32 s20, s20, s5
	s_mul_i32 s5, s9, s1
	v_mov_b32_e32 v0, s5
	s_add_u32 s11, s1, 1
	s_add_u32 s14, s1, 2
	v_sub_co_u32_e32 v0, vcc, s24, v0
	s_cmp_lg_u64 vcc, 0
	s_subb_u32 s5, s25, s20
	v_subrev_co_u32_e32 v1, vcc, s9, v0
	s_cmp_lg_u64 vcc, 0
	s_subb_u32 s20, s5, 0
	v_cmp_le_u32_e32 vcc, s9, v1
	s_cmp_eq_u32 s20, 0
	v_cndmask_b32_e64 v1, 0, -1, vcc
	s_cselect_b64 vcc, -1, 0
	v_cndmask_b32_e32 v1, -1, v1, vcc
	v_mov_b32_e32 v13, s11
	v_mov_b32_e32 v14, s14
	v_cmp_ne_u32_e32 vcc, 0, v1
	v_cndmask_b32_e32 v1, v13, v14, vcc
	v_cmp_le_u32_e32 vcc, s9, v0
	s_cmp_eq_u32 s5, 0
	v_cndmask_b32_e64 v0, 0, -1, vcc
	s_cselect_b64 vcc, -1, 0
	v_cndmask_b32_e32 v0, -1, v0, vcc
	v_mov_b32_e32 v13, s1
	v_cmp_ne_u32_e32 vcc, 0, v0
	v_cndmask_b32_e32 v0, v13, v1, vcc
	v_xor_b32_e32 v0, s0, v0
	v_subrev_co_u32_e32 v0, vcc, s0, v0
	s_cbranch_execnz .LBB64_11
.LBB64_10:
	s_sub_i32 s0, 0, s9
	v_mul_lo_u32 v0, s0, v11
	v_mul_hi_u32 v0, v11, v0
	v_add_u32_e32 v0, v11, v0
	v_mul_hi_u32 v0, s4, v0
	v_mul_lo_u32 v13, v0, s9
	v_sub_u32_e32 v13, s4, v13
	v_add_u32_e32 v1, 1, v0
	v_subrev_u32_e32 v14, s9, v13
	v_cmp_le_u32_e32 vcc, s9, v13
	v_cndmask_b32_e32 v13, v13, v14, vcc
	v_cndmask_b32_e32 v0, v0, v1, vcc
	v_add_u32_e32 v1, 1, v0
	v_cmp_le_u32_e32 vcc, s9, v13
	v_cndmask_b32_e32 v0, v0, v1, vcc
.LBB64_11:
	v_cmp_ne_u32_e32 vcc, v8, v0
	s_cbranch_vccz .LBB64_14
; %bb.12:
	s_add_i32 s0, s8, s9
	s_lshl_b32 s0, s0, 3
	v_mul_hi_u32 v1, v0, s16
	s_add_i32 s0, s0, s21
	s_mov_b32 s1, s10
	v_add_u32_e32 v1, v1, v0
	s_lshl_b64 s[0:1], s[0:1], 3
	v_lshrrev_b32_e32 v1, s17, v1
	s_add_u32 s4, s2, s0
	v_mul_lo_u32 v13, v1, s18
	s_addc_u32 s5, s3, s1
	v_cmp_eq_u32_e32 vcc, v13, v0
	v_cmp_gt_u32_e64 s[0:1], s19, v1
	s_or_b64 s[0:1], s[0:1], vcc
	s_and_b64 vcc, exec, s[0:1]
	s_cbranch_vccnz .LBB64_16
; %bb.13:
	s_add_i32 s11, s8, -1
	s_mov_b64 s[0:1], 0
	s_branch .LBB64_17
.LBB64_14:
                                        ; implicit-def: $sgpr0_sgpr1
                                        ; implicit-def: $vgpr14
                                        ; implicit-def: $vgpr1
                                        ; implicit-def: $vgpr13
                                        ; implicit-def: $sgpr11
                                        ; implicit-def: $vgpr0
	s_branch .LBB64_18
.LBB64_15:
                                        ; implicit-def: $vgpr0_vgpr1
	s_branch .LBB64_10
.LBB64_16:
	s_mov_b64 s[0:1], -1
	s_mov_b32 s11, s8
	v_mov_b32_e32 v0, v8
.LBB64_17:
	v_lshl_add_u32 v14, s8, 10, v4
	v_ashrrev_i32_e32 v15, 31, v14
	v_lshlrev_b64 v[14:15], 2, v[14:15]
	v_mov_b32_e32 v1, s23
	v_add_co_u32_e32 v14, vcc, s22, v14
	v_addc_co_u32_e32 v15, vcc, v1, v15, vcc
	global_load_dword v14, v[14:15], off
	s_load_dwordx2 s[4:5], s[4:5], 0x0
	v_max_f32_e32 v1, v7, v7
	s_waitcnt lgkmcnt(0)
	v_max_f32_e64 v13, s4, s4
	v_max_f32_e32 v1, v1, v13
	v_sub_f32_e32 v13, v7, v1
	v_sub_f32_e32 v15, s4, v1
	v_mul_f32_e32 v16, 0x3fb8aa3b, v13
	v_mul_f32_e32 v17, 0x3fb8aa3b, v15
	v_fma_f32 v18, v13, s6, -v16
	v_rndne_f32_e32 v19, v16
	v_fma_f32 v20, v15, s6, -v17
	v_rndne_f32_e32 v21, v17
	v_fmac_f32_e32 v18, 0x32a5705f, v13
	v_sub_f32_e32 v16, v16, v19
	v_fmac_f32_e32 v20, 0x32a5705f, v15
	v_sub_f32_e32 v17, v17, v21
	v_add_f32_e32 v16, v16, v18
	v_cvt_i32_f32_e32 v19, v19
	v_add_f32_e32 v17, v17, v20
	v_exp_f32_e32 v16, v16
	v_cvt_i32_f32_e32 v21, v21
	v_exp_f32_e32 v17, v17
	v_cmp_ngt_f32_e32 vcc, s7, v13
	v_ldexp_f32 v16, v16, v19
	v_cndmask_b32_e32 v16, 0, v16, vcc
	v_ldexp_f32 v17, v17, v21
	v_cmp_ngt_f32_e32 vcc, s7, v15
	v_cndmask_b32_e32 v17, 0, v17, vcc
	v_cmp_nlt_f32_e32 vcc, s12, v13
	v_cndmask_b32_e32 v16, v12, v16, vcc
	v_cmp_nlt_f32_e32 vcc, s12, v15
	v_cndmask_b32_e32 v17, v12, v17, vcc
	v_cmp_le_f32_e32 vcc, s13, v13
	v_cndmask_b32_e32 v16, 0, v16, vcc
	v_cmp_le_f32_e32 vcc, s13, v15
	v_cndmask_b32_e32 v15, 0, v17, vcc
	v_mul_f32_e32 v13, s5, v15
	v_fmac_f32_e32 v13, v6, v16
	s_waitcnt vmcnt(0)
	v_mul_f32_e32 v14, v14, v15
	v_fmac_f32_e32 v14, v5, v16
	s_cbranch_execnz .LBB64_19
.LBB64_18:
	s_add_i32 s11, s8, -1
	s_mov_b64 s[0:1], 0
	v_mov_b32_e32 v0, v8
	v_mov_b32_e32 v13, v6
	;; [unrolled: 1-line block ×3, first 2 shown]
	s_waitcnt vmcnt(0)
	v_mov_b32_e32 v14, v5
.LBB64_19:
	s_andn2_b64 vcc, exec, s[0:1]
	s_cbranch_vccz .LBB64_23
; %bb.20:
	v_mov_b32_e32 v8, v0
	s_mov_b32 s8, s11
	v_mov_b32_e32 v6, v13
	v_mov_b32_e32 v7, v1
	s_waitcnt vmcnt(0)
	v_mov_b32_e32 v5, v14
	s_mul_hi_i32 s11, s8, s15
	s_cmp_lg_u64 s[10:11], 0
	s_mul_i32 s4, s8, s15
	s_cbranch_scc1 .LBB64_9
	s_branch .LBB64_15
.LBB64_21:
                                        ; implicit-def: $sgpr20_sgpr21
	s_load_dwordx4 s[16:19], s[4:5], 0x44
	s_branch .LBB64_2
.LBB64_22:
                                        ; implicit-def: $vgpr2_vgpr3
	s_branch .LBB64_5
.LBB64_23:
	v_div_scale_f32 v0, s[0:1], v13, v13, v14
	v_rcp_f32_e32 v1, v0
	v_div_scale_f32 v4, vcc, v14, v13, v14
	s_waitcnt vmcnt(0)
	v_fma_f32 v5, -v0, v1, 1.0
	v_fmac_f32_e32 v1, v5, v1
	v_mul_f32_e32 v5, v4, v1
	v_fma_f32 v6, -v0, v5, v4
	v_fmac_f32_e32 v5, v6, v1
	v_fma_f32 v0, -v0, v5, v4
	v_div_fmas_f32 v0, v0, v1, v5
	v_div_fixup_f32 v0, v0, v13, v14
	global_store_dword v[2:3], v0, off
.LBB64_24:
	s_endpgm
	.section	.rodata,"a",@progbits
	.p2align	6, 0x0
	.amdhsa_kernel _ZL33flash_attn_stream_k_fixup_generalILi128ELi8ELi1EEvPfPK15HIP_vector_typeIfLj2EEiiiiS1_IjLj3EES5_S5_S5_
		.amdhsa_group_segment_fixed_size 0
		.amdhsa_private_segment_fixed_size 0
		.amdhsa_kernarg_size 336
		.amdhsa_user_sgpr_count 6
		.amdhsa_user_sgpr_private_segment_buffer 1
		.amdhsa_user_sgpr_dispatch_ptr 0
		.amdhsa_user_sgpr_queue_ptr 0
		.amdhsa_user_sgpr_kernarg_segment_ptr 1
		.amdhsa_user_sgpr_dispatch_id 0
		.amdhsa_user_sgpr_flat_scratch_init 0
		.amdhsa_user_sgpr_kernarg_preload_length 0
		.amdhsa_user_sgpr_kernarg_preload_offset 0
		.amdhsa_user_sgpr_private_segment_size 0
		.amdhsa_uses_dynamic_stack 0
		.amdhsa_system_sgpr_private_segment_wavefront_offset 0
		.amdhsa_system_sgpr_workgroup_id_x 1
		.amdhsa_system_sgpr_workgroup_id_y 1
		.amdhsa_system_sgpr_workgroup_id_z 1
		.amdhsa_system_sgpr_workgroup_info 0
		.amdhsa_system_vgpr_workitem_id 0
		.amdhsa_next_free_vgpr 22
		.amdhsa_next_free_sgpr 32
		.amdhsa_accum_offset 24
		.amdhsa_reserve_vcc 1
		.amdhsa_reserve_flat_scratch 0
		.amdhsa_float_round_mode_32 0
		.amdhsa_float_round_mode_16_64 0
		.amdhsa_float_denorm_mode_32 3
		.amdhsa_float_denorm_mode_16_64 3
		.amdhsa_dx10_clamp 1
		.amdhsa_ieee_mode 1
		.amdhsa_fp16_overflow 0
		.amdhsa_tg_split 0
		.amdhsa_exception_fp_ieee_invalid_op 0
		.amdhsa_exception_fp_denorm_src 0
		.amdhsa_exception_fp_ieee_div_zero 0
		.amdhsa_exception_fp_ieee_overflow 0
		.amdhsa_exception_fp_ieee_underflow 0
		.amdhsa_exception_fp_ieee_inexact 0
		.amdhsa_exception_int_div_zero 0
	.end_amdhsa_kernel
	.section	.text._ZL33flash_attn_stream_k_fixup_generalILi128ELi8ELi1EEvPfPK15HIP_vector_typeIfLj2EEiiiiS1_IjLj3EES5_S5_S5_,"axG",@progbits,_ZL33flash_attn_stream_k_fixup_generalILi128ELi8ELi1EEvPfPK15HIP_vector_typeIfLj2EEiiiiS1_IjLj3EES5_S5_S5_,comdat
.Lfunc_end64:
	.size	_ZL33flash_attn_stream_k_fixup_generalILi128ELi8ELi1EEvPfPK15HIP_vector_typeIfLj2EEiiiiS1_IjLj3EES5_S5_S5_, .Lfunc_end64-_ZL33flash_attn_stream_k_fixup_generalILi128ELi8ELi1EEvPfPK15HIP_vector_typeIfLj2EEiiiiS1_IjLj3EES5_S5_S5_
                                        ; -- End function
	.section	.AMDGPU.csdata,"",@progbits
; Kernel info:
; codeLenInByte = 2816
; NumSgprs: 36
; NumVgprs: 22
; NumAgprs: 0
; TotalNumVgprs: 22
; ScratchSize: 0
; MemoryBound: 0
; FloatMode: 240
; IeeeMode: 1
; LDSByteSize: 0 bytes/workgroup (compile time only)
; SGPRBlocks: 4
; VGPRBlocks: 2
; NumSGPRsForWavesPerEU: 36
; NumVGPRsForWavesPerEU: 22
; AccumOffset: 24
; Occupancy: 8
; WaveLimiterHint : 0
; COMPUTE_PGM_RSRC2:SCRATCH_EN: 0
; COMPUTE_PGM_RSRC2:USER_SGPR: 6
; COMPUTE_PGM_RSRC2:TRAP_HANDLER: 0
; COMPUTE_PGM_RSRC2:TGID_X_EN: 1
; COMPUTE_PGM_RSRC2:TGID_Y_EN: 1
; COMPUTE_PGM_RSRC2:TGID_Z_EN: 1
; COMPUTE_PGM_RSRC2:TIDIG_COMP_CNT: 0
; COMPUTE_PGM_RSRC3_GFX90A:ACCUM_OFFSET: 5
; COMPUTE_PGM_RSRC3_GFX90A:TG_SPLIT: 0
	.section	.text._ZL15flash_attn_tileILi128ELi128ELi4ELi1ELb0EEvPKcS1_S1_S1_S1_PKiPfP15HIP_vector_typeIfLj2EEffffjfiS5_IjLj3EEiiiiiiiiiiiliiliiiiil,"axG",@progbits,_ZL15flash_attn_tileILi128ELi128ELi4ELi1ELb0EEvPKcS1_S1_S1_S1_PKiPfP15HIP_vector_typeIfLj2EEffffjfiS5_IjLj3EEiiiiiiiiiiiliiliiiiil,comdat
	.globl	_ZL15flash_attn_tileILi128ELi128ELi4ELi1ELb0EEvPKcS1_S1_S1_S1_PKiPfP15HIP_vector_typeIfLj2EEffffjfiS5_IjLj3EEiiiiiiiiiiiliiliiiiil ; -- Begin function _ZL15flash_attn_tileILi128ELi128ELi4ELi1ELb0EEvPKcS1_S1_S1_S1_PKiPfP15HIP_vector_typeIfLj2EEffffjfiS5_IjLj3EEiiiiiiiiiiiliiliiiiil
	.p2align	8
	.type	_ZL15flash_attn_tileILi128ELi128ELi4ELi1ELb0EEvPKcS1_S1_S1_S1_PKiPfP15HIP_vector_typeIfLj2EEffffjfiS5_IjLj3EEiiiiiiiiiiiliiliiiiil,@function
_ZL15flash_attn_tileILi128ELi128ELi4ELi1ELb0EEvPKcS1_S1_S1_S1_PKiPfP15HIP_vector_typeIfLj2EEffffjfiS5_IjLj3EEiiiiiiiiiiiliiliiiiil: ; @_ZL15flash_attn_tileILi128ELi128ELi4ELi1ELb0EEvPKcS1_S1_S1_S1_PKiPfP15HIP_vector_typeIfLj2EEffffjfiS5_IjLj3EEiiiiiiiiiiiliiliiiiil
; %bb.0:
	s_load_dwordx4 s[24:27], s[4:5], 0x5c
	s_load_dwordx2 s[14:15], s[4:5], 0x80
	s_add_u32 flat_scratch_lo, s6, s11
	s_addc_u32 flat_scratch_hi, s7, 0
	s_add_u32 s0, s0, s11
	s_waitcnt lgkmcnt(0)
	v_cvt_f32_u32_e32 v1, s27
	s_addc_u32 s1, s1, 0
	s_sub_i32 s6, 0, s27
	s_load_dwordx16 s[36:51], s[4:5], 0x0
	v_rcp_iflag_f32_e32 v1, v1
	s_load_dwordx2 s[20:21], s[4:5], 0xb8
	s_mov_b64 s[30:31], 0
	v_mul_f32_e32 v1, 0x4f7ffffe, v1
	v_cvt_u32_f32_e32 v1, v1
	v_readfirstlane_b32 s7, v1
	s_mul_i32 s6, s6, s7
	s_mul_hi_u32 s6, s7, s6
	s_add_i32 s7, s7, s6
	s_mul_hi_u32 s6, s10, s7
	s_mul_i32 s7, s6, s27
	s_sub_i32 s7, s10, s7
	s_add_i32 s11, s6, 1
	s_sub_i32 s12, s7, s27
	s_cmp_ge_u32 s7, s27
	s_cselect_b32 s6, s11, s6
	s_cselect_b32 s7, s12, s7
	s_add_i32 s11, s6, 1
	s_cmp_ge_u32 s7, s27
	s_cselect_b32 s33, s11, s6
	s_abs_i32 s6, s15
	v_cvt_f32_u32_e32 v1, s6
	s_mul_i32 s12, s33, s27
	s_sub_i32 s13, 0, s6
	s_sub_i32 s28, s10, s12
	v_rcp_iflag_f32_e32 v1, v1
	s_abs_i32 s11, s27
	s_xor_b32 s7, s27, s15
	s_ashr_i32 s7, s7, 31
	v_mul_f32_e32 v1, 0x4f7ffffe, v1
	v_cvt_u32_f32_e32 v1, v1
	v_readfirstlane_b32 s10, v1
	s_mul_i32 s13, s13, s10
	s_mul_hi_u32 s12, s10, s13
	s_add_i32 s10, s10, s12
	s_mul_hi_u32 s10, s11, s10
	s_mul_i32 s12, s10, s6
	s_sub_i32 s11, s11, s12
	s_add_i32 s13, s10, 1
	s_sub_i32 s12, s11, s6
	s_cmp_ge_u32 s11, s6
	s_cselect_b32 s10, s13, s10
	s_cselect_b32 s11, s12, s11
	s_add_i32 s12, s10, 1
	s_cmp_ge_u32 s11, s6
	s_cselect_b32 s6, s12, s10
	s_xor_b32 s6, s6, s7
	s_sub_i32 s22, s6, s7
	s_abs_i32 s15, s22
	v_cvt_f32_u32_e32 v1, s15
	s_sub_i32 s6, 0, s15
	s_abs_i32 s23, s28
	v_rcp_iflag_f32_e32 v1, v1
	v_mul_f32_e32 v1, 0x4f7ffffe, v1
	v_cvt_u32_f32_e32 v1, v1
	v_readfirstlane_b32 s7, v1
	s_mul_i32 s6, s6, s7
	s_mul_hi_u32 s6, s7, s6
	s_add_i32 s6, s7, s6
	s_waitcnt lgkmcnt(0)
	s_cmp_eq_u64 s[42:43], 0
	s_cbranch_scc1 .LBB65_2
; %bb.1:
	s_abs_i32 s7, s20
	v_cvt_f32_u32_e32 v1, s7
	s_sub_i32 s16, 0, s7
	s_abs_i32 s13, s33
	s_ashr_i32 s12, s33, 31
	v_rcp_iflag_f32_e32 v1, v1
	s_load_dwordx2 s[10:11], s[4:5], 0xc8
	v_mul_f32_e32 v1, 0x4f7ffffe, v1
	v_cvt_u32_f32_e32 v1, v1
	v_readfirstlane_b32 s17, v1
	s_mul_i32 s16, s16, s17
	s_mul_hi_u32 s16, s17, s16
	s_add_i32 s17, s17, s16
	s_mul_hi_u32 s16, s13, s17
	s_mul_i32 s16, s16, s7
	s_sub_i32 s13, s13, s16
	s_sub_i32 s16, s13, s7
	s_cmp_ge_u32 s13, s7
	s_cselect_b32 s13, s16, s13
	s_sub_i32 s16, s13, s7
	s_cmp_ge_u32 s13, s7
	s_cselect_b32 s7, s16, s13
	s_xor_b32 s7, s7, s12
	s_sub_i32 s7, s7, s12
	s_ashr_i32 s12, s7, 31
	s_waitcnt lgkmcnt(0)
	s_mul_i32 s11, s7, s11
	s_mul_hi_u32 s13, s7, s10
	s_add_i32 s11, s13, s11
	s_mul_i32 s12, s12, s10
	s_add_i32 s11, s11, s12
	s_mul_i32 s7, s7, s10
	s_add_u32 s30, s42, s7
	s_addc_u32 s31, s43, s11
.LBB65_2:
	s_load_dwordx4 s[16:19], s[4:5], 0x40
	s_mul_hi_u32 s20, s23, s6
	s_load_dword s6, s[4:5], 0x50
	v_mov_b32_e32 v50, 1.0
	s_waitcnt lgkmcnt(0)
	v_cmp_le_f32_e64 s[10:11], s17, 0
	s_and_b64 vcc, exec, s[10:11]
	s_cbranch_vccnz .LBB65_4
; %bb.3:
	s_sub_i32 s7, s28, s6
	s_lshl_b32 s7, s7, 1
	s_add_i32 s10, s28, 1
	s_or_b32 s11, s7, 1
	s_cmp_lt_u32 s28, s6
	s_cselect_b64 vcc, -1, 0
	s_and_b64 s[6:7], vcc, exec
	v_mov_b32_e32 v1, s19
	v_mov_b32_e32 v2, s18
	s_cselect_b32 s6, s10, s11
	v_cndmask_b32_e32 v18, v1, v2, vcc
	v_cvt_f32_i32_e32 v1, s6
	v_cmp_neq_f32_e32 vcc, 1.0, v18
	s_mov_b32 s6, 0x3f2aaaab
	s_movk_i32 s10, 0x204
	v_cndmask_b32_e32 v19, 1.0, v1, vcc
	v_cmp_eq_f32_e32 vcc, 0, v19
	v_cndmask_b32_e64 v20, |v18|, 1.0, vcc
	v_frexp_mant_f32_e32 v1, v20
	v_cmp_gt_f32_e64 s[6:7], s6, v1
	v_cndmask_b32_e64 v2, 1.0, 2.0, s[6:7]
	v_mul_f32_e32 v1, v1, v2
	v_add_f32_e32 v2, 1.0, v1
	v_rcp_f32_e32 v10, v2
	v_add_f32_e32 v3, -1.0, v2
	v_sub_f32_e32 v5, v1, v3
	v_add_f32_e32 v3, -1.0, v1
	v_mul_f32_e32 v1, v3, v10
	v_mul_f32_e32 v4, v2, v1
	v_fma_f32 v6, v1, v2, -v4
	v_fmac_f32_e32 v6, v1, v5
	v_add_f32_e32 v2, v4, v6
	v_sub_f32_e32 v5, v3, v2
	v_pk_add_f32 v[8:9], v[2:3], v[4:5] neg_lo:[0,1] neg_hi:[0,1]
	v_mov_b32_e32 v7, v2
	v_pk_add_f32 v[2:3], v[8:9], v[6:7] neg_lo:[0,1] neg_hi:[0,1]
	v_add_f32_e32 v2, v2, v3
	v_add_f32_e32 v2, v5, v2
	v_mul_f32_e32 v3, v10, v2
	v_add_f32_e32 v2, v1, v3
	v_sub_f32_e32 v1, v2, v1
	v_sub_f32_e32 v1, v3, v1
	v_mul_f32_e32 v3, v2, v2
	v_fma_f32 v5, v2, v2, -v3
	v_add_f32_e32 v4, v1, v1
	v_fmac_f32_e32 v5, v2, v4
	v_add_f32_e32 v4, v3, v5
	v_mov_b32_e32 v6, 0x3e91f4c4
	v_fmac_f32_e32 v6, 0x3e76c4e1, v4
	v_mov_b32_e32 v7, 0x3ecccdef
	v_fmac_f32_e32 v7, v4, v6
	v_sub_f32_e32 v3, v4, v3
	v_sub_f32_e32 v12, v5, v3
	v_mul_f32_e32 v3, v4, v7
	v_fma_f32 v5, v4, v7, -v3
	v_fmac_f32_e32 v5, v12, v7
	v_add_f32_e32 v6, v3, v5
	v_add_f32_e32 v7, 0x3f2aaaaa, v6
	v_sub_f32_e32 v3, v6, v3
	v_sub_f32_e32 v3, v5, v3
	v_add_f32_e32 v5, 0xbf2aaaaa, v7
	v_add_f32_e32 v3, 0x31739010, v3
	v_sub_f32_e32 v5, v6, v5
	v_pk_mul_f32 v[8:9], v[2:3], v[4:5]
	v_fma_f32 v6, v4, v2, -v8
	v_pk_add_f32 v[10:11], v[2:3], v[4:5]
	v_fmac_f32_e32 v6, v4, v1
	v_mov_b32_e32 v9, v11
	v_fmac_f32_e32 v6, v12, v2
	v_pk_add_f32 v[4:5], v[8:9], v[6:7]
	v_sub_f32_e32 v3, v4, v8
	v_sub_f32_e32 v3, v6, v3
	;; [unrolled: 1-line block ×3, first 2 shown]
	v_add_f32_e32 v9, v11, v6
	v_mov_b32_e32 v6, v5
	v_pk_mul_f32 v[6:7], v[4:5], v[6:7]
	v_cvt_f64_f32_e32 v[10:11], v20
	v_frexp_exp_i32_f64_e32 v7, v[10:11]
	v_subbrev_co_u32_e64 v7, s[6:7], 0, v7, s[6:7]
	v_cvt_f32_i32_e32 v7, v7
	v_fma_f32 v8, v4, v5, -v6
	v_fmac_f32_e32 v8, v4, v9
	s_mov_b32 s6, 0x3f317218
	v_mul_f32_e32 v4, 0x3f317218, v7
	v_fmac_f32_e32 v8, v3, v5
	v_fma_f32 v10, v7, s6, -v4
	v_fmac_f32_e32 v10, 0xb102e308, v7
	v_ldexp_f32 v11, v2, 1
	v_add_f32_e32 v5, v6, v8
	v_pk_add_f32 v[2:3], v[4:5], v[10:11]
	v_mov_b32_e32 v12, v5
	v_mov_b32_e32 v13, v3
	;; [unrolled: 1-line block ×3, first 2 shown]
	v_pk_add_f32 v[6:7], v[12:13], v[6:7] neg_lo:[0,1] neg_hi:[0,1]
	v_mov_b32_e32 v9, v5
	v_ldexp_f32 v1, v1, 1
	v_pk_add_f32 v[6:7], v[8:9], v[6:7] neg_lo:[0,1] neg_hi:[0,1]
	v_add_f32_e32 v1, v1, v6
	v_add_f32_e32 v5, v1, v7
	v_pk_add_f32 v[6:7], v[2:3], v[4:5] neg_lo:[0,1] neg_hi:[0,1]
	v_pk_add_f32 v[8:9], v[2:3], v[4:5]
	v_mov_b32_e32 v12, v6
	v_mov_b32_e32 v13, v9
	;; [unrolled: 1-line block ×3, first 2 shown]
	v_pk_add_f32 v[12:13], v[10:11], v[12:13]
	v_mov_b32_e32 v4, v13
	v_pk_add_f32 v[14:15], v[4:5], v[2:3] neg_lo:[0,1] neg_hi:[0,1]
	v_mov_b32_e32 v1, v14
	v_mov_b32_e32 v12, v9
	;; [unrolled: 1-line block ×4, first 2 shown]
	v_pk_add_f32 v[6:7], v[10:11], v[6:7] neg_lo:[0,1] neg_hi:[0,1]
	v_pk_add_f32 v[16:17], v[8:9], v[0:1] neg_lo:[0,1] neg_hi:[0,1]
	;; [unrolled: 1-line block ×3, first 2 shown]
	v_mov_b32_e32 v10, v5
	v_pk_add_f32 v[2:3], v[10:11], v[2:3] neg_lo:[0,1] neg_hi:[0,1]
	v_mov_b32_e32 v16, v6
	v_pk_add_f32 v[8:9], v[16:17], v[2:3]
	v_mov_b32_e32 v10, v9
	v_pk_add_f32 v[10:11], v[8:9], v[10:11]
	v_pk_add_f32 v[4:5], v[4:5], v[10:11]
	v_mov_b32_e32 v7, v13
	v_mov_b32_e32 v9, v4
	v_pk_add_f32 v[12:13], v[8:9], v[6:7] neg_lo:[0,1] neg_hi:[0,1]
	v_mov_b32_e32 v3, v10
	v_sub_f32_e32 v1, v8, v12
	v_pk_add_f32 v[2:3], v[2:3], v[12:13] neg_lo:[0,1] neg_hi:[0,1]
	v_sub_f32_e32 v1, v6, v1
	v_add_f32_e32 v1, v2, v1
	v_add_f32_e32 v1, v1, v3
	;; [unrolled: 1-line block ×3, first 2 shown]
	v_sub_f32_e32 v3, v2, v4
	v_sub_f32_e32 v1, v1, v3
	v_mul_f32_e32 v3, v19, v2
	v_fma_f32 v2, v19, v2, -v3
	v_fmac_f32_e32 v2, v19, v1
	v_add_f32_e32 v1, v3, v2
	v_cmp_class_f32_e64 s[6:7], v3, s10
	v_sub_f32_e32 v4, v1, v3
	v_cndmask_b32_e64 v1, v1, v3, s[6:7]
	s_mov_b32 s12, 0x42b17218
	v_mov_b32_e32 v3, 0x37000000
	v_cmp_eq_f32_e64 s[6:7], s12, v1
	v_cndmask_b32_e64 v3, 0, v3, s[6:7]
	v_sub_f32_e32 v2, v2, v4
	v_sub_f32_e32 v4, v1, v3
	s_mov_b32 s6, 0x3fb8aa3b
	v_mul_f32_e32 v5, 0x3fb8aa3b, v4
	v_fma_f32 v6, v4, s6, -v5
	v_rndne_f32_e32 v7, v5
	v_fmac_f32_e32 v6, 0x32a5705f, v4
	v_sub_f32_e32 v5, v5, v7
	v_add_f32_e32 v5, v5, v6
	v_exp_f32_e32 v5, v5
	v_cvt_i32_f32_e32 v6, v7
	s_mov_b32 s11, 0x7f800000
	v_cmp_neq_f32_e64 s[6:7], |v1|, s11
	v_cndmask_b32_e64 v1, 0, v2, s[6:7]
	s_mov_b32 s6, 0xc2ce8ed0
	v_ldexp_f32 v2, v5, v6
	v_cmp_ngt_f32_e64 s[6:7], s6, v4
	v_add_f32_e32 v1, v3, v1
	v_cndmask_b32_e64 v2, 0, v2, s[6:7]
	v_mov_b32_e32 v3, 0x7f800000
	v_cmp_nlt_f32_e64 s[6:7], s12, v4
	v_cndmask_b32_e64 v2, v3, v2, s[6:7]
	v_fma_f32 v1, v2, v1, v2
	v_cmp_class_f32_e64 s[6:7], v2, s10
	v_trunc_f32_e32 v4, v19
	v_cndmask_b32_e64 v1, v1, v2, s[6:7]
	v_cndmask_b32_e64 v2, v18, 1.0, vcc
	v_cmp_eq_f32_e32 vcc, v4, v19
	v_mul_f32_e32 v4, 0.5, v19
	v_trunc_f32_e32 v6, v4
	v_cmp_neq_f32_e64 s[6:7], v6, v4
	s_and_b64 s[6:7], vcc, s[6:7]
	v_cndmask_b32_e64 v4, 1.0, v2, s[6:7]
	s_brev_b32 s18, -2
	v_mov_b32_e32 v5, 0x7fc00000
	v_bfi_b32 v1, s18, v1, v4
	v_cndmask_b32_e32 v4, v5, v1, vcc
	v_cmp_gt_f32_e32 vcc, 0, v2
	v_cndmask_b32_e32 v1, v1, v4, vcc
	v_cmp_eq_f32_e32 vcc, s11, v20
	v_cmp_eq_f32_e64 s[10:11], 0, v2
	v_cmp_gt_f32_e64 s[12:13], 0, v19
	s_xor_b64 s[12:13], s[12:13], s[10:11]
	v_cndmask_b32_e64 v3, v3, 0, s[12:13]
	v_cndmask_b32_e64 v4, 0, v2, s[6:7]
	v_bfi_b32 v3, s18, v3, v4
	s_or_b64 vcc, vcc, s[10:11]
	v_cndmask_b32_e32 v1, v1, v3, vcc
	v_cmp_o_f32_e32 vcc, v2, v2
	v_cndmask_b32_e32 v50, v5, v1, vcc
.LBB65_4:
	s_load_dwordx4 s[52:55], s[4:5], 0x70
	v_bfe_u32 v48, v0, 10, 10
	v_lshl_add_u32 v5, s8, 2, v48
	s_ashr_i32 s29, s28, 31
	s_ashr_i32 s6, s22, 31
	s_waitcnt lgkmcnt(0)
	s_mul_i32 s7, s33, s54
	s_ashr_i32 s11, s7, 31
	v_mul_hi_u32 v1, s24, v5
	s_mul_i32 s10, s28, s53
	s_add_u32 s7, s36, s7
	v_add_u32_e32 v1, v5, v1
	s_addc_u32 s11, s37, s11
	s_ashr_i32 s12, s10, 31
	v_lshrrev_b32_e32 v1, s25, v1
	s_add_u32 s7, s7, s10
	v_mul_lo_u32 v1, v1, s26
	s_addc_u32 s12, s11, s12
	v_sub_u32_e32 v52, v5, v1
	s_ashr_i32 s13, s52, 31
	v_mov_b32_e32 v1, s52
	v_alignbit_b32 v1, s13, v1, 2
	v_mad_u64_u32 v[2:3], s[10:11], v1, v52, 0
	v_mov_b32_e32 v4, v3
	s_lshr_b32 s10, s13, 2
	v_mad_u64_u32 v[6:7], s[10:11], s10, v52, v[4:5]
	v_mov_b32_e32 v3, v6
	v_and_b32_e32 v4, 0x3ff, v0
	v_lshlrev_b64 v[0:1], 2, v[2:3]
	v_mov_b32_e32 v2, s12
	v_add_co_u32_e32 v0, vcc, s7, v0
	v_addc_co_u32_e32 v1, vcc, v2, v1, vcc
	v_lshlrev_b32_e32 v2, 4, v4
	v_add_co_u32_e32 v0, vcc, v0, v2
	v_addc_co_u32_e32 v1, vcc, 0, v1, vcc
	global_load_dwordx4 v[0:3], v[0:1], off
	v_lshlrev_b32_e32 v6, 6, v48
	v_lshlrev_b32_e32 v49, 1, v4
	v_mov_b32_e32 v7, 0
	s_cmp_eq_u64 s[46:47], 0
	s_waitcnt vmcnt(0)
	v_pk_mul_f32 v[0:1], v[0:1], s[16:17] op_sel_hi:[1,0]
	v_pk_mul_f32 v[2:3], v[2:3], s[16:17] op_sel_hi:[1,0]
	v_cvt_f16_f32_e32 v8, v1
	v_cvt_f16_f32_e32 v1, v3
	v_cvt_f16_f32_e32 v2, v2
	v_cvt_f16_f32_e32 v0, v0
	v_add_lshl_u32 v3, v6, v49, 2
	v_pack_b32_f16 v1, v2, v1
	v_pack_b32_f16 v0, v0, v8
	ds_write_b64 v3, v[0:1] offset:17408
	s_waitcnt lgkmcnt(0)
	s_barrier
	s_cbranch_scc1 .LBB65_6
; %bb.5:
	s_load_dword s7, s[4:5], 0xd0
	s_mov_b32 s11, 0
	s_waitcnt lgkmcnt(0)
	s_mul_i32 s7, s7, s33
	s_add_i32 s10, s7, s8
	s_lshl_b64 s[10:11], s[10:11], 2
	s_add_u32 s10, s46, s10
	s_addc_u32 s11, s47, s11
	s_load_dword s14, s[10:11], 0x0
.LBB65_6:
	s_nop 0
	s_load_dwordx2 s[10:11], s[4:5], 0x8c
	s_load_dwordx4 s[16:19], s[4:5], 0x98
	s_ashr_i32 s7, s33, 31
	s_ashr_i32 s22, s21, 1
	s_load_dwordx2 s[24:25], s[4:5], 0xa8
	s_waitcnt lgkmcnt(0)
	s_ashr_i32 s12, s10, 2
	s_mul_i32 s10, s33, s17
	s_mul_hi_u32 s13, s33, s16
	s_add_i32 s10, s13, s10
	s_mul_i32 s13, s7, s16
	s_ashr_i32 s8, s18, 2
	s_add_i32 s10, s10, s13
	s_mul_i32 s13, s33, s16
	s_add_u32 s13, s38, s13
	s_mul_i32 s16, s20, s15
	s_addc_u32 s10, s39, s10
	s_sub_i32 s16, s23, s16
	s_xor_b32 s6, s29, s6
	s_add_i32 s17, s20, 1
	s_sub_i32 s18, s16, s15
	s_cmp_ge_u32 s16, s15
	s_cselect_b32 s17, s17, s20
	s_cselect_b32 s16, s18, s16
	s_add_i32 s18, s17, 1
	s_cmp_ge_u32 s16, s15
	s_cselect_b32 s15, s18, s17
	s_xor_b32 s15, s15, s6
	s_sub_i32 s6, s15, s6
	s_mul_i32 s11, s6, s11
	s_ashr_i32 s15, s11, 31
	s_add_u32 s13, s13, s11
	s_addc_u32 s15, s10, s15
	s_mul_i32 s10, s33, s25
	s_mul_hi_u32 s11, s33, s24
	s_add_i32 s10, s11, s10
	s_mul_i32 s7, s7, s24
	s_add_i32 s10, s10, s7
	s_mul_i32 s7, s33, s24
	s_add_u32 s7, s40, s7
	s_mul_i32 s6, s6, s19
	s_addc_u32 s10, s41, s10
	s_ashr_i32 s11, s6, 31
	s_add_u32 s36, s7, s6
	v_lshlrev_b32_e32 v44, 2, v4
	s_addc_u32 s37, s10, s11
	s_lshl_b32 s38, s9, 6
	s_sub_i32 s16, s14, 64
	s_cmp_ge_i32 s38, s16
	v_mov_b32_e32 v6, 0xfeffffff
	v_mov_b32_e32 v47, 0
	v_lshrrev_b32_e32 v1, 4, v4
	v_and_b32_e32 v0, 60, v44
	v_lshlrev_b32_e32 v45, 3, v4
	v_mbcnt_lo_u32_b32 v51, -1, 0
	s_cbranch_scc1 .LBB65_15
; %bb.7:
	v_lshl_add_u32 v8, v48, 1, v1
	v_lshlrev_b32_e32 v9, 2, v0
	s_movk_i32 s6, 0x110
	v_mad_u32_u24 v53, v8, s6, v9
	v_mul_lo_u32 v6, s12, v8
	s_lshl_b32 s6, s12, 3
	v_add_u32_e32 v10, s6, v6
	v_add_u32_e32 v12, s6, v10
	;; [unrolled: 1-line block ×6, first 2 shown]
	v_mov_b32_e32 v2, 0x4400
	v_add_u32_e32 v22, s6, v20
	v_lshl_add_u32 v61, v48, 8, v2
	s_cmp_lg_u64 s[30:31], 0
	v_mad_u64_u32 v[2:3], s[6:7], v52, s22, v[4:5]
	v_mul_lo_u32 v24, s8, v8
	s_cselect_b64 s[6:7], -1, 0
	s_lshl_b32 s10, s8, 3
	v_add_u32_e32 v26, s10, v24
	v_add_u32_e32 v28, s10, v26
	;; [unrolled: 1-line block ×7, first 2 shown]
	s_add_u32 s10, s4, 0xd0
	v_ashrrev_i32_e32 v7, 31, v6
	v_mov_b32_e32 v3, 0x4800
	s_addc_u32 s11, s5, 0
	v_ashrrev_i32_e32 v11, 31, v10
	v_ashrrev_i32_e32 v13, 31, v12
	;; [unrolled: 1-line block ×7, first 2 shown]
	v_lshl_add_u32 v3, v48, 7, v3
	v_lshl_or_b32 v64, v8, 8, v9
	v_ashrrev_i32_e32 v25, 31, v24
	v_ashrrev_i32_e32 v27, 31, v26
	;; [unrolled: 1-line block ×8, first 2 shown]
	s_add_u32 s17, s30, 64
	v_lshlrev_b64 v[8:9], 2, v[6:7]
	v_cndmask_b32_e64 v6, 0, 1, s[6:7]
	v_mov_b32_e32 v46, 0
	v_add_u32_e32 v54, 0x880, v53
	v_add_u32_e32 v55, 0x1100, v53
	;; [unrolled: 1-line block ×7, first 2 shown]
	v_mul_u32_u24_e32 v62, 0x110, v4
	v_lshl_add_u32 v63, v4, 1, v3
	v_add_u32_e32 v65, 0x800, v64
	v_add_u32_e32 v66, 0x1000, v64
	;; [unrolled: 1-line block ×7, first 2 shown]
	s_addc_u32 s18, s31, 0
	v_mov_b32_e32 v76, 0xfeffffff
	v_lshlrev_b32_e32 v72, 2, v0
	v_lshlrev_b64 v[10:11], 2, v[10:11]
	v_lshlrev_b64 v[12:13], 2, v[12:13]
	;; [unrolled: 1-line block ×7, first 2 shown]
	v_mbcnt_hi_u32_b32 v73, -1, v51
	s_mov_b32 s19, 0x3fb8aa3b
	s_mov_b32 s20, 0xc2ce8ed0
	;; [unrolled: 1-line block ×3, first 2 shown]
	v_lshlrev_b64 v[24:25], 2, v[24:25]
	v_lshlrev_b64 v[26:27], 2, v[26:27]
	;; [unrolled: 1-line block ×8, first 2 shown]
	v_cmp_ne_u32_e64 s[6:7], 1, v6
	v_mov_b32_e32 v74, 0x7f800000
	v_mov_b32_e32 v47, 0
	;; [unrolled: 1-line block ×3, first 2 shown]
.LBB65_8:                               ; =>This Inner Loop Header: Depth=1
	s_mul_hi_i32 s25, s38, s12
	s_mul_i32 s24, s38, s12
	s_lshl_b64 s[24:25], s[24:25], 2
	s_add_u32 s23, s13, s24
	s_addc_u32 s24, s15, s25
	v_mov_b32_e32 v6, s24
	v_add_co_u32_e32 v7, vcc, s23, v8
	v_addc_co_u32_e32 v40, vcc, v6, v9, vcc
	v_add_co_u32_e32 v6, vcc, v7, v72
	v_addc_co_u32_e32 v7, vcc, 0, v40, vcc
	v_mov_b32_e32 v40, s24
	v_add_co_u32_e32 v41, vcc, s23, v10
	v_addc_co_u32_e32 v40, vcc, v40, v11, vcc
	v_add_co_u32_e32 v82, vcc, v41, v72
	v_addc_co_u32_e32 v83, vcc, 0, v40, vcc
	global_load_dwordx4 v[40:43], v[6:7], off
	global_load_dwordx4 v[78:81], v[82:83], off
	v_mov_b32_e32 v6, s24
	v_add_co_u32_e32 v7, vcc, s23, v12
	v_addc_co_u32_e32 v77, vcc, v6, v13, vcc
	v_add_co_u32_e32 v6, vcc, v7, v72
	v_addc_co_u32_e32 v7, vcc, 0, v77, vcc
	v_mov_b32_e32 v77, s24
	v_add_co_u32_e32 v82, vcc, s23, v14
	v_addc_co_u32_e32 v77, vcc, v77, v15, vcc
	v_add_co_u32_e32 v90, vcc, v82, v72
	v_addc_co_u32_e32 v91, vcc, 0, v77, vcc
	global_load_dwordx4 v[82:85], v[6:7], off
	global_load_dwordx4 v[86:89], v[90:91], off
	;; [unrolled: 12-line block ×4, first 2 shown]
	v_mov_b32_e32 v6, 0
	v_mov_b32_e32 v7, 0
	s_and_b64 vcc, exec, s[6:7]
	s_waitcnt vmcnt(7)
	ds_write_b128 v53, v[40:43]
	s_waitcnt vmcnt(6)
	ds_write_b128 v54, v[78:81]
	;; [unrolled: 2-line block ×8, first 2 shown]
	s_waitcnt lgkmcnt(0)
	s_barrier
	ds_read_b128 v[40:43], v62
	ds_read_b128 v[78:81], v61
	ds_read_b128 v[82:85], v62 offset:8704
	s_waitcnt lgkmcnt(1)
	;;#ASMSTART
	v_dot2_f32_f16 v6, v40, v78, v6
	;;#ASMEND
	;;#ASMSTART
	v_dot2_f32_f16 v6, v41, v79, v6
	;;#ASMEND
	;;#ASMSTART
	v_dot2_f32_f16 v6, v42, v80, v6
	;;#ASMEND
	;;#ASMSTART
	v_dot2_f32_f16 v6, v43, v81, v6
	;;#ASMEND
	s_waitcnt lgkmcnt(0)
	;;#ASMSTART
	v_dot2_f32_f16 v7, v82, v78, v7
	;;#ASMEND
	;;#ASMSTART
	v_dot2_f32_f16 v7, v83, v79, v7
	;;#ASMEND
	;;#ASMSTART
	v_dot2_f32_f16 v7, v84, v80, v7
	;;#ASMEND
	;;#ASMSTART
	v_dot2_f32_f16 v7, v85, v81, v7
	;;#ASMEND
	ds_read_b128 v[40:43], v62 offset:16
	ds_read_b128 v[78:81], v61 offset:16
	ds_read_b128 v[82:85], v62 offset:8720
	s_waitcnt lgkmcnt(1)
	;;#ASMSTART
	v_dot2_f32_f16 v6, v40, v78, v6
	;;#ASMEND
	;;#ASMSTART
	v_dot2_f32_f16 v6, v41, v79, v6
	;;#ASMEND
	;;#ASMSTART
	v_dot2_f32_f16 v6, v42, v80, v6
	;;#ASMEND
	;;#ASMSTART
	v_dot2_f32_f16 v6, v43, v81, v6
	;;#ASMEND
	s_waitcnt lgkmcnt(0)
	;;#ASMSTART
	v_dot2_f32_f16 v7, v82, v78, v7
	;;#ASMEND
	;;#ASMSTART
	v_dot2_f32_f16 v7, v83, v79, v7
	;;#ASMEND
	;;#ASMSTART
	v_dot2_f32_f16 v7, v84, v80, v7
	;;#ASMEND
	;;#ASMSTART
	v_dot2_f32_f16 v7, v85, v81, v7
	;;#ASMEND
	ds_read_b128 v[40:43], v62 offset:32
	ds_read_b128 v[78:81], v61 offset:32
	;; [unrolled: 29-line block ×15, first 2 shown]
	ds_read_b128 v[82:85], v62 offset:8944
	s_waitcnt lgkmcnt(1)
	;;#ASMSTART
	v_dot2_f32_f16 v6, v40, v78, v6
	;;#ASMEND
	;;#ASMSTART
	v_dot2_f32_f16 v6, v41, v79, v6
	;;#ASMEND
	;; [unrolled: 3-line block ×4, first 2 shown]
	s_waitcnt lgkmcnt(0)
	;;#ASMSTART
	v_dot2_f32_f16 v7, v82, v78, v7
	;;#ASMEND
	;;#ASMSTART
	v_dot2_f32_f16 v7, v83, v79, v7
	;;#ASMEND
	v_add_u32_e32 v42, s38, v2
	;;#ASMSTART
	v_dot2_f32_f16 v7, v84, v80, v7
	;;#ASMEND
	v_ashrrev_i32_e32 v43, 31, v42
	v_mov_b32_e32 v40, 0
	;;#ASMSTART
	v_dot2_f32_f16 v7, v85, v81, v7
	;;#ASMEND
	s_cbranch_vccnz .LBB65_10
; %bb.9:                                ;   in Loop: Header=BB65_8 Depth=1
	v_lshlrev_b64 v[40:41], 1, v[42:43]
	v_mov_b32_e32 v77, s31
	v_add_co_u32_e32 v40, vcc, s30, v40
	v_addc_co_u32_e32 v41, vcc, v77, v41, vcc
	flat_load_ushort v40, v[40:41]
	s_waitcnt vmcnt(0) lgkmcnt(0)
	v_cvt_f32_f16_e32 v40, v40
	v_mul_f32_e32 v40, v50, v40
.LBB65_10:                              ;   in Loop: Header=BB65_8 Depth=1
	s_and_b64 vcc, exec, s[6:7]
	s_cbranch_vccnz .LBB65_12
; %bb.11:                               ;   in Loop: Header=BB65_8 Depth=1
	v_lshlrev_b64 v[42:43], 1, v[42:43]
	v_mov_b32_e32 v41, s18
	v_add_co_u32_e32 v42, vcc, s17, v42
	v_addc_co_u32_e32 v43, vcc, v41, v43, vcc
	flat_load_ushort v41, v[42:43]
	s_waitcnt vmcnt(0) lgkmcnt(0)
	v_cvt_f32_f16_e32 v41, v41
	v_mul_f32_e32 v41, v50, v41
	s_branch .LBB65_13
.LBB65_12:                              ;   in Loop: Header=BB65_8 Depth=1
	v_mov_b32_e32 v41, 0
.LBB65_13:                              ;   in Loop: Header=BB65_8 Depth=1
	v_pk_add_f32 v[106:107], v[6:7], v[40:41]
	v_add_f32_e32 v6, 0x40051340, v106
	v_add_f32_e32 v7, 0x40051340, v107
	v_max3_f32 v6, v76, v6, v7
	v_and_b32_e32 v7, 0x60, v73
	v_add_u32_e32 v77, 32, v7
	v_xor_b32_e32 v7, 16, v73
	v_cmp_lt_i32_e32 vcc, v7, v77
	v_cndmask_b32_e32 v7, v73, v7, vcc
	v_lshlrev_b32_e32 v7, 2, v7
	ds_bpermute_b32 v7, v7, v6
	s_mul_hi_i32 s25, s38, s8
	s_mul_i32 s24, s38, s8
	s_lshl_b64 s[24:25], s[24:25], 2
	s_add_u32 s23, s36, s24
	s_waitcnt lgkmcnt(0)
	v_max_f32_e32 v7, v7, v7
	v_max_f32_e32 v6, v6, v7
	v_xor_b32_e32 v7, 8, v73
	v_cmp_lt_i32_e32 vcc, v7, v77
	v_cndmask_b32_e32 v7, v73, v7, vcc
	v_lshlrev_b32_e32 v7, 2, v7
	ds_bpermute_b32 v7, v7, v6
	s_addc_u32 s24, s37, s25
	s_waitcnt lgkmcnt(0)
	s_barrier
	v_max_f32_e32 v7, v7, v7
	v_max_f32_e32 v110, v6, v7
	v_xor_b32_e32 v6, 4, v73
	v_cmp_lt_i32_e32 vcc, v6, v77
	v_cndmask_b32_e32 v6, v73, v6, vcc
	v_lshlrev_b32_e32 v6, 2, v6
	ds_bpermute_b32 v6, v6, v110
	v_add_co_u32_e32 v7, vcc, s23, v24
	s_waitcnt lgkmcnt(0)
	v_max_f32_e32 v111, v6, v6
	v_mov_b32_e32 v6, s24
	v_addc_co_u32_e32 v40, vcc, v6, v25, vcc
	v_add_co_u32_e32 v6, vcc, v7, v72
	v_addc_co_u32_e32 v7, vcc, 0, v40, vcc
	v_mov_b32_e32 v40, s24
	v_add_co_u32_e32 v41, vcc, s23, v26
	v_addc_co_u32_e32 v40, vcc, v40, v27, vcc
	v_add_co_u32_e32 v82, vcc, v41, v72
	v_addc_co_u32_e32 v83, vcc, 0, v40, vcc
	global_load_dwordx4 v[40:43], v[6:7], off
	global_load_dwordx4 v[78:81], v[82:83], off
	v_mov_b32_e32 v6, s24
	v_add_co_u32_e32 v7, vcc, s23, v28
	v_addc_co_u32_e32 v82, vcc, v6, v29, vcc
	v_add_co_u32_e32 v6, vcc, v7, v72
	v_addc_co_u32_e32 v7, vcc, 0, v82, vcc
	v_mov_b32_e32 v82, s24
	v_add_co_u32_e32 v83, vcc, s23, v30
	v_addc_co_u32_e32 v82, vcc, v82, v31, vcc
	v_add_co_u32_e32 v90, vcc, v83, v72
	v_addc_co_u32_e32 v91, vcc, 0, v82, vcc
	global_load_dwordx4 v[82:85], v[6:7], off
	global_load_dwordx4 v[86:89], v[90:91], off
	v_mov_b32_e32 v6, s24
	v_add_co_u32_e32 v7, vcc, s23, v32
	;; [unrolled: 12-line block ×3, first 2 shown]
	v_addc_co_u32_e32 v98, vcc, v6, v37, vcc
	v_add_co_u32_e32 v6, vcc, v7, v72
	v_addc_co_u32_e32 v7, vcc, 0, v98, vcc
	v_mov_b32_e32 v98, s24
	v_add_co_u32_e32 v99, vcc, s23, v38
	v_addc_co_u32_e32 v98, vcc, v98, v39, vcc
	v_add_co_u32_e32 v108, vcc, v99, v72
	v_addc_co_u32_e32 v109, vcc, 0, v98, vcc
	global_load_dwordx4 v[98:101], v[6:7], off
	global_load_dwordx4 v[102:105], v[108:109], off
	v_xor_b32_e32 v7, 2, v73
	v_cmp_lt_i32_e32 vcc, v7, v77
	v_cndmask_b32_e32 v7, v73, v7, vcc
	v_max_f32_e32 v6, v110, v111
	v_lshlrev_b32_e32 v7, 2, v7
	ds_bpermute_b32 v7, v7, v6
	s_waitcnt lgkmcnt(0)
	v_max_f32_e32 v7, v7, v7
	v_max_f32_e32 v6, v6, v7
	v_xor_b32_e32 v7, 1, v73
	v_cmp_lt_i32_e32 vcc, v7, v77
	v_cndmask_b32_e32 v7, v73, v7, vcc
	v_lshlrev_b32_e32 v7, 2, v7
	ds_bpermute_b32 v7, v7, v6
	s_waitcnt lgkmcnt(0)
	v_max_f32_e32 v7, v7, v7
	v_max_f32_e32 v6, v6, v7
	v_pk_add_f32 v[106:107], v[106:107], v[6:7] op_sel_hi:[1,0] neg_lo:[0,1] neg_hi:[0,1]
	v_mul_f32_e32 v7, 0x3fb8aa3b, v107
	v_fma_f32 v77, v107, s19, -v7
	v_rndne_f32_e32 v108, v7
	v_fmac_f32_e32 v77, 0x32a5705f, v107
	v_sub_f32_e32 v7, v7, v108
	v_add_f32_e32 v7, v7, v77
	v_exp_f32_e32 v7, v7
	v_cvt_i32_f32_e32 v77, v108
	v_cmp_ngt_f32_e32 vcc, s20, v107
	v_sub_f32_e32 v76, v76, v6
	v_ldexp_f32 v7, v7, v77
	v_mul_f32_e32 v77, 0x3fb8aa3b, v106
	v_fma_f32 v108, v106, s19, -v77
	v_rndne_f32_e32 v109, v77
	v_fmac_f32_e32 v108, 0x32a5705f, v106
	v_sub_f32_e32 v77, v77, v109
	v_add_f32_e32 v77, v77, v108
	v_exp_f32_e32 v77, v77
	v_cvt_i32_f32_e32 v108, v109
	v_cndmask_b32_e32 v7, 0, v7, vcc
	v_cmp_nlt_f32_e32 vcc, s21, v107
	v_cndmask_b32_e32 v107, v74, v7, vcc
	v_ldexp_f32 v7, v77, v108
	v_cmp_ngt_f32_e32 vcc, s20, v106
	v_mul_f32_e32 v77, 0x3fb8aa3b, v76
	v_cndmask_b32_e32 v7, 0, v7, vcc
	v_cmp_nlt_f32_e32 vcc, s21, v106
	v_fma_f32 v106, v76, s19, -v77
	v_rndne_f32_e32 v108, v77
	v_fmac_f32_e32 v106, 0x32a5705f, v76
	v_sub_f32_e32 v77, v77, v108
	v_add_f32_e32 v77, v77, v106
	v_exp_f32_e32 v77, v77
	v_cvt_i32_f32_e32 v106, v108
	v_cndmask_b32_e32 v7, v74, v7, vcc
	v_cvt_f16_f32_e32 v108, v7
	v_add_f32_e32 v7, v7, v107
	v_cvt_f16_f32_e32 v107, v107
	v_ldexp_f32 v77, v77, v106
	v_cmp_ngt_f32_e32 vcc, s20, v76
	v_cndmask_b32_e32 v77, 0, v77, vcc
	v_cmp_nlt_f32_e32 vcc, s21, v76
	v_cndmask_b32_e32 v106, v74, v77, vcc
	ds_write_b16 v63, v108
	ds_write_b16 v63, v107 offset:64
	s_waitcnt vmcnt(7)
	ds_write_b128 v64, v[40:43]
	s_waitcnt vmcnt(6)
	ds_write_b128 v65, v[78:81]
	;; [unrolled: 2-line block ×8, first 2 shown]
	s_waitcnt lgkmcnt(0)
	s_barrier
	ds_read2_b64 v[40:43], v45 offset1:32
	ds_read_b128 v[76:79], v3
	v_fmac_f32_e32 v7, v75, v106
	v_cvt_f16_f32_e32 v75, v106
	ds_read_b128 v[80:83], v3 offset:16
	ds_read_b128 v[84:87], v3 offset:32
	;; [unrolled: 1-line block ×3, first 2 shown]
	ds_read2_b64 v[92:95], v45 offset0:64 offset1:96
	s_waitcnt lgkmcnt(4)
	v_pk_mul_f16 v40, v40, v76 op_sel_hi:[1,0]
	v_pk_fma_f16 v40, v46, v75, v40 op_sel_hi:[1,0,1]
	v_pk_mul_f16 v41, v41, v76 op_sel_hi:[1,0]
	v_pk_fma_f16 v41, v47, v75, v41 op_sel_hi:[1,0,1]
	v_pk_fma_f16 v40, v42, v76, v40 op_sel:[0,1,0]
	v_pk_fma_f16 v46, v43, v76, v41 op_sel:[0,1,0]
	s_waitcnt lgkmcnt(0)
	v_pk_fma_f16 v47, v92, v77, v40 op_sel_hi:[1,0,1]
	ds_read2_b64 v[40:43], v45 offset0:128 offset1:160
	v_pk_fma_f16 v46, v93, v77, v46 op_sel_hi:[1,0,1]
	v_pk_fma_f16 v47, v94, v77, v47 op_sel:[0,1,0]
	v_pk_fma_f16 v46, v95, v77, v46 op_sel:[0,1,0]
	ds_read2_b64 v[92:95], v45 offset0:192 offset1:224
	s_waitcnt lgkmcnt(1)
	v_pk_fma_f16 v40, v40, v78, v47 op_sel_hi:[1,0,1]
	v_pk_fma_f16 v41, v41, v78, v46 op_sel_hi:[1,0,1]
	v_pk_fma_f16 v40, v42, v78, v40 op_sel:[0,1,0]
	v_add_u32_e32 v75, 0x800, v45
	v_pk_fma_f16 v46, v43, v78, v41 op_sel:[0,1,0]
	s_waitcnt lgkmcnt(0)
	v_pk_fma_f16 v47, v92, v79, v40 op_sel_hi:[1,0,1]
	ds_read2_b64 v[40:43], v75 offset1:32
	v_pk_fma_f16 v46, v93, v79, v46 op_sel_hi:[1,0,1]
	v_pk_fma_f16 v47, v94, v79, v47 op_sel:[0,1,0]
	v_pk_fma_f16 v46, v95, v79, v46 op_sel:[0,1,0]
	ds_read2_b64 v[76:79], v75 offset0:64 offset1:96
	s_waitcnt lgkmcnt(1)
	v_pk_fma_f16 v40, v40, v80, v47 op_sel_hi:[1,0,1]
	v_pk_fma_f16 v41, v41, v80, v46 op_sel_hi:[1,0,1]
	v_pk_fma_f16 v40, v42, v80, v40 op_sel:[0,1,0]
	v_pk_fma_f16 v46, v43, v80, v41 op_sel:[0,1,0]
	s_waitcnt lgkmcnt(0)
	v_pk_fma_f16 v47, v76, v81, v40 op_sel_hi:[1,0,1]
	ds_read2_b64 v[40:43], v75 offset0:128 offset1:160
	v_pk_fma_f16 v46, v77, v81, v46 op_sel_hi:[1,0,1]
	v_pk_fma_f16 v47, v78, v81, v47 op_sel:[0,1,0]
	v_pk_fma_f16 v46, v79, v81, v46 op_sel:[0,1,0]
	ds_read2_b64 v[76:79], v75 offset0:192 offset1:224
	s_waitcnt lgkmcnt(1)
	v_pk_fma_f16 v40, v40, v82, v47 op_sel_hi:[1,0,1]
	v_pk_fma_f16 v41, v41, v82, v46 op_sel_hi:[1,0,1]
	v_pk_fma_f16 v40, v42, v82, v40 op_sel:[0,1,0]
	v_add_u32_e32 v75, 0x1000, v45
	v_pk_fma_f16 v46, v43, v82, v41 op_sel:[0,1,0]
	s_waitcnt lgkmcnt(0)
	v_pk_fma_f16 v47, v76, v83, v40 op_sel_hi:[1,0,1]
	ds_read2_b64 v[40:43], v75 offset1:32
	v_pk_fma_f16 v46, v77, v83, v46 op_sel_hi:[1,0,1]
	v_pk_fma_f16 v47, v78, v83, v47 op_sel:[0,1,0]
	v_pk_fma_f16 v46, v79, v83, v46 op_sel:[0,1,0]
	ds_read2_b64 v[76:79], v75 offset0:64 offset1:96
	s_waitcnt lgkmcnt(1)
	v_pk_fma_f16 v40, v40, v84, v47 op_sel_hi:[1,0,1]
	v_pk_fma_f16 v41, v41, v84, v46 op_sel_hi:[1,0,1]
	v_pk_fma_f16 v40, v42, v84, v40 op_sel:[0,1,0]
	v_pk_fma_f16 v46, v43, v84, v41 op_sel:[0,1,0]
	s_waitcnt lgkmcnt(0)
	v_pk_fma_f16 v47, v76, v85, v40 op_sel_hi:[1,0,1]
	ds_read2_b64 v[40:43], v75 offset0:128 offset1:160
	v_pk_fma_f16 v46, v77, v85, v46 op_sel_hi:[1,0,1]
	v_pk_fma_f16 v47, v78, v85, v47 op_sel:[0,1,0]
	v_pk_fma_f16 v46, v79, v85, v46 op_sel:[0,1,0]
	ds_read2_b64 v[76:79], v75 offset0:192 offset1:224
	s_waitcnt lgkmcnt(1)
	v_pk_fma_f16 v40, v40, v86, v47 op_sel_hi:[1,0,1]
	v_pk_fma_f16 v41, v41, v86, v46 op_sel_hi:[1,0,1]
	v_pk_fma_f16 v40, v42, v86, v40 op_sel:[0,1,0]
	v_add_u32_e32 v75, 0x1800, v45
	v_pk_fma_f16 v46, v43, v86, v41 op_sel:[0,1,0]
	s_waitcnt lgkmcnt(0)
	v_pk_fma_f16 v47, v76, v87, v40 op_sel_hi:[1,0,1]
	ds_read2_b64 v[40:43], v75 offset1:32
	v_pk_fma_f16 v46, v77, v87, v46 op_sel_hi:[1,0,1]
	v_pk_fma_f16 v47, v78, v87, v47 op_sel:[0,1,0]
	v_pk_fma_f16 v46, v79, v87, v46 op_sel:[0,1,0]
	ds_read2_b64 v[76:79], v75 offset0:64 offset1:96
	s_waitcnt lgkmcnt(1)
	v_pk_fma_f16 v40, v40, v88, v47 op_sel_hi:[1,0,1]
	v_pk_fma_f16 v41, v41, v88, v46 op_sel_hi:[1,0,1]
	v_pk_fma_f16 v40, v42, v88, v40 op_sel:[0,1,0]
	v_pk_fma_f16 v46, v43, v88, v41 op_sel:[0,1,0]
	s_waitcnt lgkmcnt(0)
	v_pk_fma_f16 v47, v76, v89, v40 op_sel_hi:[1,0,1]
	ds_read2_b64 v[40:43], v75 offset0:128 offset1:160
	v_pk_fma_f16 v46, v77, v89, v46 op_sel_hi:[1,0,1]
	v_pk_fma_f16 v47, v78, v89, v47 op_sel:[0,1,0]
	v_pk_fma_f16 v46, v79, v89, v46 op_sel:[0,1,0]
	ds_read2_b64 v[76:79], v75 offset0:192 offset1:224
	s_waitcnt lgkmcnt(1)
	v_pk_fma_f16 v40, v40, v90, v47 op_sel_hi:[1,0,1]
	v_pk_fma_f16 v41, v41, v90, v46 op_sel_hi:[1,0,1]
	v_pk_fma_f16 v40, v42, v90, v40 op_sel:[0,1,0]
	v_pk_fma_f16 v41, v43, v90, v41 op_sel:[0,1,0]
	v_add_u32_e32 v75, 0x2000, v45
	s_waitcnt lgkmcnt(0)
	v_pk_fma_f16 v46, v76, v91, v40 op_sel_hi:[1,0,1]
	v_pk_fma_f16 v47, v77, v91, v41 op_sel_hi:[1,0,1]
	ds_read2_b64 v[40:43], v75 offset1:32
	ds_read_b128 v[80:83], v3 offset:64
	v_pk_fma_f16 v46, v78, v91, v46 op_sel:[0,1,0]
	v_pk_fma_f16 v47, v79, v91, v47 op_sel:[0,1,0]
	ds_read2_b64 v[76:79], v75 offset0:64 offset1:96
	ds_read_b128 v[84:87], v3 offset:80
	s_waitcnt lgkmcnt(2)
	v_pk_fma_f16 v40, v40, v80, v46 op_sel_hi:[1,0,1]
	v_pk_fma_f16 v41, v41, v80, v47 op_sel_hi:[1,0,1]
	v_pk_fma_f16 v40, v42, v80, v40 op_sel:[0,1,0]
	v_pk_fma_f16 v46, v43, v80, v41 op_sel:[0,1,0]
	s_waitcnt lgkmcnt(1)
	v_pk_fma_f16 v47, v76, v81, v40 op_sel_hi:[1,0,1]
	ds_read2_b64 v[40:43], v75 offset0:128 offset1:160
	v_pk_fma_f16 v46, v77, v81, v46 op_sel_hi:[1,0,1]
	v_pk_fma_f16 v47, v78, v81, v47 op_sel:[0,1,0]
	v_pk_fma_f16 v46, v79, v81, v46 op_sel:[0,1,0]
	ds_read2_b64 v[76:79], v75 offset0:192 offset1:224
	s_waitcnt lgkmcnt(1)
	v_pk_fma_f16 v40, v40, v82, v47 op_sel_hi:[1,0,1]
	v_pk_fma_f16 v41, v41, v82, v46 op_sel_hi:[1,0,1]
	v_pk_fma_f16 v40, v42, v82, v40 op_sel:[0,1,0]
	v_add_u32_e32 v75, 0x2800, v45
	v_pk_fma_f16 v46, v43, v82, v41 op_sel:[0,1,0]
	s_waitcnt lgkmcnt(0)
	v_pk_fma_f16 v47, v76, v83, v40 op_sel_hi:[1,0,1]
	ds_read2_b64 v[40:43], v75 offset1:32
	v_pk_fma_f16 v46, v77, v83, v46 op_sel_hi:[1,0,1]
	v_pk_fma_f16 v47, v78, v83, v47 op_sel:[0,1,0]
	v_pk_fma_f16 v46, v79, v83, v46 op_sel:[0,1,0]
	ds_read2_b64 v[76:79], v75 offset0:64 offset1:96
	s_waitcnt lgkmcnt(1)
	v_pk_fma_f16 v40, v40, v84, v47 op_sel_hi:[1,0,1]
	v_pk_fma_f16 v41, v41, v84, v46 op_sel_hi:[1,0,1]
	v_pk_fma_f16 v40, v42, v84, v40 op_sel:[0,1,0]
	v_pk_fma_f16 v46, v43, v84, v41 op_sel:[0,1,0]
	s_waitcnt lgkmcnt(0)
	v_pk_fma_f16 v47, v76, v85, v40 op_sel_hi:[1,0,1]
	ds_read2_b64 v[40:43], v75 offset0:128 offset1:160
	v_pk_fma_f16 v46, v77, v85, v46 op_sel_hi:[1,0,1]
	v_pk_fma_f16 v47, v78, v85, v47 op_sel:[0,1,0]
	v_pk_fma_f16 v46, v79, v85, v46 op_sel:[0,1,0]
	ds_read2_b64 v[76:79], v75 offset0:192 offset1:224
	s_waitcnt lgkmcnt(1)
	v_pk_fma_f16 v40, v40, v86, v47 op_sel_hi:[1,0,1]
	v_pk_fma_f16 v41, v41, v86, v46 op_sel_hi:[1,0,1]
	v_pk_fma_f16 v40, v42, v86, v40 op_sel:[0,1,0]
	v_add_u32_e32 v75, 0x3000, v45
	v_pk_fma_f16 v46, v43, v86, v41 op_sel:[0,1,0]
	s_waitcnt lgkmcnt(0)
	v_pk_fma_f16 v47, v76, v87, v40 op_sel_hi:[1,0,1]
	ds_read2_b64 v[40:43], v75 offset1:32
	ds_read_b128 v[80:83], v3 offset:96
	v_pk_fma_f16 v46, v77, v87, v46 op_sel_hi:[1,0,1]
	v_pk_fma_f16 v47, v78, v87, v47 op_sel:[0,1,0]
	v_pk_fma_f16 v46, v79, v87, v46 op_sel:[0,1,0]
	ds_read2_b64 v[84:87], v75 offset0:64 offset1:96
	s_waitcnt lgkmcnt(1)
	v_pk_fma_f16 v40, v40, v80, v47 op_sel_hi:[1,0,1]
	v_pk_fma_f16 v41, v41, v80, v46 op_sel_hi:[1,0,1]
	v_pk_fma_f16 v46, v42, v80, v40 op_sel:[0,1,0]
	v_pk_fma_f16 v47, v43, v80, v41 op_sel:[0,1,0]
	ds_read2_b64 v[40:43], v75 offset0:128 offset1:160
	s_waitcnt lgkmcnt(1)
	v_pk_fma_f16 v46, v84, v81, v46 op_sel_hi:[1,0,1]
	v_pk_fma_f16 v47, v85, v81, v47 op_sel_hi:[1,0,1]
	v_pk_fma_f16 v46, v86, v81, v46 op_sel:[0,1,0]
	v_pk_fma_f16 v47, v87, v81, v47 op_sel:[0,1,0]
	ds_read2_b64 v[84:87], v75 offset0:192 offset1:224
	s_waitcnt lgkmcnt(1)
	v_pk_fma_f16 v40, v40, v82, v46 op_sel_hi:[1,0,1]
	v_pk_fma_f16 v41, v41, v82, v47 op_sel_hi:[1,0,1]
	v_add_u32_e32 v75, 0x3800, v45
	ds_read_b128 v[76:79], v3 offset:112
	v_pk_fma_f16 v46, v42, v82, v40 op_sel:[0,1,0]
	v_pk_fma_f16 v47, v43, v82, v41 op_sel:[0,1,0]
	ds_read2_b64 v[40:43], v75 offset1:32
	s_waitcnt lgkmcnt(2)
	v_pk_fma_f16 v46, v84, v83, v46 op_sel_hi:[1,0,1]
	v_pk_fma_f16 v47, v85, v83, v47 op_sel_hi:[1,0,1]
	v_pk_fma_f16 v46, v86, v83, v46 op_sel:[0,1,0]
	v_pk_fma_f16 v47, v87, v83, v47 op_sel:[0,1,0]
	ds_read2_b64 v[80:83], v75 offset0:64 offset1:96
	s_waitcnt lgkmcnt(1)
	v_pk_fma_f16 v40, v40, v76, v46 op_sel_hi:[1,0,1]
	v_pk_fma_f16 v41, v41, v76, v47 op_sel_hi:[1,0,1]
	v_pk_fma_f16 v46, v42, v76, v40 op_sel:[0,1,0]
	v_pk_fma_f16 v47, v43, v76, v41 op_sel:[0,1,0]
	ds_read2_b64 v[40:43], v75 offset0:128 offset1:160
	;; [unrolled: 6-line block ×3, first 2 shown]
	s_waitcnt lgkmcnt(0)
	s_barrier
	s_load_dword s23, s[10:11], 0x4
	v_pk_fma_f16 v40, v40, v78, v46 op_sel_hi:[1,0,1]
	v_pk_fma_f16 v41, v41, v78, v47 op_sel_hi:[1,0,1]
	v_pk_fma_f16 v40, v42, v78, v40 op_sel:[0,1,0]
	v_pk_fma_f16 v41, v43, v78, v41 op_sel:[0,1,0]
	s_waitcnt lgkmcnt(0)
	s_lshl_b32 s23, s23, 6
	v_pk_fma_f16 v40, v80, v79, v40 op_sel_hi:[1,0,1]
	v_pk_fma_f16 v41, v81, v79, v41 op_sel_hi:[1,0,1]
	s_add_i32 s38, s23, s38
	v_pk_fma_f16 v46, v82, v79, v40 op_sel:[0,1,0]
	s_cmp_lt_i32 s38, s16
	v_pk_fma_f16 v47, v83, v79, v41 op_sel:[0,1,0]
	s_cbranch_scc0 .LBB65_16
; %bb.14:                               ;   in Loop: Header=BB65_8 Depth=1
	v_mov_b32_e32 v76, v6
	v_mov_b32_e32 v75, v7
	s_branch .LBB65_8
.LBB65_15:
	v_mov_b32_e32 v46, 0
.LBB65_16:
	s_cmp_gt_i32 s14, s38
	s_cbranch_scc1 .LBB65_18
; %bb.17:
	v_mbcnt_hi_u32_b32 v16, -1, v51
	v_and_b32_e32 v2, 0x60, v16
	v_add_u32_e32 v17, 32, v2
	v_xor_b32_e32 v18, 16, v16
	v_xor_b32_e32 v19, 8, v16
	;; [unrolled: 1-line block ×5, first 2 shown]
	v_pk_mov_b32 v[8:9], v[6:7], v[6:7] op_sel:[0,1]
	s_cbranch_execz .LBB65_19
	s_branch .LBB65_29
.LBB65_18:
                                        ; implicit-def: $vgpr16
                                        ; implicit-def: $vgpr17
                                        ; implicit-def: $vgpr18
                                        ; implicit-def: $vgpr19
                                        ; implicit-def: $vgpr20
                                        ; implicit-def: $vgpr21
                                        ; implicit-def: $vgpr22
                                        ; implicit-def: $vgpr8_vgpr9
.LBB65_19:
	s_mul_hi_i32 s7, s38, s12
	s_mul_i32 s6, s38, s12
	v_lshl_add_u32 v2, v48, 1, v1
	s_sub_i32 s39, s14, s38
	s_lshl_b64 s[6:7], s[6:7], 2
	v_lshlrev_b32_e32 v9, 2, v0
	v_mul_lo_u32 v0, s12, v2
	s_add_u32 s20, s13, s6
	v_ashrrev_i32_e32 v1, 31, v0
	s_addc_u32 s21, s15, s7
	v_lshlrev_b64 v[10:11], 2, v[0:1]
	v_mov_b32_e32 v1, s21
	v_add_co_u32_e32 v3, vcc, s20, v10
	v_addc_co_u32_e32 v1, vcc, v1, v11, vcc
	s_mov_b64 s[6:7], src_private_base
	v_add_co_u32_e32 v3, vcc, v3, v9
	v_mov_b32_e32 v8, 0
	v_addc_co_u32_e32 v1, vcc, 0, v1, vcc
	v_mov_b32_e32 v22, s7
	v_cmp_gt_i32_e64 s[6:7], s39, v2
	v_mov_b32_e32 v23, 0
	buffer_store_dword v8, off, s[0:3], 0
	buffer_store_dword v8, off, s[0:3], 0 offset:8
	buffer_store_dword v8, off, s[0:3], 0 offset:4
	;; [unrolled: 1-line block ×3, first 2 shown]
	v_cndmask_b32_e64 v11, v22, v1, s[6:7]
	v_cndmask_b32_e64 v10, v23, v3, s[6:7]
	flat_load_dwordx4 v[10:13], v[10:11]
	s_lshl_b32 s23, s12, 3
	v_add_u32_e32 v0, s23, v0
	v_ashrrev_i32_e32 v1, 31, v0
	v_lshlrev_b64 v[14:15], 2, v[0:1]
	v_mov_b32_e32 v16, s21
	v_add_co_u32_e32 v1, vcc, s20, v14
	v_addc_co_u32_e32 v14, vcc, v16, v15, vcc
	s_movk_i32 s10, 0x110
	v_add_u32_e32 v3, 8, v2
	v_add_co_u32_e32 v1, vcc, v1, v9
	v_mad_u32_u24 v24, v2, s10, v9
	v_addc_co_u32_e32 v14, vcc, 0, v14, vcc
	v_cmp_gt_i32_e64 s[10:11], s39, v3
	buffer_store_dword v8, off, s[0:3], 0
	buffer_store_dword v8, off, s[0:3], 0 offset:8
	buffer_store_dword v8, off, s[0:3], 0 offset:4
	;; [unrolled: 1-line block ×3, first 2 shown]
	v_cndmask_b32_e64 v15, v22, v14, s[10:11]
	v_cndmask_b32_e64 v14, v23, v1, s[10:11]
	v_add_u32_e32 v0, s23, v0
	v_ashrrev_i32_e32 v1, 31, v0
	v_lshlrev_b64 v[16:17], 2, v[0:1]
	v_add_co_u32_e32 v1, vcc, s20, v16
	v_add_u32_e32 v0, s23, v0
	v_mov_b32_e32 v18, s21
	v_mov_b32_e32 v20, s21
	v_mul_lo_u32 v30, v52, s22
	s_cmp_lg_u64 s[30:31], 0
	s_waitcnt vmcnt(0) lgkmcnt(0)
	ds_write_b128 v24, v[10:13]
	flat_load_dwordx4 v[12:15], v[14:15]
	v_mov_b32_e32 v11, s21
	v_addc_co_u32_e32 v11, vcc, v11, v17, vcc
	v_add_u32_e32 v10, 16, v2
	v_add_co_u32_e32 v1, vcc, v1, v9
	v_addc_co_u32_e32 v11, vcc, 0, v11, vcc
	v_cmp_gt_i32_e64 s[24:25], s39, v10
	v_cndmask_b32_e64 v17, v22, v11, s[24:25]
	v_cndmask_b32_e64 v16, v23, v1, s[24:25]
	buffer_store_dword v8, off, s[0:3], 0
	buffer_store_dword v8, off, s[0:3], 0 offset:8
	buffer_store_dword v8, off, s[0:3], 0 offset:4
	;; [unrolled: 1-line block ×3, first 2 shown]
	v_ashrrev_i32_e32 v1, 31, v0
	v_add_u32_e32 v11, 24, v2
	v_cmp_gt_i32_e64 s[12:13], s39, v11
	s_waitcnt vmcnt(0) lgkmcnt(0)
	ds_write_b128 v24, v[12:15] offset:2176
	flat_load_dwordx4 v[12:15], v[16:17]
	v_lshlrev_b64 v[16:17], 2, v[0:1]
	v_add_co_u32_e32 v1, vcc, s20, v16
	v_addc_co_u32_e32 v16, vcc, v18, v17, vcc
	v_add_co_u32_e32 v1, vcc, v1, v9
	v_addc_co_u32_e32 v16, vcc, 0, v16, vcc
	v_cndmask_b32_e64 v17, v22, v16, s[12:13]
	v_cndmask_b32_e64 v16, v23, v1, s[12:13]
	buffer_store_dword v8, off, s[0:3], 0
	buffer_store_dword v8, off, s[0:3], 0 offset:8
	buffer_store_dword v8, off, s[0:3], 0 offset:4
	;; [unrolled: 1-line block ×3, first 2 shown]
	v_add_u32_e32 v0, s23, v0
	v_ashrrev_i32_e32 v1, 31, v0
	v_lshlrev_b64 v[18:19], 2, v[0:1]
	v_add_co_u32_e32 v1, vcc, s20, v18
	v_add_u32_e32 v0, s23, v0
	s_waitcnt vmcnt(0) lgkmcnt(0)
	ds_write_b128 v24, v[12:15] offset:4352
	flat_load_dwordx4 v[14:17], v[16:17]
	v_mov_b32_e32 v13, s21
	v_addc_co_u32_e32 v13, vcc, v13, v19, vcc
	v_add_u32_e32 v12, 32, v2
	v_add_co_u32_e32 v1, vcc, v1, v9
	v_addc_co_u32_e32 v13, vcc, 0, v13, vcc
	v_cmp_gt_i32_e64 s[14:15], s39, v12
	v_cndmask_b32_e64 v19, v22, v13, s[14:15]
	v_cndmask_b32_e64 v18, v23, v1, s[14:15]
	buffer_store_dword v8, off, s[0:3], 0
	buffer_store_dword v8, off, s[0:3], 0 offset:8
	buffer_store_dword v8, off, s[0:3], 0 offset:4
	;; [unrolled: 1-line block ×3, first 2 shown]
	v_ashrrev_i32_e32 v1, 31, v0
	v_add_u32_e32 v13, 40, v2
	v_cmp_gt_i32_e64 s[16:17], s39, v13
	s_waitcnt vmcnt(0) lgkmcnt(0)
	ds_write_b128 v24, v[14:17] offset:6528
	flat_load_dwordx4 v[14:17], v[18:19]
	v_lshlrev_b64 v[18:19], 2, v[0:1]
	v_add_co_u32_e32 v1, vcc, s20, v18
	v_addc_co_u32_e32 v18, vcc, v20, v19, vcc
	v_add_co_u32_e32 v1, vcc, v1, v9
	v_addc_co_u32_e32 v18, vcc, 0, v18, vcc
	v_cndmask_b32_e64 v19, v22, v18, s[16:17]
	v_cndmask_b32_e64 v18, v23, v1, s[16:17]
	buffer_store_dword v8, off, s[0:3], 0
	buffer_store_dword v8, off, s[0:3], 0 offset:8
	buffer_store_dword v8, off, s[0:3], 0 offset:4
	buffer_store_dword v8, off, s[0:3], 0 offset:12
	v_add_u32_e32 v0, s23, v0
	v_ashrrev_i32_e32 v1, 31, v0
	v_lshlrev_b64 v[20:21], 2, v[0:1]
	v_add_co_u32_e32 v1, vcc, s20, v20
	v_add_u32_e32 v0, s23, v0
	s_cselect_b64 s[22:23], -1, 0
	s_waitcnt vmcnt(0) lgkmcnt(0)
	ds_write_b128 v24, v[14:17] offset:8704
	flat_load_dwordx4 v[16:19], v[18:19]
	v_mov_b32_e32 v15, s21
	v_addc_co_u32_e32 v15, vcc, v15, v21, vcc
	v_add_u32_e32 v14, 48, v2
	v_add_co_u32_e32 v1, vcc, v1, v9
	v_addc_co_u32_e32 v15, vcc, 0, v15, vcc
	v_cmp_gt_i32_e64 s[18:19], s39, v14
	v_cndmask_b32_e64 v21, v22, v15, s[18:19]
	v_cndmask_b32_e64 v20, v23, v1, s[18:19]
	buffer_store_dword v8, off, s[0:3], 0
	buffer_store_dword v8, off, s[0:3], 0 offset:8
	buffer_store_dword v8, off, s[0:3], 0 offset:4
	buffer_store_dword v8, off, s[0:3], 0 offset:12
	v_ashrrev_i32_e32 v1, 31, v0
	v_lshlrev_b64 v[0:1], 2, v[0:1]
	v_add_co_u32_e32 v0, vcc, s20, v0
	v_add_u32_e32 v15, 56, v2
	s_waitcnt vmcnt(0) lgkmcnt(0)
	ds_write_b128 v24, v[16:19] offset:10880
	flat_load_dwordx4 v[16:19], v[20:21]
	v_mov_b32_e32 v20, s21
	v_addc_co_u32_e32 v1, vcc, v20, v1, vcc
	v_add_co_u32_e32 v0, vcc, v0, v9
	v_addc_co_u32_e32 v1, vcc, 0, v1, vcc
	v_cmp_gt_i32_e64 s[20:21], s39, v15
	v_cndmask_b32_e64 v1, v22, v1, s[20:21]
	v_cndmask_b32_e64 v0, v23, v0, s[20:21]
	buffer_store_dword v8, off, s[0:3], 0
	buffer_store_dword v8, off, s[0:3], 0 offset:8
	buffer_store_dword v8, off, s[0:3], 0 offset:4
	;; [unrolled: 1-line block ×3, first 2 shown]
	v_cmp_gt_i32_e32 vcc, s39, v4
	s_waitcnt vmcnt(0) lgkmcnt(0)
	ds_write_b128 v24, v[16:19] offset:13056
	flat_load_dwordx4 v[18:21], v[0:1]
	v_mul_u32_u24_e32 v16, 0x110, v4
	v_lshlrev_b32_e32 v17, 8, v48
	v_mov_b32_e32 v0, 0
	v_mov_b32_e32 v1, 0
	s_waitcnt vmcnt(0) lgkmcnt(0)
	ds_write_b128 v24, v[18:21] offset:15232
	s_waitcnt lgkmcnt(0)
	s_barrier
	ds_read_b128 v[18:21], v16
	ds_read_b128 v[22:25], v17 offset:17408
	ds_read_b128 v[26:29], v16 offset:8704
	s_waitcnt lgkmcnt(1)
	;;#ASMSTART
	v_dot2_f32_f16 v0, v18, v22, v0
	;;#ASMEND
	;;#ASMSTART
	v_dot2_f32_f16 v0, v19, v23, v0
	;;#ASMEND
	;;#ASMSTART
	v_dot2_f32_f16 v0, v20, v24, v0
	;;#ASMEND
	;;#ASMSTART
	v_dot2_f32_f16 v0, v21, v25, v0
	;;#ASMEND
	s_waitcnt lgkmcnt(0)
	;;#ASMSTART
	v_dot2_f32_f16 v1, v26, v22, v1
	;;#ASMEND
	;;#ASMSTART
	v_dot2_f32_f16 v1, v27, v23, v1
	;;#ASMEND
	;;#ASMSTART
	v_dot2_f32_f16 v1, v28, v24, v1
	;;#ASMEND
	;;#ASMSTART
	v_dot2_f32_f16 v1, v29, v25, v1
	;;#ASMEND
	ds_read_b128 v[18:21], v16 offset:16
	ds_read_b128 v[22:25], v17 offset:17424
	ds_read_b128 v[26:29], v16 offset:8720
	s_waitcnt lgkmcnt(1)
	;;#ASMSTART
	v_dot2_f32_f16 v0, v18, v22, v0
	;;#ASMEND
	;;#ASMSTART
	v_dot2_f32_f16 v0, v19, v23, v0
	;;#ASMEND
	;;#ASMSTART
	v_dot2_f32_f16 v0, v20, v24, v0
	;;#ASMEND
	;;#ASMSTART
	v_dot2_f32_f16 v0, v21, v25, v0
	;;#ASMEND
	s_waitcnt lgkmcnt(0)
	;;#ASMSTART
	v_dot2_f32_f16 v1, v26, v22, v1
	;;#ASMEND
	;;#ASMSTART
	v_dot2_f32_f16 v1, v27, v23, v1
	;;#ASMEND
	;;#ASMSTART
	v_dot2_f32_f16 v1, v28, v24, v1
	;;#ASMEND
	;;#ASMSTART
	v_dot2_f32_f16 v1, v29, v25, v1
	;;#ASMEND
	ds_read_b128 v[18:21], v16 offset:32
	;; [unrolled: 29-line block ×14, first 2 shown]
	ds_read_b128 v[24:27], v17 offset:17632
	v_add_u32_e32 v18, s38, v30
	ds_read_b128 v[28:31], v16 offset:8928
	s_waitcnt lgkmcnt(1)
	;;#ASMSTART
	v_dot2_f32_f16 v0, v20, v24, v0
	;;#ASMEND
	;;#ASMSTART
	v_dot2_f32_f16 v0, v21, v25, v0
	;;#ASMEND
	;; [unrolled: 3-line block ×4, first 2 shown]
	s_waitcnt lgkmcnt(0)
	;;#ASMSTART
	v_dot2_f32_f16 v1, v28, v24, v1
	;;#ASMEND
	;;#ASMSTART
	v_dot2_f32_f16 v1, v29, v25, v1
	;;#ASMEND
	;; [unrolled: 3-line block ×4, first 2 shown]
	ds_read_b128 v[20:23], v16 offset:240
	ds_read_b128 v[24:27], v17 offset:17648
	;; [unrolled: 1-line block ×3, first 2 shown]
	s_waitcnt lgkmcnt(1)
	;;#ASMSTART
	v_dot2_f32_f16 v0, v20, v24, v0
	;;#ASMEND
	;;#ASMSTART
	v_dot2_f32_f16 v0, v21, v25, v0
	;;#ASMEND
	;;#ASMSTART
	v_dot2_f32_f16 v0, v22, v26, v0
	;;#ASMEND
	;;#ASMSTART
	v_dot2_f32_f16 v0, v23, v27, v0
	;;#ASMEND
	s_waitcnt lgkmcnt(0)
	;;#ASMSTART
	v_dot2_f32_f16 v1, v28, v24, v1
	;;#ASMEND
	v_cndmask_b32_e64 v17, 0, 1, s[22:23]
	;;#ASMSTART
	v_dot2_f32_f16 v1, v29, v25, v1
	;;#ASMEND
	v_cmp_ne_u32_e64 s[22:23], 1, v17
	;;#ASMSTART
	v_dot2_f32_f16 v1, v30, v26, v1
	;;#ASMEND
	v_mov_b32_e32 v19, v6
	;;#ASMSTART
	v_dot2_f32_f16 v1, v31, v27, v1
	;;#ASMEND
	s_and_saveexec_b64 s[34:35], vcc
	s_cbranch_execz .LBB65_23
; %bb.20:
	s_and_b64 vcc, exec, s[22:23]
	s_cbranch_vccnz .LBB65_22
; %bb.21:
	v_add_u32_e32 v16, v18, v4
	v_ashrrev_i32_e32 v17, 31, v16
	v_lshlrev_b64 v[16:17], 1, v[16:17]
	v_mov_b32_e32 v8, s31
	v_add_co_u32_e32 v16, vcc, s30, v16
	v_addc_co_u32_e32 v17, vcc, v8, v17, vcc
	flat_load_ushort v8, v[16:17]
	s_waitcnt vmcnt(0) lgkmcnt(0)
	v_cvt_f32_f16_e32 v8, v8
	v_mul_f32_e32 v8, v50, v8
.LBB65_22:
	v_add_f32_e32 v0, v0, v8
	v_add_f32_e32 v8, 0x40051340, v0
	v_max_f32_e32 v16, v6, v6
	v_max_f32_e32 v19, v16, v8
.LBB65_23:
	s_or_b64 exec, exec, s[34:35]
	v_add_u32_e32 v23, 32, v4
	v_cmp_gt_i32_e32 vcc, s39, v23
	s_and_saveexec_b64 s[34:35], vcc
	s_cbranch_execz .LBB65_28
; %bb.24:
	s_and_b64 vcc, exec, s[22:23]
	s_cbranch_vccnz .LBB65_26
; %bb.25:
	v_ashrrev_i32_e32 v8, 31, v18
	v_add_co_u32_e32 v16, vcc, v18, v4
	v_addc_co_u32_e32 v17, vcc, 0, v8, vcc
	v_lshlrev_b64 v[16:17], 1, v[16:17]
	v_mov_b32_e32 v8, s31
	v_add_co_u32_e32 v16, vcc, s30, v16
	v_addc_co_u32_e32 v17, vcc, v8, v17, vcc
	flat_load_ushort v8, v[16:17] offset:64
	s_waitcnt vmcnt(0) lgkmcnt(0)
	v_cvt_f32_f16_e32 v8, v8
	v_mul_f32_e32 v8, v50, v8
	s_branch .LBB65_27
.LBB65_26:
	v_mov_b32_e32 v8, 0
.LBB65_27:
	v_add_f32_e32 v1, v1, v8
	v_add_f32_e32 v8, 0x40051340, v1
	v_max_f32_e32 v16, v19, v19
	v_max_f32_e32 v19, v16, v8
.LBB65_28:
	s_or_b64 exec, exec, s[34:35]
	v_mbcnt_hi_u32_b32 v16, -1, v51
	v_and_b32_e32 v8, 0x60, v16
	v_add_u32_e32 v17, 32, v8
	v_xor_b32_e32 v18, 16, v16
	v_cmp_lt_i32_e32 vcc, v18, v17
	v_cndmask_b32_e32 v8, v16, v18, vcc
	v_lshlrev_b32_e32 v8, 2, v8
	ds_bpermute_b32 v8, v8, v19
	v_max_f32_e32 v20, v19, v19
	v_xor_b32_e32 v19, 8, v16
	v_cmp_lt_i32_e32 vcc, v19, v17
	s_mov_b32 s30, 0x3fb8aa3b
	s_waitcnt lgkmcnt(0)
	v_max_f32_e32 v8, v8, v8
	v_max_f32_e32 v8, v20, v8
	v_cndmask_b32_e32 v20, v16, v19, vcc
	v_lshlrev_b32_e32 v20, 2, v20
	ds_bpermute_b32 v21, v20, v8
	v_xor_b32_e32 v20, 4, v16
	v_cmp_lt_i32_e32 vcc, v20, v17
	s_mov_b32 s22, 0xc2ce8ed0
	s_mov_b32 s23, 0x42b17218
	s_waitcnt lgkmcnt(0)
	v_max_f32_e32 v21, v21, v21
	v_max_f32_e32 v8, v8, v21
	v_cndmask_b32_e32 v21, v16, v20, vcc
	v_lshlrev_b32_e32 v21, 2, v21
	ds_bpermute_b32 v22, v21, v8
	v_xor_b32_e32 v21, 2, v16
	v_cmp_lt_i32_e32 vcc, v21, v17
	s_movk_i32 s31, 0x4800
	s_mul_hi_i32 s35, s38, s8
	s_waitcnt lgkmcnt(0)
	v_max_f32_e32 v22, v22, v22
	v_max_f32_e32 v8, v8, v22
	v_cndmask_b32_e32 v22, v16, v21, vcc
	v_lshlrev_b32_e32 v22, 2, v22
	ds_bpermute_b32 v24, v22, v8
	v_xor_b32_e32 v22, 1, v16
	v_cmp_lt_i32_e32 vcc, v22, v17
	s_mul_i32 s34, s38, s8
	s_waitcnt lgkmcnt(0)
	v_max_f32_e32 v24, v24, v24
	v_max_f32_e32 v8, v8, v24
	v_cndmask_b32_e32 v24, v16, v22, vcc
	v_lshlrev_b32_e32 v24, 2, v24
	ds_bpermute_b32 v24, v24, v8
	s_barrier
	s_waitcnt lgkmcnt(0)
	s_lshl_b64 s[34:35], s[34:35], 2
	v_mov_b32_e32 v27, 0
	v_max_f32_e32 v24, v24, v24
	v_max_f32_e32 v8, v8, v24
	v_pk_add_f32 v[0:1], v[0:1], v[8:9] op_sel_hi:[1,0] neg_lo:[0,1] neg_hi:[0,1]
	v_mul_f32_e32 v24, 0x3fb8aa3b, v0
	v_fma_f32 v25, v0, s30, -v24
	v_rndne_f32_e32 v26, v24
	v_fmac_f32_e32 v25, 0x32a5705f, v0
	v_sub_f32_e32 v24, v24, v26
	v_add_f32_e32 v24, v24, v25
	v_exp_f32_e32 v24, v24
	v_cvt_i32_f32_e32 v25, v26
	v_cmp_ngt_f32_e32 vcc, s22, v0
	v_mov_b32_e32 v35, 0
	v_lshl_or_b32 v10, v10, 8, v9
	v_ldexp_f32 v24, v24, v25
	v_cndmask_b32_e32 v25, 0, v24, vcc
	v_mul_f32_e32 v24, 0x3fb8aa3b, v1
	v_fma_f32 v26, v1, s30, -v24
	v_rndne_f32_e32 v28, v24
	v_fmac_f32_e32 v26, 0x32a5705f, v1
	v_sub_f32_e32 v24, v24, v28
	v_add_f32_e32 v24, v24, v26
	v_exp_f32_e32 v26, v24
	v_cvt_i32_f32_e32 v28, v28
	v_mov_b32_e32 v24, 0x7f800000
	v_cmp_nlt_f32_e32 vcc, s23, v0
	v_cndmask_b32_e32 v0, v24, v25, vcc
	v_ldexp_f32 v25, v26, v28
	v_cmp_ngt_f32_e32 vcc, s22, v1
	v_cndmask_b32_e32 v25, 0, v25, vcc
	v_cmp_nlt_f32_e32 vcc, s23, v1
	v_cndmask_b32_e32 v1, v24, v25, vcc
	v_cmp_gt_u32_e32 vcc, s39, v23
	v_cndmask_b32_e32 v25, 0, v1, vcc
	v_cmp_gt_u32_e32 vcc, s39, v4
	v_cndmask_b32_e32 v26, 0, v0, vcc
	v_cvt_f16_f32_e32 v0, v26
	v_cvt_f16_f32_e32 v1, v25
	v_lshlrev_b32_e32 v23, 7, v48
	v_add3_u32 v28, v23, s31, v49
	ds_write_b16 v28, v0
	ds_write_b16 v28, v1 offset:64
	v_mul_lo_u32 v0, s8, v2
	s_add_u32 s31, s36, s34
	v_ashrrev_i32_e32 v1, 31, v0
	s_addc_u32 s34, s37, s35
	v_lshlrev_b64 v[28:29], 2, v[0:1]
	v_mov_b32_e32 v1, s34
	v_add_co_u32_e32 v28, vcc, s31, v28
	v_addc_co_u32_e32 v1, vcc, v1, v29, vcc
	s_mov_b64 s[36:37], src_private_base
	v_add_co_u32_e32 v28, vcc, v28, v9
	v_addc_co_u32_e32 v1, vcc, 0, v1, vcc
	v_mov_b32_e32 v34, s37
	buffer_store_dword v27, off, s[0:3], 0
	buffer_store_dword v27, off, s[0:3], 0 offset:8
	buffer_store_dword v27, off, s[0:3], 0 offset:4
	;; [unrolled: 1-line block ×3, first 2 shown]
	v_cndmask_b32_e64 v29, v34, v1, s[6:7]
	v_cndmask_b32_e64 v28, v35, v28, s[6:7]
	flat_load_dwordx4 v[28:31], v[28:29]
	s_lshl_b32 s6, s8, 3
	v_add_u32_e32 v0, s6, v0
	v_ashrrev_i32_e32 v1, 31, v0
	v_lshlrev_b64 v[32:33], 2, v[0:1]
	v_mov_b32_e32 v36, s34
	v_add_co_u32_e32 v1, vcc, s31, v32
	v_addc_co_u32_e32 v32, vcc, v36, v33, vcc
	v_add_co_u32_e32 v1, vcc, v1, v9
	v_lshl_or_b32 v2, v2, 8, v9
	v_addc_co_u32_e32 v32, vcc, 0, v32, vcc
	v_cndmask_b32_e64 v33, v34, v32, s[10:11]
	v_cndmask_b32_e64 v32, v35, v1, s[10:11]
	buffer_store_dword v27, off, s[0:3], 0
	buffer_store_dword v27, off, s[0:3], 0 offset:8
	buffer_store_dword v27, off, s[0:3], 0 offset:4
	;; [unrolled: 1-line block ×3, first 2 shown]
	v_lshl_or_b32 v12, v12, 8, v9
	v_add_u32_e32 v96, 0x1800, v45
	v_add_u32_e32 v112, 0x2000, v45
	;; [unrolled: 1-line block ×5, first 2 shown]
	v_add_f32_e32 v181, v26, v25
	s_waitcnt vmcnt(0) lgkmcnt(0)
	ds_write_b128 v2, v[28:31]
	flat_load_dwordx4 v[28:31], v[32:33]
	v_add_u32_e32 v32, s6, v0
	v_ashrrev_i32_e32 v33, 31, v32
	v_lshlrev_b64 v[0:1], 2, v[32:33]
	v_lshl_or_b32 v2, v3, 8, v9
	v_mov_b32_e32 v3, s34
	v_add_co_u32_e32 v0, vcc, s31, v0
	v_addc_co_u32_e32 v1, vcc, v3, v1, vcc
	v_add_co_u32_e32 v0, vcc, v0, v9
	v_addc_co_u32_e32 v1, vcc, 0, v1, vcc
	v_cndmask_b32_e64 v1, v34, v1, s[24:25]
	v_cndmask_b32_e64 v0, v35, v0, s[24:25]
	buffer_store_dword v27, off, s[0:3], 0
	buffer_store_dword v27, off, s[0:3], 0 offset:8
	buffer_store_dword v27, off, s[0:3], 0 offset:4
	;; [unrolled: 1-line block ×3, first 2 shown]
	v_mov_b32_e32 v33, s34
	s_waitcnt vmcnt(0) lgkmcnt(0)
	ds_write_b128 v2, v[28:31]
	flat_load_dwordx4 v[0:3], v[0:1]
	v_add_u32_e32 v28, s6, v32
	v_ashrrev_i32_e32 v29, 31, v28
	v_lshlrev_b64 v[30:31], 2, v[28:29]
	v_add_co_u32_e32 v29, vcc, s31, v30
	v_addc_co_u32_e32 v30, vcc, v33, v31, vcc
	v_add_co_u32_e32 v29, vcc, v29, v9
	v_addc_co_u32_e32 v30, vcc, 0, v30, vcc
	v_cndmask_b32_e64 v31, v34, v30, s[12:13]
	v_cndmask_b32_e64 v30, v35, v29, s[12:13]
	buffer_store_dword v27, off, s[0:3], 0
	buffer_store_dword v27, off, s[0:3], 0 offset:8
	buffer_store_dword v27, off, s[0:3], 0 offset:4
	;; [unrolled: 1-line block ×3, first 2 shown]
	s_waitcnt vmcnt(0) lgkmcnt(0)
	ds_write_b128 v10, v[0:3]
	flat_load_dwordx4 v[0:3], v[30:31]
	v_add_u32_e32 v10, s6, v28
	v_lshl_or_b32 v30, v11, 8, v9
	v_ashrrev_i32_e32 v11, 31, v10
	v_lshlrev_b64 v[28:29], 2, v[10:11]
	v_mov_b32_e32 v31, s34
	v_add_co_u32_e32 v11, vcc, s31, v28
	v_addc_co_u32_e32 v28, vcc, v31, v29, vcc
	v_add_co_u32_e32 v11, vcc, v11, v9
	v_addc_co_u32_e32 v28, vcc, 0, v28, vcc
	v_cndmask_b32_e64 v29, v34, v28, s[14:15]
	v_cndmask_b32_e64 v28, v35, v11, s[14:15]
	buffer_store_dword v27, off, s[0:3], 0
	buffer_store_dword v27, off, s[0:3], 0 offset:8
	buffer_store_dword v27, off, s[0:3], 0 offset:4
	buffer_store_dword v27, off, s[0:3], 0 offset:12
	v_add_u32_e32 v10, s6, v10
	v_ashrrev_i32_e32 v11, 31, v10
	s_waitcnt vmcnt(0) lgkmcnt(0)
	ds_write_b128 v30, v[0:3]
	flat_load_dwordx4 v[0:3], v[28:29]
	v_lshlrev_b64 v[28:29], 2, v[10:11]
	v_mov_b32_e32 v30, s34
	v_add_co_u32_e32 v11, vcc, s31, v28
	v_addc_co_u32_e32 v28, vcc, v30, v29, vcc
	v_add_co_u32_e32 v11, vcc, v11, v9
	v_addc_co_u32_e32 v28, vcc, 0, v28, vcc
	v_cndmask_b32_e64 v29, v34, v28, s[16:17]
	v_cndmask_b32_e64 v28, v35, v11, s[16:17]
	buffer_store_dword v27, off, s[0:3], 0
	buffer_store_dword v27, off, s[0:3], 0 offset:8
	buffer_store_dword v27, off, s[0:3], 0 offset:4
	;; [unrolled: 1-line block ×3, first 2 shown]
	v_add_u32_e32 v10, s6, v10
	v_ashrrev_i32_e32 v11, 31, v10
	s_waitcnt vmcnt(0) lgkmcnt(0)
	ds_write_b128 v12, v[0:3]
	flat_load_dwordx4 v[0:3], v[28:29]
	v_lshl_or_b32 v28, v13, 8, v9
	v_lshlrev_b64 v[12:13], 2, v[10:11]
	v_mov_b32_e32 v29, s34
	v_add_co_u32_e32 v11, vcc, s31, v12
	v_addc_co_u32_e32 v12, vcc, v29, v13, vcc
	v_add_co_u32_e32 v11, vcc, v11, v9
	v_addc_co_u32_e32 v12, vcc, 0, v12, vcc
	v_cndmask_b32_e64 v13, v34, v12, s[18:19]
	v_cndmask_b32_e64 v12, v35, v11, s[18:19]
	buffer_store_dword v27, off, s[0:3], 0
	buffer_store_dword v27, off, s[0:3], 0 offset:8
	buffer_store_dword v27, off, s[0:3], 0 offset:4
	;; [unrolled: 1-line block ×3, first 2 shown]
	v_add_u32_e32 v10, s6, v10
	v_ashrrev_i32_e32 v11, 31, v10
	v_lshlrev_b64 v[10:11], 2, v[10:11]
	v_add_co_u32_e32 v10, vcc, s31, v10
	s_waitcnt vmcnt(0) lgkmcnt(0)
	ds_write_b128 v28, v[0:3]
	flat_load_dwordx4 v[0:3], v[12:13]
	v_mov_b32_e32 v13, s34
	v_addc_co_u32_e32 v11, vcc, v13, v11, vcc
	v_add_co_u32_e32 v10, vcc, v10, v9
	v_lshl_or_b32 v12, v14, 8, v9
	v_addc_co_u32_e32 v11, vcc, 0, v11, vcc
	v_cndmask_b32_e64 v11, v34, v11, s[20:21]
	v_cndmask_b32_e64 v10, v35, v10, s[20:21]
	buffer_store_dword v27, off, s[0:3], 0
	buffer_store_dword v27, off, s[0:3], 0 offset:8
	buffer_store_dword v27, off, s[0:3], 0 offset:4
	;; [unrolled: 1-line block ×3, first 2 shown]
	v_lshl_or_b32 v9, v15, 8, v9
	v_add_u32_e32 v14, 0x800, v45
	v_add_u32_e32 v15, 0x1000, v45
	s_waitcnt vmcnt(0) lgkmcnt(0)
	ds_write_b128 v12, v[0:3]
	flat_load_dwordx4 v[0:3], v[10:11]
	v_sub_f32_e32 v10, v6, v8
	v_mul_f32_e32 v6, 0x3fb8aa3b, v10
	v_fma_f32 v11, v10, s30, -v6
	v_rndne_f32_e32 v12, v6
	v_fmac_f32_e32 v11, 0x32a5705f, v10
	v_sub_f32_e32 v6, v6, v12
	v_add_f32_e32 v6, v6, v11
	v_cvt_i32_f32_e32 v12, v12
	v_exp_f32_e32 v11, v6
	v_cmp_ngt_f32_e32 vcc, s22, v10
	v_mov_b32_e32 v6, v8
	v_ldexp_f32 v11, v11, v12
	v_cndmask_b32_e32 v11, 0, v11, vcc
	v_cmp_nlt_f32_e32 vcc, s23, v10
	v_cndmask_b32_e32 v10, v24, v11, vcc
	v_cvt_f16_f32_e32 v180, v10
	v_fmac_f32_e32 v181, v7, v10
	v_mov_b32_e32 v7, v181
	s_waitcnt vmcnt(0) lgkmcnt(0)
	ds_write_b128 v9, v[0:3]
	s_waitcnt lgkmcnt(0)
	s_barrier
	ds_read2_b64 v[0:3], v45 offset1:32
	ds_read_b128 v[10:13], v23 offset:18432
	ds_read_b128 v[24:27], v23 offset:18448
	;; [unrolled: 1-line block ×4, first 2 shown]
	ds_read2_b64 v[36:39], v45 offset0:64 offset1:96
	ds_read2_b64 v[40:43], v45 offset0:128 offset1:160
	ds_read2_b64 v[48:51], v45 offset0:192 offset1:224
	ds_read2_b64 v[52:55], v14 offset1:32
	ds_read2_b64 v[56:59], v14 offset0:64 offset1:96
	ds_read2_b64 v[60:63], v14 offset0:128 offset1:160
	ds_read2_b64 v[64:67], v14 offset0:192 offset1:224
	ds_read2_b64 v[68:71], v15 offset1:32
	;; [unrolled: 4-line block ×5, first 2 shown]
	ds_read_b128 v[120:123], v23 offset:18496
	ds_read_b128 v[124:127], v23 offset:18512
	ds_read2_b64 v[128:131], v136 offset0:64 offset1:96
	ds_read2_b64 v[132:135], v136 offset0:128 offset1:160
	;; [unrolled: 1-line block ×3, first 2 shown]
	ds_read2_b64 v[140:143], v152 offset1:32
	ds_read2_b64 v[144:147], v152 offset0:64 offset1:96
	ds_read2_b64 v[148:151], v152 offset0:128 offset1:160
	;; [unrolled: 1-line block ×3, first 2 shown]
	ds_read2_b64 v[156:159], v176 offset1:32
	ds_read_b128 v[160:163], v23 offset:18528
	ds_read_b128 v[164:167], v23 offset:18544
	ds_read2_b64 v[168:171], v176 offset0:64 offset1:96
	ds_read2_b64 v[172:175], v176 offset0:128 offset1:160
	;; [unrolled: 1-line block ×3, first 2 shown]
	s_waitcnt lgkmcnt(14)
	v_pk_mul_f16 v0, v0, v10 op_sel_hi:[1,0]
	v_pk_mul_f16 v1, v1, v10 op_sel_hi:[1,0]
	v_pk_fma_f16 v0, v46, v180, v0 op_sel_hi:[1,0,1]
	v_pk_fma_f16 v1, v47, v180, v1 op_sel_hi:[1,0,1]
	v_pk_fma_f16 v0, v2, v10, v0 op_sel:[0,1,0]
	v_pk_fma_f16 v1, v3, v10, v1 op_sel:[0,1,0]
	v_pk_fma_f16 v0, v36, v11, v0 op_sel_hi:[1,0,1]
	v_pk_fma_f16 v1, v37, v11, v1 op_sel_hi:[1,0,1]
	v_pk_fma_f16 v0, v38, v11, v0 op_sel:[0,1,0]
	v_pk_fma_f16 v1, v39, v11, v1 op_sel:[0,1,0]
	v_pk_fma_f16 v0, v40, v12, v0 op_sel_hi:[1,0,1]
	v_pk_fma_f16 v1, v41, v12, v1 op_sel_hi:[1,0,1]
	v_pk_fma_f16 v0, v42, v12, v0 op_sel:[0,1,0]
	v_pk_fma_f16 v1, v43, v12, v1 op_sel:[0,1,0]
	v_pk_fma_f16 v0, v48, v13, v0 op_sel_hi:[1,0,1]
	v_pk_fma_f16 v1, v49, v13, v1 op_sel_hi:[1,0,1]
	v_pk_fma_f16 v0, v50, v13, v0 op_sel:[0,1,0]
	v_pk_fma_f16 v1, v51, v13, v1 op_sel:[0,1,0]
	v_pk_fma_f16 v0, v52, v24, v0 op_sel_hi:[1,0,1]
	v_pk_fma_f16 v1, v53, v24, v1 op_sel_hi:[1,0,1]
	v_pk_fma_f16 v0, v54, v24, v0 op_sel:[0,1,0]
	v_pk_fma_f16 v1, v55, v24, v1 op_sel:[0,1,0]
	v_pk_fma_f16 v0, v56, v25, v0 op_sel_hi:[1,0,1]
	v_pk_fma_f16 v1, v57, v25, v1 op_sel_hi:[1,0,1]
	v_pk_fma_f16 v0, v58, v25, v0 op_sel:[0,1,0]
	v_pk_fma_f16 v1, v59, v25, v1 op_sel:[0,1,0]
	v_pk_fma_f16 v0, v60, v26, v0 op_sel_hi:[1,0,1]
	v_pk_fma_f16 v1, v61, v26, v1 op_sel_hi:[1,0,1]
	v_pk_fma_f16 v0, v62, v26, v0 op_sel:[0,1,0]
	v_pk_fma_f16 v1, v63, v26, v1 op_sel:[0,1,0]
	v_pk_fma_f16 v0, v64, v27, v0 op_sel_hi:[1,0,1]
	v_pk_fma_f16 v1, v65, v27, v1 op_sel_hi:[1,0,1]
	v_pk_fma_f16 v0, v66, v27, v0 op_sel:[0,1,0]
	v_pk_fma_f16 v1, v67, v27, v1 op_sel:[0,1,0]
	v_pk_fma_f16 v0, v68, v28, v0 op_sel_hi:[1,0,1]
	v_pk_fma_f16 v1, v69, v28, v1 op_sel_hi:[1,0,1]
	v_pk_fma_f16 v0, v70, v28, v0 op_sel:[0,1,0]
	v_pk_fma_f16 v1, v71, v28, v1 op_sel:[0,1,0]
	v_pk_fma_f16 v0, v72, v29, v0 op_sel_hi:[1,0,1]
	v_pk_fma_f16 v1, v73, v29, v1 op_sel_hi:[1,0,1]
	v_pk_fma_f16 v0, v74, v29, v0 op_sel:[0,1,0]
	v_pk_fma_f16 v1, v75, v29, v1 op_sel:[0,1,0]
	v_pk_fma_f16 v0, v76, v30, v0 op_sel_hi:[1,0,1]
	v_pk_fma_f16 v1, v77, v30, v1 op_sel_hi:[1,0,1]
	v_pk_fma_f16 v0, v78, v30, v0 op_sel:[0,1,0]
	v_pk_fma_f16 v1, v79, v30, v1 op_sel:[0,1,0]
	v_pk_fma_f16 v0, v80, v31, v0 op_sel_hi:[1,0,1]
	v_pk_fma_f16 v1, v81, v31, v1 op_sel_hi:[1,0,1]
	v_pk_fma_f16 v0, v82, v31, v0 op_sel:[0,1,0]
	v_pk_fma_f16 v1, v83, v31, v1 op_sel:[0,1,0]
	v_pk_fma_f16 v0, v84, v32, v0 op_sel_hi:[1,0,1]
	v_pk_fma_f16 v1, v85, v32, v1 op_sel_hi:[1,0,1]
	v_pk_fma_f16 v0, v86, v32, v0 op_sel:[0,1,0]
	v_pk_fma_f16 v1, v87, v32, v1 op_sel:[0,1,0]
	v_pk_fma_f16 v0, v88, v33, v0 op_sel_hi:[1,0,1]
	v_pk_fma_f16 v1, v89, v33, v1 op_sel_hi:[1,0,1]
	v_pk_fma_f16 v0, v90, v33, v0 op_sel:[0,1,0]
	v_pk_fma_f16 v1, v91, v33, v1 op_sel:[0,1,0]
	v_pk_fma_f16 v0, v92, v34, v0 op_sel_hi:[1,0,1]
	v_pk_fma_f16 v1, v93, v34, v1 op_sel_hi:[1,0,1]
	v_pk_fma_f16 v0, v94, v34, v0 op_sel:[0,1,0]
	v_pk_fma_f16 v1, v95, v34, v1 op_sel:[0,1,0]
	v_pk_fma_f16 v0, v96, v35, v0 op_sel_hi:[1,0,1]
	v_pk_fma_f16 v1, v97, v35, v1 op_sel_hi:[1,0,1]
	v_pk_fma_f16 v0, v98, v35, v0 op_sel:[0,1,0]
	v_pk_fma_f16 v1, v99, v35, v1 op_sel:[0,1,0]
	v_pk_fma_f16 v0, v100, v120, v0 op_sel_hi:[1,0,1]
	v_pk_fma_f16 v1, v101, v120, v1 op_sel_hi:[1,0,1]
	v_pk_fma_f16 v0, v102, v120, v0 op_sel:[0,1,0]
	v_pk_fma_f16 v1, v103, v120, v1 op_sel:[0,1,0]
	v_pk_fma_f16 v0, v104, v121, v0 op_sel_hi:[1,0,1]
	v_pk_fma_f16 v1, v105, v121, v1 op_sel_hi:[1,0,1]
	v_pk_fma_f16 v0, v106, v121, v0 op_sel:[0,1,0]
	v_pk_fma_f16 v1, v107, v121, v1 op_sel:[0,1,0]
	v_pk_fma_f16 v0, v108, v122, v0 op_sel_hi:[1,0,1]
	v_pk_fma_f16 v1, v109, v122, v1 op_sel_hi:[1,0,1]
	v_pk_fma_f16 v0, v110, v122, v0 op_sel:[0,1,0]
	v_pk_fma_f16 v1, v111, v122, v1 op_sel:[0,1,0]
	v_pk_fma_f16 v0, v112, v123, v0 op_sel_hi:[1,0,1]
	v_pk_fma_f16 v1, v113, v123, v1 op_sel_hi:[1,0,1]
	v_pk_fma_f16 v0, v114, v123, v0 op_sel:[0,1,0]
	v_pk_fma_f16 v1, v115, v123, v1 op_sel:[0,1,0]
	s_waitcnt lgkmcnt(13)
	v_pk_fma_f16 v0, v116, v124, v0 op_sel_hi:[1,0,1]
	v_pk_fma_f16 v1, v117, v124, v1 op_sel_hi:[1,0,1]
	v_pk_fma_f16 v0, v118, v124, v0 op_sel:[0,1,0]
	v_pk_fma_f16 v1, v119, v124, v1 op_sel:[0,1,0]
	s_waitcnt lgkmcnt(12)
	v_pk_fma_f16 v0, v128, v125, v0 op_sel_hi:[1,0,1]
	v_pk_fma_f16 v1, v129, v125, v1 op_sel_hi:[1,0,1]
	v_pk_fma_f16 v0, v130, v125, v0 op_sel:[0,1,0]
	v_pk_fma_f16 v1, v131, v125, v1 op_sel:[0,1,0]
	;; [unrolled: 5-line block ×5, first 2 shown]
	v_pk_fma_f16 v0, v144, v161, v0 op_sel_hi:[1,0,1]
	v_pk_fma_f16 v1, v145, v161, v1 op_sel_hi:[1,0,1]
	v_pk_fma_f16 v0, v146, v161, v0 op_sel:[0,1,0]
	v_pk_fma_f16 v1, v147, v161, v1 op_sel:[0,1,0]
	v_pk_fma_f16 v0, v148, v162, v0 op_sel_hi:[1,0,1]
	v_pk_fma_f16 v1, v149, v162, v1 op_sel_hi:[1,0,1]
	v_pk_fma_f16 v0, v150, v162, v0 op_sel:[0,1,0]
	v_pk_fma_f16 v1, v151, v162, v1 op_sel:[0,1,0]
	;; [unrolled: 4-line block ×3, first 2 shown]
	s_waitcnt lgkmcnt(3)
	v_pk_fma_f16 v0, v156, v164, v0 op_sel_hi:[1,0,1]
	v_pk_fma_f16 v1, v157, v164, v1 op_sel_hi:[1,0,1]
	v_pk_fma_f16 v0, v158, v164, v0 op_sel:[0,1,0]
	v_pk_fma_f16 v1, v159, v164, v1 op_sel:[0,1,0]
	s_waitcnt lgkmcnt(2)
	v_pk_fma_f16 v0, v168, v165, v0 op_sel_hi:[1,0,1]
	v_pk_fma_f16 v1, v169, v165, v1 op_sel_hi:[1,0,1]
	v_pk_fma_f16 v0, v170, v165, v0 op_sel:[0,1,0]
	v_pk_fma_f16 v1, v171, v165, v1 op_sel:[0,1,0]
	;; [unrolled: 5-line block ×4, first 2 shown]
	s_barrier
.LBB65_29:
	v_cmp_lt_i32_e32 vcc, v18, v17
	v_cndmask_b32_e32 v0, v16, v18, vcc
	v_lshlrev_b32_e32 v0, 2, v0
	ds_bpermute_b32 v0, v0, v7
	v_cmp_lt_i32_e32 vcc, v19, v17
	v_cndmask_b32_e32 v1, v16, v19, vcc
	v_lshlrev_b32_e32 v1, 2, v1
	v_cmp_lt_i32_e32 vcc, v20, v17
	s_waitcnt lgkmcnt(0)
	v_add_f32_e32 v0, v7, v0
	ds_bpermute_b32 v1, v1, v0
	v_cndmask_b32_e32 v2, v16, v20, vcc
	v_lshlrev_b32_e32 v2, 2, v2
	v_cmp_lt_i32_e32 vcc, v21, v17
	s_cmp_eq_u64 s[44:45], 0
	s_waitcnt lgkmcnt(0)
	v_add_f32_e32 v0, v0, v1
	ds_bpermute_b32 v1, v2, v0
	v_cndmask_b32_e32 v2, v16, v21, vcc
	v_lshlrev_b32_e32 v2, 2, v2
	v_cmp_lt_i32_e32 vcc, v22, v17
	s_cselect_b64 s[6:7], -1, 0
	s_waitcnt lgkmcnt(0)
	v_add_f32_e32 v0, v0, v1
	ds_bpermute_b32 v1, v2, v0
	v_cndmask_b32_e32 v2, v16, v22, vcc
	v_lshlrev_b32_e32 v2, 2, v2
	s_cmp_lg_u32 s9, 0
	s_cselect_b64 s[10:11], -1, 0
	s_waitcnt lgkmcnt(0)
	v_add_f32_e32 v0, v0, v1
	ds_bpermute_b32 v1, v2, v0
	s_or_b64 s[6:7], s[10:11], s[6:7]
	s_and_b64 vcc, exec, s[6:7]
	s_waitcnt lgkmcnt(0)
	v_add_f32_e32 v9, v0, v1
	s_cbranch_vccnz .LBB65_32
; %bb.30:
	s_lshl_b64 s[6:7], s[28:29], 2
	s_add_u32 s6, s44, s6
	s_addc_u32 s7, s45, s7
	v_mov_b32_e32 v0, 0
	global_load_dword v1, v0, s[6:7]
	v_max_f32_e32 v0, v6, v6
	s_mov_b32 s6, 0x3fb8aa3b
	s_mov_b32 s7, 0xc2ce8ed0
	s_waitcnt vmcnt(0)
	v_max_f32_e32 v2, v1, v1
	v_max_f32_e32 v0, v0, v2
	v_sub_f32_e32 v2, v6, v0
	v_sub_f32_e32 v1, v1, v0
	v_mul_f32_e32 v3, 0x3fb8aa3b, v2
	v_mul_f32_e32 v6, 0x3fb8aa3b, v1
	v_fma_f32 v7, v2, s6, -v3
	v_rndne_f32_e32 v8, v3
	v_fma_f32 v10, v1, s6, -v6
	v_rndne_f32_e32 v11, v6
	v_fmac_f32_e32 v7, 0x32a5705f, v2
	v_sub_f32_e32 v3, v3, v8
	v_fmac_f32_e32 v10, 0x32a5705f, v1
	v_sub_f32_e32 v6, v6, v11
	v_add_f32_e32 v3, v3, v7
	v_cvt_i32_f32_e32 v8, v8
	v_add_f32_e32 v6, v6, v10
	v_exp_f32_e32 v3, v3
	v_cvt_i32_f32_e32 v11, v11
	v_exp_f32_e32 v6, v6
	v_cmp_ngt_f32_e32 vcc, s7, v2
	v_ldexp_f32 v3, v3, v8
	s_mov_b32 s6, 0x42b17218
	v_ldexp_f32 v6, v6, v11
	v_cndmask_b32_e32 v3, 0, v3, vcc
	v_cmp_ngt_f32_e32 vcc, s7, v1
	v_mov_b32_e32 v7, 0x7f800000
	v_cndmask_b32_e32 v6, 0, v6, vcc
	v_cmp_nlt_f32_e32 vcc, s6, v2
	v_cndmask_b32_e32 v2, v7, v3, vcc
	v_cvt_f16_f32_e32 v3, v2
	v_cmp_nlt_f32_e32 vcc, s6, v1
	v_cndmask_b32_e32 v1, v7, v6, vcc
	v_fmac_f32_e32 v1, v9, v2
	v_pk_mul_f16 v46, v3, v46 op_sel_hi:[0,1]
	v_pk_mul_f16 v47, v3, v47 op_sel_hi:[0,1]
	v_mov_b32_e32 v9, v1
	v_cmp_gt_i32_e32 vcc, s26, v5
	s_and_saveexec_b64 s[6:7], vcc
	s_cbranch_execnz .LBB65_33
.LBB65_31:
	s_endpgm
.LBB65_32:
	v_pk_mov_b32 v[0:1], v[8:9], v[8:9] op_sel:[0,1]
	v_cmp_gt_i32_e32 vcc, s26, v5
	s_and_saveexec_b64 s[6:7], vcc
	s_cbranch_execz .LBB65_31
.LBB65_33:
	s_load_dword s6, s[4:5], 0xd4
	v_div_scale_f32 v2, s[4:5], v9, v9, 1.0
	v_rcp_f32_e32 v3, v2
	s_mul_i32 s33, s33, s26
	s_waitcnt lgkmcnt(0)
	s_cmp_lg_u32 s6, 1
	s_cselect_b64 s[4:5], -1, 0
	v_fma_f32 v6, -v2, v3, 1.0
	v_fmac_f32_e32 v3, v6, v3
	v_div_scale_f32 v6, vcc, 1.0, v9, 1.0
	v_mul_f32_e32 v7, v6, v3
	v_fma_f32 v8, -v2, v7, v6
	v_fmac_f32_e32 v7, v8, v3
	v_fma_f32 v2, -v2, v7, v6
	v_div_fmas_f32 v2, v2, v3, v7
	v_div_fixup_f32 v2, v2, v9, 1.0
	v_cndmask_b32_e64 v8, v2, 1.0, s[4:5]
	v_add_u32_e32 v2, s33, v5
	v_mul_lo_u32 v2, v2, s27
	v_add_u32_e32 v2, s28, v2
	v_mul_lo_u32 v2, s6, v2
	v_add_u32_e32 v2, s9, v2
	v_lshl_add_u32 v6, v2, 7, v44
	v_mov_b32_e32 v7, 0
	v_lshlrev_b64 v[6:7], 2, v[6:7]
	v_cvt_f32_f16_sdwa v11, v46 dst_sel:DWORD dst_unused:UNUSED_PAD src0_sel:WORD_1
	v_cvt_f32_f16_e32 v10, v46
	v_cvt_f32_f16_sdwa v13, v47 dst_sel:DWORD dst_unused:UNUSED_PAD src0_sel:WORD_1
	v_cvt_f32_f16_e32 v12, v47
	v_mov_b32_e32 v3, s49
	v_add_co_u32_e32 v14, vcc, s48, v6
	v_addc_co_u32_e32 v15, vcc, v3, v7, vcc
	v_cmp_eq_u32_e32 vcc, 0, v4
	v_pk_mul_f32 v[6:7], v[8:9], v[10:11] op_sel_hi:[0,1]
	v_pk_mul_f32 v[8:9], v[8:9], v[12:13] op_sel_hi:[0,1]
	s_and_b64 s[4:5], vcc, s[4:5]
	global_store_dwordx4 v[14:15], v[6:9], off
	s_and_b64 exec, exec, s[4:5]
	s_cbranch_execz .LBB65_31
; %bb.34:
	v_ashrrev_i32_e32 v3, 31, v2
	v_lshlrev_b64 v[2:3], 3, v[2:3]
	v_mov_b32_e32 v4, s51
	v_add_co_u32_e32 v2, vcc, s50, v2
	v_addc_co_u32_e32 v3, vcc, v4, v3, vcc
	global_store_dwordx2 v[2:3], v[0:1], off
	s_endpgm
	.section	.rodata,"a",@progbits
	.p2align	6, 0x0
	.amdhsa_kernel _ZL15flash_attn_tileILi128ELi128ELi4ELi1ELb0EEvPKcS1_S1_S1_S1_PKiPfP15HIP_vector_typeIfLj2EEffffjfiS5_IjLj3EEiiiiiiiiiiiliiliiiiil
		.amdhsa_group_segment_fixed_size 18944
		.amdhsa_private_segment_fixed_size 32
		.amdhsa_kernarg_size 464
		.amdhsa_user_sgpr_count 8
		.amdhsa_user_sgpr_private_segment_buffer 1
		.amdhsa_user_sgpr_dispatch_ptr 0
		.amdhsa_user_sgpr_queue_ptr 0
		.amdhsa_user_sgpr_kernarg_segment_ptr 1
		.amdhsa_user_sgpr_dispatch_id 0
		.amdhsa_user_sgpr_flat_scratch_init 1
		.amdhsa_user_sgpr_kernarg_preload_length 0
		.amdhsa_user_sgpr_kernarg_preload_offset 0
		.amdhsa_user_sgpr_private_segment_size 0
		.amdhsa_uses_dynamic_stack 0
		.amdhsa_system_sgpr_private_segment_wavefront_offset 1
		.amdhsa_system_sgpr_workgroup_id_x 1
		.amdhsa_system_sgpr_workgroup_id_y 1
		.amdhsa_system_sgpr_workgroup_id_z 1
		.amdhsa_system_sgpr_workgroup_info 0
		.amdhsa_system_vgpr_workitem_id 1
		.amdhsa_next_free_vgpr 182
		.amdhsa_next_free_sgpr 56
		.amdhsa_accum_offset 184
		.amdhsa_reserve_vcc 1
		.amdhsa_reserve_flat_scratch 1
		.amdhsa_float_round_mode_32 0
		.amdhsa_float_round_mode_16_64 0
		.amdhsa_float_denorm_mode_32 3
		.amdhsa_float_denorm_mode_16_64 3
		.amdhsa_dx10_clamp 1
		.amdhsa_ieee_mode 1
		.amdhsa_fp16_overflow 0
		.amdhsa_tg_split 0
		.amdhsa_exception_fp_ieee_invalid_op 0
		.amdhsa_exception_fp_denorm_src 0
		.amdhsa_exception_fp_ieee_div_zero 0
		.amdhsa_exception_fp_ieee_overflow 0
		.amdhsa_exception_fp_ieee_underflow 0
		.amdhsa_exception_fp_ieee_inexact 0
		.amdhsa_exception_int_div_zero 0
	.end_amdhsa_kernel
	.section	.text._ZL15flash_attn_tileILi128ELi128ELi4ELi1ELb0EEvPKcS1_S1_S1_S1_PKiPfP15HIP_vector_typeIfLj2EEffffjfiS5_IjLj3EEiiiiiiiiiiiliiliiiiil,"axG",@progbits,_ZL15flash_attn_tileILi128ELi128ELi4ELi1ELb0EEvPKcS1_S1_S1_S1_PKiPfP15HIP_vector_typeIfLj2EEffffjfiS5_IjLj3EEiiiiiiiiiiiliiliiiiil,comdat
.Lfunc_end65:
	.size	_ZL15flash_attn_tileILi128ELi128ELi4ELi1ELb0EEvPKcS1_S1_S1_S1_PKiPfP15HIP_vector_typeIfLj2EEffffjfiS5_IjLj3EEiiiiiiiiiiiliiliiiiil, .Lfunc_end65-_ZL15flash_attn_tileILi128ELi128ELi4ELi1ELb0EEvPKcS1_S1_S1_S1_PKiPfP15HIP_vector_typeIfLj2EEffffjfiS5_IjLj3EEiiiiiiiiiiiliiliiiiil
                                        ; -- End function
	.section	.AMDGPU.csdata,"",@progbits
; Kernel info:
; codeLenInByte = 13688
; NumSgprs: 62
; NumVgprs: 182
; NumAgprs: 0
; TotalNumVgprs: 182
; ScratchSize: 32
; MemoryBound: 0
; FloatMode: 240
; IeeeMode: 1
; LDSByteSize: 18944 bytes/workgroup (compile time only)
; SGPRBlocks: 7
; VGPRBlocks: 22
; NumSGPRsForWavesPerEU: 62
; NumVGPRsForWavesPerEU: 182
; AccumOffset: 184
; Occupancy: 2
; WaveLimiterHint : 1
; COMPUTE_PGM_RSRC2:SCRATCH_EN: 1
; COMPUTE_PGM_RSRC2:USER_SGPR: 8
; COMPUTE_PGM_RSRC2:TRAP_HANDLER: 0
; COMPUTE_PGM_RSRC2:TGID_X_EN: 1
; COMPUTE_PGM_RSRC2:TGID_Y_EN: 1
; COMPUTE_PGM_RSRC2:TGID_Z_EN: 1
; COMPUTE_PGM_RSRC2:TIDIG_COMP_CNT: 1
; COMPUTE_PGM_RSRC3_GFX90A:ACCUM_OFFSET: 45
; COMPUTE_PGM_RSRC3_GFX90A:TG_SPLIT: 0
	.section	.text._ZL33flash_attn_stream_k_fixup_uniformILi128ELi4ELi1EEvPfPK15HIP_vector_typeIfLj2EEiiiiiiS1_IjLj3EES5_S5_,"axG",@progbits,_ZL33flash_attn_stream_k_fixup_uniformILi128ELi4ELi1EEvPfPK15HIP_vector_typeIfLj2EEiiiiiiS1_IjLj3EES5_S5_,comdat
	.globl	_ZL33flash_attn_stream_k_fixup_uniformILi128ELi4ELi1EEvPfPK15HIP_vector_typeIfLj2EEiiiiiiS1_IjLj3EES5_S5_ ; -- Begin function _ZL33flash_attn_stream_k_fixup_uniformILi128ELi4ELi1EEvPfPK15HIP_vector_typeIfLj2EEiiiiiiS1_IjLj3EES5_S5_
	.p2align	8
	.type	_ZL33flash_attn_stream_k_fixup_uniformILi128ELi4ELi1EEvPfPK15HIP_vector_typeIfLj2EEiiiiiiS1_IjLj3EES5_S5_,@function
_ZL33flash_attn_stream_k_fixup_uniformILi128ELi4ELi1EEvPfPK15HIP_vector_typeIfLj2EEiiiiiiS1_IjLj3EES5_S5_: ; @_ZL33flash_attn_stream_k_fixup_uniformILi128ELi4ELi1EEvPfPK15HIP_vector_typeIfLj2EEiiiiiiS1_IjLj3EES5_S5_
; %bb.0:
	s_load_dwordx8 s[12:19], s[4:5], 0x1c
	s_load_dwordx2 s[10:11], s[4:5], 0x10
	s_load_dwordx4 s[0:3], s[4:5], 0x3c
	s_waitcnt lgkmcnt(0)
	s_mul_hi_u32 s9, s15, s6
	s_add_i32 s9, s6, s9
	s_lshr_b32 s9, s9, s16
	s_mul_i32 s15, s9, s17
	s_sub_i32 s15, s6, s15
	s_mul_hi_u32 s16, s15, s18
	s_add_i32 s16, s15, s16
	s_lshr_b32 s16, s16, s19
	s_mul_i32 s0, s16, s0
	s_sub_i32 s0, s15, s0
	;; [unrolled: 5-line block ×3, first 2 shown]
	s_lshl_b32 s0, s17, 2
	s_add_i32 s0, s0, s7
	s_cmp_lt_i32 s0, s10
	s_cselect_b64 s[0:1], -1, 0
	s_add_i32 s2, s15, s8
	s_cmp_lt_i32 s2, s13
	s_cselect_b64 s[2:3], -1, 0
	s_and_b64 s[0:1], s[0:1], s[2:3]
	s_andn2_b64 vcc, exec, s[0:1]
	s_cbranch_vccnz .LBB66_6
; %bb.1:
	s_load_dwordx4 s[0:3], s[4:5], 0x0
	s_mul_i32 s4, s9, s10
	s_add_i32 s4, s4, s7
	s_mul_i32 s4, s4, s11
	s_mul_i32 s16, s16, s13
	s_add_i32 s4, s4, s8
	s_add_i32 s4, s4, s16
	s_mul_i32 s5, s11, s17
	s_add_i32 s4, s4, s15
	s_lshl_b32 s5, s5, 9
	s_lshl_b32 s4, s4, 7
	s_add_i32 s5, s5, s4
	v_or_b32_e32 v2, s5, v0
	v_ashrrev_i32_e32 v3, 31, v2
	v_lshlrev_b64 v[2:3], 2, v[2:3]
	s_waitcnt lgkmcnt(0)
	v_mov_b32_e32 v1, s1
	v_add_co_u32_e32 v2, vcc, s0, v2
	v_addc_co_u32_e32 v3, vcc, v1, v3, vcc
	global_load_dword v8, v[2:3], off
	s_add_i32 s4, s7, s8
	s_mul_i32 s7, s6, s14
	s_add_i32 s5, s7, s14
	s_lshl_b32 s0, s5, 2
	s_add_i32 s0, s4, s0
	s_add_i32 s0, s0, -4
	s_ashr_i32 s1, s0, 31
	s_lshl_b64 s[0:1], s[0:1], 3
	s_add_u32 s0, s2, s0
	s_addc_u32 s1, s3, s1
	s_load_dword s10, s[0:1], 0x4
	s_add_i32 s8, s5, -2
	s_cmp_lt_i32 s8, s7
	s_cbranch_scc1 .LBB66_4
; %bb.2:
	s_lshl_b32 s8, s12, 4
	s_ashr_i32 s9, s8, 31
	s_lshl_b64 s[8:9], s[8:9], 2
	s_add_u32 s8, s2, s8
	s_addc_u32 s11, s3, s9
	s_add_i32 s6, s6, 1
	s_add_i32 s9, s5, -1
	s_mul_i32 s5, s14, s6
	s_load_dword s0, s[0:1], 0x0
	s_lshl_b32 s1, s4, 7
	s_lshl_b32 s6, s5, 9
	s_add_i32 s1, s1, s6
	v_or_b32_e32 v0, s1, v0
	s_lshl_b32 s1, s5, 2
	s_add_i32 s1, s4, s1
	s_lshl_b32 s4, s12, 2
	s_add_i32 s1, s1, s4
	v_add_u32_e32 v0, 0xfffffc00, v0
	s_add_i32 s4, s1, -8
	s_waitcnt lgkmcnt(0)
	v_mov_b32_e32 v7, s10
	v_mov_b32_e32 v6, s0
	;; [unrolled: 1-line block ×3, first 2 shown]
	s_mov_b32 s6, 0x3fb8aa3b
	s_mov_b32 s10, 0xc2ce8ed0
	;; [unrolled: 1-line block ×3, first 2 shown]
	v_mov_b32_e32 v5, 0x7f800000
	s_mov_b32 s12, 0xc1a00000
.LBB66_3:                               ; =>This Inner Loop Header: Depth=1
	v_ashrrev_i32_e32 v1, 31, v0
	v_lshlrev_b64 v[10:11], 2, v[0:1]
	v_add_co_u32_e32 v10, vcc, s8, v10
	v_addc_co_u32_e32 v11, vcc, v4, v11, vcc
	global_load_dword v1, v[10:11], off
	s_ashr_i32 s5, s4, 31
	s_lshl_b64 s[0:1], s[4:5], 3
	s_add_u32 s0, s2, s0
	s_addc_u32 s1, s3, s1
	s_load_dwordx2 s[14:15], s[0:1], 0x0
	s_waitcnt vmcnt(1)
	v_mov_b32_e32 v9, v8
	v_max_f32_e32 v8, v6, v6
	v_mov_b32_e32 v10, v7
	s_add_i32 s9, s9, -1
	s_waitcnt lgkmcnt(0)
	v_max_f32_e64 v7, s14, s14
	v_max_f32_e32 v7, v8, v7
	v_sub_f32_e32 v11, s14, v7
	v_sub_f32_e32 v8, v6, v7
	v_mul_f32_e32 v12, 0x3fb8aa3b, v11
	v_mov_b32_e32 v6, v7
	v_mul_f32_e32 v7, 0x3fb8aa3b, v8
	v_fma_f32 v15, v11, s6, -v12
	v_rndne_f32_e32 v16, v12
	v_fma_f32 v13, v8, s6, -v7
	v_rndne_f32_e32 v14, v7
	v_fmac_f32_e32 v15, 0x32a5705f, v11
	v_sub_f32_e32 v12, v12, v16
	v_fmac_f32_e32 v13, 0x32a5705f, v8
	v_sub_f32_e32 v7, v7, v14
	v_add_f32_e32 v12, v12, v15
	v_cvt_i32_f32_e32 v16, v16
	v_add_f32_e32 v7, v7, v13
	v_exp_f32_e32 v12, v12
	v_cvt_i32_f32_e32 v14, v14
	v_exp_f32_e32 v7, v7
	v_cmp_ngt_f32_e32 vcc, s10, v11
	v_ldexp_f32 v12, v12, v16
	v_cmp_ngt_f32_e64 s[0:1], s10, v8
	v_ldexp_f32 v7, v7, v14
	v_cndmask_b32_e32 v12, 0, v12, vcc
	v_cmp_nlt_f32_e32 vcc, s11, v11
	v_cndmask_b32_e64 v7, 0, v7, s[0:1]
	v_cmp_nlt_f32_e64 s[0:1], s11, v8
	v_cndmask_b32_e32 v12, v5, v12, vcc
	v_cmp_le_f32_e32 vcc, s12, v11
	v_cndmask_b32_e64 v7, v5, v7, s[0:1]
	v_cmp_le_f32_e64 s[0:1], s12, v8
	v_cndmask_b32_e32 v8, 0, v12, vcc
	s_add_i32 s4, s4, -4
	v_cndmask_b32_e64 v11, 0, v7, s[0:1]
	v_mul_f32_e32 v7, s15, v8
	v_add_u32_e32 v0, 0xfffffe00, v0
	s_cmp_le_i32 s9, s7
	v_fmac_f32_e32 v7, v10, v11
	s_waitcnt vmcnt(0)
	v_mul_f32_e32 v8, v1, v8
	v_fmac_f32_e32 v8, v9, v11
	s_cbranch_scc0 .LBB66_3
	s_branch .LBB66_5
.LBB66_4:
	s_waitcnt lgkmcnt(0)
	v_mov_b32_e32 v7, s10
.LBB66_5:
	s_waitcnt vmcnt(0)
	v_div_scale_f32 v0, s[0:1], v7, v7, v8
	v_rcp_f32_e32 v1, v0
	v_div_scale_f32 v4, vcc, v8, v7, v8
	v_fma_f32 v5, -v0, v1, 1.0
	v_fmac_f32_e32 v1, v5, v1
	v_mul_f32_e32 v5, v4, v1
	v_fma_f32 v6, -v0, v5, v4
	v_fmac_f32_e32 v5, v6, v1
	v_fma_f32 v0, -v0, v5, v4
	v_div_fmas_f32 v0, v0, v1, v5
	v_div_fixup_f32 v0, v0, v7, v8
	global_store_dword v[2:3], v0, off
.LBB66_6:
	s_endpgm
	.section	.rodata,"a",@progbits
	.p2align	6, 0x0
	.amdhsa_kernel _ZL33flash_attn_stream_k_fixup_uniformILi128ELi4ELi1EEvPfPK15HIP_vector_typeIfLj2EEiiiiiiS1_IjLj3EES5_S5_
		.amdhsa_group_segment_fixed_size 0
		.amdhsa_private_segment_fixed_size 0
		.amdhsa_kernarg_size 76
		.amdhsa_user_sgpr_count 6
		.amdhsa_user_sgpr_private_segment_buffer 1
		.amdhsa_user_sgpr_dispatch_ptr 0
		.amdhsa_user_sgpr_queue_ptr 0
		.amdhsa_user_sgpr_kernarg_segment_ptr 1
		.amdhsa_user_sgpr_dispatch_id 0
		.amdhsa_user_sgpr_flat_scratch_init 0
		.amdhsa_user_sgpr_kernarg_preload_length 0
		.amdhsa_user_sgpr_kernarg_preload_offset 0
		.amdhsa_user_sgpr_private_segment_size 0
		.amdhsa_uses_dynamic_stack 0
		.amdhsa_system_sgpr_private_segment_wavefront_offset 0
		.amdhsa_system_sgpr_workgroup_id_x 1
		.amdhsa_system_sgpr_workgroup_id_y 1
		.amdhsa_system_sgpr_workgroup_id_z 1
		.amdhsa_system_sgpr_workgroup_info 0
		.amdhsa_system_vgpr_workitem_id 0
		.amdhsa_next_free_vgpr 17
		.amdhsa_next_free_sgpr 20
		.amdhsa_accum_offset 20
		.amdhsa_reserve_vcc 1
		.amdhsa_reserve_flat_scratch 0
		.amdhsa_float_round_mode_32 0
		.amdhsa_float_round_mode_16_64 0
		.amdhsa_float_denorm_mode_32 3
		.amdhsa_float_denorm_mode_16_64 3
		.amdhsa_dx10_clamp 1
		.amdhsa_ieee_mode 1
		.amdhsa_fp16_overflow 0
		.amdhsa_tg_split 0
		.amdhsa_exception_fp_ieee_invalid_op 0
		.amdhsa_exception_fp_denorm_src 0
		.amdhsa_exception_fp_ieee_div_zero 0
		.amdhsa_exception_fp_ieee_overflow 0
		.amdhsa_exception_fp_ieee_underflow 0
		.amdhsa_exception_fp_ieee_inexact 0
		.amdhsa_exception_int_div_zero 0
	.end_amdhsa_kernel
	.section	.text._ZL33flash_attn_stream_k_fixup_uniformILi128ELi4ELi1EEvPfPK15HIP_vector_typeIfLj2EEiiiiiiS1_IjLj3EES5_S5_,"axG",@progbits,_ZL33flash_attn_stream_k_fixup_uniformILi128ELi4ELi1EEvPfPK15HIP_vector_typeIfLj2EEiiiiiiS1_IjLj3EES5_S5_,comdat
.Lfunc_end66:
	.size	_ZL33flash_attn_stream_k_fixup_uniformILi128ELi4ELi1EEvPfPK15HIP_vector_typeIfLj2EEiiiiiiS1_IjLj3EES5_S5_, .Lfunc_end66-_ZL33flash_attn_stream_k_fixup_uniformILi128ELi4ELi1EEvPfPK15HIP_vector_typeIfLj2EEiiiiiiS1_IjLj3EES5_S5_
                                        ; -- End function
	.section	.AMDGPU.csdata,"",@progbits
; Kernel info:
; codeLenInByte = 836
; NumSgprs: 24
; NumVgprs: 17
; NumAgprs: 0
; TotalNumVgprs: 17
; ScratchSize: 0
; MemoryBound: 0
; FloatMode: 240
; IeeeMode: 1
; LDSByteSize: 0 bytes/workgroup (compile time only)
; SGPRBlocks: 2
; VGPRBlocks: 2
; NumSGPRsForWavesPerEU: 24
; NumVGPRsForWavesPerEU: 17
; AccumOffset: 20
; Occupancy: 8
; WaveLimiterHint : 0
; COMPUTE_PGM_RSRC2:SCRATCH_EN: 0
; COMPUTE_PGM_RSRC2:USER_SGPR: 6
; COMPUTE_PGM_RSRC2:TRAP_HANDLER: 0
; COMPUTE_PGM_RSRC2:TGID_X_EN: 1
; COMPUTE_PGM_RSRC2:TGID_Y_EN: 1
; COMPUTE_PGM_RSRC2:TGID_Z_EN: 1
; COMPUTE_PGM_RSRC2:TIDIG_COMP_CNT: 0
; COMPUTE_PGM_RSRC3_GFX90A:ACCUM_OFFSET: 4
; COMPUTE_PGM_RSRC3_GFX90A:TG_SPLIT: 0
	.section	.text._ZL33flash_attn_stream_k_fixup_generalILi128ELi4ELi1EEvPfPK15HIP_vector_typeIfLj2EEiiiiS1_IjLj3EES5_S5_S5_,"axG",@progbits,_ZL33flash_attn_stream_k_fixup_generalILi128ELi4ELi1EEvPfPK15HIP_vector_typeIfLj2EEiiiiS1_IjLj3EES5_S5_S5_,comdat
	.globl	_ZL33flash_attn_stream_k_fixup_generalILi128ELi4ELi1EEvPfPK15HIP_vector_typeIfLj2EEiiiiS1_IjLj3EES5_S5_S5_ ; -- Begin function _ZL33flash_attn_stream_k_fixup_generalILi128ELi4ELi1EEvPfPK15HIP_vector_typeIfLj2EEiiiiS1_IjLj3EES5_S5_S5_
	.p2align	8
	.type	_ZL33flash_attn_stream_k_fixup_generalILi128ELi4ELi1EEvPfPK15HIP_vector_typeIfLj2EEiiiiS1_IjLj3EES5_S5_S5_,@function
_ZL33flash_attn_stream_k_fixup_generalILi128ELi4ELi1EEvPfPK15HIP_vector_typeIfLj2EEiiiiS1_IjLj3EES5_S5_S5_: ; @_ZL33flash_attn_stream_k_fixup_generalILi128ELi4ELi1EEvPfPK15HIP_vector_typeIfLj2EEiiiiS1_IjLj3EES5_S5_S5_
; %bb.0:
	s_load_dwordx4 s[12:15], s[4:5], 0x10
	s_load_dword s9, s[4:5], 0x50
	s_mov_b32 s2, 0
	s_waitcnt lgkmcnt(0)
	s_mul_hi_i32 s3, s15, s6
	s_cmp_lg_u64 s[2:3], 0
	s_mul_i32 s2, s15, s6
	s_cbranch_scc0 .LBB67_21
; %bb.1:
	v_cvt_f32_u32_e32 v1, s9
	v_cvt_f32_ubyte0_e32 v2, 0
	s_sub_u32 s10, 0, s9
	s_subb_u32 s11, 0, 0
	v_madmk_f32 v1, v2, 0x4f800000, v1
	v_rcp_f32_e32 v1, v1
	v_mul_f32_e32 v1, 0x5f7ffffc, v1
	v_mul_f32_e32 v2, 0x2f800000, v1
	v_trunc_f32_e32 v2, v2
	v_madmk_f32 v1, v2, 0xcf800000, v1
	v_cvt_u32_f32_e32 v2, v2
	v_cvt_u32_f32_e32 v1, v1
	v_readfirstlane_b32 s16, v2
	v_readfirstlane_b32 s17, v1
	s_mul_i32 s18, s10, s16
	s_mul_hi_u32 s20, s10, s17
	s_mul_i32 s19, s11, s17
	s_add_i32 s18, s20, s18
	s_add_i32 s18, s18, s19
	s_mul_i32 s21, s10, s17
	s_mul_hi_u32 s19, s17, s18
	s_mul_i32 s20, s17, s18
	s_mul_hi_u32 s17, s17, s21
	s_add_u32 s17, s17, s20
	s_addc_u32 s19, 0, s19
	s_mul_hi_u32 s22, s16, s21
	s_mul_i32 s21, s16, s21
	s_add_u32 s17, s17, s21
	s_mul_hi_u32 s20, s16, s18
	s_addc_u32 s17, s19, s22
	s_addc_u32 s19, s20, 0
	s_mul_i32 s18, s16, s18
	s_add_u32 s17, s17, s18
	s_addc_u32 s18, 0, s19
	v_add_co_u32_e32 v1, vcc, s17, v1
	s_cmp_lg_u64 vcc, 0
	s_addc_u32 s16, s16, s18
	v_readfirstlane_b32 s18, v1
	s_mul_i32 s17, s10, s16
	s_mul_hi_u32 s19, s10, s18
	s_add_i32 s17, s19, s17
	s_mul_i32 s11, s11, s18
	s_add_i32 s17, s17, s11
	s_mul_i32 s10, s10, s18
	s_mul_hi_u32 s19, s16, s10
	s_mul_i32 s20, s16, s10
	s_mul_i32 s22, s18, s17
	s_mul_hi_u32 s10, s18, s10
	s_mul_hi_u32 s21, s18, s17
	s_add_u32 s10, s10, s22
	s_addc_u32 s18, 0, s21
	s_add_u32 s10, s10, s20
	s_mul_hi_u32 s11, s16, s17
	s_addc_u32 s10, s18, s19
	s_addc_u32 s11, s11, 0
	s_mul_i32 s17, s16, s17
	s_add_u32 s10, s10, s17
	s_addc_u32 s11, 0, s11
	v_add_co_u32_e32 v1, vcc, s10, v1
	s_cmp_lg_u64 vcc, 0
	s_addc_u32 s18, s16, s11
	s_ashr_i32 s10, s3, 31
	s_add_u32 s16, s2, s10
	s_mov_b32 s11, s10
	s_addc_u32 s17, s3, s10
	s_xor_b64 s[16:17], s[16:17], s[10:11]
	v_readfirstlane_b32 s20, v1
	s_mul_i32 s19, s16, s18
	s_mul_hi_u32 s21, s16, s20
	s_mul_hi_u32 s3, s16, s18
	s_add_u32 s19, s21, s19
	s_addc_u32 s3, 0, s3
	s_mul_hi_u32 s22, s17, s20
	s_mul_i32 s20, s17, s20
	s_add_u32 s19, s19, s20
	s_mul_hi_u32 s21, s17, s18
	s_addc_u32 s3, s3, s22
	s_addc_u32 s19, s21, 0
	s_mul_i32 s18, s17, s18
	s_add_u32 s3, s3, s18
	s_addc_u32 s18, 0, s19
	s_add_u32 s19, s3, 1
	s_addc_u32 s20, s18, 0
	s_add_u32 s21, s3, 2
	s_mul_i32 s23, s9, s18
	s_mul_hi_u32 s24, s9, s3
	s_addc_u32 s22, s18, 0
	s_add_i32 s24, s24, s23
	s_mul_i32 s23, s9, s3
	v_mov_b32_e32 v1, s23
	v_sub_co_u32_e32 v1, vcc, s16, v1
	s_cmp_lg_u64 vcc, 0
	s_subb_u32 s16, s17, s24
	v_subrev_co_u32_e32 v2, vcc, s9, v1
	s_cmp_lg_u64 vcc, 0
	s_subb_u32 s17, s16, 0
	v_readfirstlane_b32 s23, v2
	s_cmp_ge_u32 s23, s9
	s_cselect_b32 s23, -1, 0
	s_cmp_eq_u32 s17, 0
	s_cselect_b32 s17, s23, -1
	s_cmp_lg_u32 s17, 0
	s_cselect_b32 s17, s22, s20
	v_readfirstlane_b32 s20, v1
	s_cselect_b32 s19, s21, s19
	s_cmp_ge_u32 s20, s9
	s_cselect_b32 s20, -1, 0
	s_cmp_eq_u32 s16, 0
	s_cselect_b32 s16, s20, -1
	s_cmp_lg_u32 s16, 0
	s_cselect_b32 s17, s17, s18
	s_cselect_b32 s16, s19, s3
	s_xor_b64 s[16:17], s[16:17], s[10:11]
	s_sub_u32 s20, s16, s10
	s_load_dwordx4 s[16:19], s[4:5], 0x44
	s_cbranch_execnz .LBB67_3
.LBB67_2:
	v_cvt_f32_u32_e32 v1, s9
	s_sub_i32 s0, 0, s9
	v_rcp_iflag_f32_e32 v1, v1
	v_mul_f32_e32 v1, 0x4f7ffffe, v1
	v_cvt_u32_f32_e32 v1, v1
	v_readfirstlane_b32 s1, v1
	s_mul_i32 s0, s0, s1
	s_mul_hi_u32 s0, s1, s0
	s_add_i32 s1, s1, s0
	s_mul_hi_u32 s0, s2, s1
	s_mul_i32 s3, s0, s9
	s_sub_i32 s2, s2, s3
	s_add_i32 s1, s0, 1
	s_sub_i32 s3, s2, s9
	s_cmp_ge_u32 s2, s9
	s_cselect_b32 s0, s1, s0
	s_cselect_b32 s2, s3, s2
	s_add_i32 s1, s0, 1
	s_cmp_ge_u32 s2, s9
	s_cselect_b32 s20, s1, s0
.LBB67_3:
	s_add_i32 s0, s6, 1
	s_mul_hi_i32 s3, s15, s0
	s_mov_b32 s2, 0
	s_cmp_lg_u64 s[2:3], 0
	s_mul_i32 s2, s15, s0
	s_cbranch_scc0 .LBB67_22
; %bb.4:
	v_cvt_f32_u32_e32 v1, s9
	v_cvt_f32_ubyte0_e32 v2, 0
	s_sub_u32 s10, 0, s9
	s_subb_u32 s11, 0, 0
	v_madmk_f32 v1, v2, 0x4f800000, v1
	v_rcp_f32_e32 v1, v1
	v_mul_f32_e32 v1, 0x5f7ffffc, v1
	v_mul_f32_e32 v2, 0x2f800000, v1
	v_trunc_f32_e32 v2, v2
	v_madmk_f32 v1, v2, 0xcf800000, v1
	v_cvt_u32_f32_e32 v2, v2
	v_cvt_u32_f32_e32 v1, v1
	s_waitcnt lgkmcnt(0)
	v_readfirstlane_b32 s19, v2
	v_readfirstlane_b32 s21, v1
	s_mul_i32 s22, s10, s19
	s_mul_hi_u32 s24, s10, s21
	s_mul_i32 s23, s11, s21
	s_add_i32 s22, s24, s22
	s_add_i32 s22, s22, s23
	s_mul_i32 s25, s10, s21
	s_mul_hi_u32 s23, s21, s22
	s_mul_i32 s24, s21, s22
	s_mul_hi_u32 s21, s21, s25
	s_add_u32 s21, s21, s24
	s_addc_u32 s23, 0, s23
	s_mul_hi_u32 s26, s19, s25
	s_mul_i32 s25, s19, s25
	s_add_u32 s21, s21, s25
	s_mul_hi_u32 s24, s19, s22
	s_addc_u32 s21, s23, s26
	s_addc_u32 s23, s24, 0
	s_mul_i32 s22, s19, s22
	s_add_u32 s21, s21, s22
	s_addc_u32 s22, 0, s23
	v_add_co_u32_e32 v1, vcc, s21, v1
	s_cmp_lg_u64 vcc, 0
	s_addc_u32 s19, s19, s22
	v_readfirstlane_b32 s22, v1
	s_mul_i32 s21, s10, s19
	s_mul_hi_u32 s23, s10, s22
	s_add_i32 s21, s23, s21
	s_mul_i32 s11, s11, s22
	s_add_i32 s21, s21, s11
	s_mul_i32 s10, s10, s22
	s_mul_hi_u32 s23, s19, s10
	s_mul_i32 s24, s19, s10
	s_mul_i32 s26, s22, s21
	s_mul_hi_u32 s10, s22, s10
	s_mul_hi_u32 s25, s22, s21
	s_add_u32 s10, s10, s26
	s_addc_u32 s22, 0, s25
	s_add_u32 s10, s10, s24
	s_mul_hi_u32 s11, s19, s21
	s_addc_u32 s10, s22, s23
	s_addc_u32 s11, s11, 0
	s_mul_i32 s21, s19, s21
	s_add_u32 s10, s10, s21
	s_addc_u32 s11, 0, s11
	v_add_co_u32_e32 v1, vcc, s10, v1
	s_cmp_lg_u64 vcc, 0
	s_addc_u32 s19, s19, s11
	s_ashr_i32 s10, s3, 31
	s_add_u32 s22, s2, s10
	s_mov_b32 s11, s10
	s_addc_u32 s23, s3, s10
	s_xor_b64 s[22:23], s[22:23], s[10:11]
	v_readfirstlane_b32 s21, v1
	s_mul_i32 s11, s22, s19
	s_mul_hi_u32 s24, s22, s21
	s_mul_hi_u32 s3, s22, s19
	s_add_u32 s11, s24, s11
	s_addc_u32 s3, 0, s3
	s_mul_hi_u32 s25, s23, s21
	s_mul_i32 s21, s23, s21
	s_add_u32 s11, s11, s21
	s_mul_hi_u32 s24, s23, s19
	s_addc_u32 s3, s3, s25
	s_addc_u32 s11, s24, 0
	s_mul_i32 s19, s23, s19
	s_add_u32 s3, s3, s19
	s_addc_u32 s11, 0, s11
	s_mul_i32 s11, s9, s11
	s_mul_hi_u32 s24, s9, s3
	s_add_i32 s24, s24, s11
	s_mul_i32 s11, s9, s3
	v_mov_b32_e32 v1, s11
	s_add_u32 s19, s3, 1
	s_add_u32 s21, s3, 2
	v_sub_co_u32_e32 v1, vcc, s22, v1
	s_cmp_lg_u64 vcc, 0
	s_subb_u32 s11, s23, s24
	v_subrev_co_u32_e32 v2, vcc, s9, v1
	s_cmp_lg_u64 vcc, 0
	s_subb_u32 s22, s11, 0
	v_cmp_le_u32_e32 vcc, s9, v2
	s_cmp_eq_u32 s22, 0
	v_cndmask_b32_e64 v2, 0, -1, vcc
	s_cselect_b64 vcc, -1, 0
	v_cndmask_b32_e32 v2, -1, v2, vcc
	v_mov_b32_e32 v3, s19
	v_mov_b32_e32 v4, s21
	v_cmp_ne_u32_e32 vcc, 0, v2
	v_cndmask_b32_e32 v2, v3, v4, vcc
	v_cmp_le_u32_e32 vcc, s9, v1
	s_cmp_eq_u32 s11, 0
	v_cndmask_b32_e64 v1, 0, -1, vcc
	s_cselect_b64 vcc, -1, 0
	v_cndmask_b32_e32 v1, -1, v1, vcc
	v_mov_b32_e32 v3, s3
	v_cmp_ne_u32_e32 vcc, 0, v1
	v_cndmask_b32_e32 v1, v3, v2, vcc
	v_xor_b32_e32 v1, s10, v1
	v_subrev_co_u32_e32 v2, vcc, s10, v1
	s_cbranch_execnz .LBB67_6
.LBB67_5:
	v_cvt_f32_u32_e32 v1, s9
	s_sub_i32 s0, 0, s9
	s_mov_b32 s1, 0
	v_rcp_iflag_f32_e32 v1, v1
	v_mul_f32_e32 v1, 0x4f7ffffe, v1
	v_cvt_u32_f32_e32 v1, v1
	v_readfirstlane_b32 s3, v1
	s_mul_i32 s0, s0, s3
	s_mul_hi_u32 s0, s3, s0
	s_add_i32 s3, s3, s0
	s_mul_hi_u32 s0, s2, s3
	s_mul_i32 s10, s0, s9
	s_sub_i32 s2, s2, s10
	s_add_i32 s3, s0, 1
	s_sub_i32 s10, s2, s9
	s_cmp_ge_u32 s2, s9
	s_cselect_b32 s0, s3, s0
	s_cselect_b32 s2, s10, s2
	s_add_i32 s3, s0, 1
	s_cmp_ge_u32 s2, s9
	s_cselect_b32 s0, s3, s0
	v_pk_mov_b32 v[2:3], s[0:1], s[0:1] op_sel:[0,1]
.LBB67_6:
	s_waitcnt lgkmcnt(0)
	s_mul_hi_u32 s0, s20, s16
	s_add_i32 s0, s0, s20
	v_mul_hi_u32 v1, v2, s16
	s_lshr_b32 s19, s0, s17
	v_add_u32_e32 v1, v1, v2
	s_mul_i32 s0, s19, s18
	v_lshrrev_b32_e32 v1, s17, v1
	s_cmp_eq_u32 s0, s20
	v_cmp_eq_u32_e64 s[0:1], s19, v1
	v_mul_lo_u32 v1, v1, s18
	v_cmp_eq_u32_e32 vcc, s20, v2
	s_cselect_b64 s[10:11], -1, 0
	v_cmp_ne_u32_e64 s[2:3], v1, v2
	s_and_b64 s[0:1], s[0:1], s[2:3]
	s_or_b64 s[2:3], vcc, s[10:11]
	s_or_b64 s[0:1], s[2:3], s[0:1]
	s_and_b64 vcc, exec, s[0:1]
	s_cbranch_vccnz .LBB67_24
; %bb.7:
	s_load_dwordx8 s[24:31], s[4:5], 0x20
	s_load_dword s0, s[4:5], 0x40
	s_mov_b32 s10, 0
	s_waitcnt lgkmcnt(0)
	s_mul_hi_u32 s1, s20, s24
	s_add_i32 s1, s1, s20
	s_lshr_b32 s11, s1, s25
	s_mul_i32 s1, s11, s26
	s_sub_i32 s1, s20, s1
	s_mul_hi_u32 s2, s1, s27
	s_add_i32 s2, s1, s2
	s_lshr_b32 s25, s2, s28
	s_mul_i32 s2, s25, s29
	s_sub_i32 s1, s1, s2
	s_mul_hi_u32 s2, s1, s30
	s_add_i32 s2, s1, s2
	s_lshr_b32 s24, s2, s31
	s_mul_i32 s0, s24, s0
	s_sub_i32 s0, s1, s0
	s_mul_hi_u32 s1, s0, s16
	s_add_i32 s0, s0, s1
	s_lshr_b32 s26, s0, s17
	s_lshl_b32 s0, s26, 2
	s_add_i32 s0, s0, s7
	s_cmp_lt_i32 s0, s12
	s_cselect_b64 s[0:1], -1, 0
	s_add_i32 s2, s24, s8
	s_cmp_lt_i32 s2, s14
	s_cselect_b64 s[2:3], -1, 0
	s_and_b64 s[0:1], s[0:1], s[2:3]
	s_andn2_b64 vcc, exec, s[0:1]
	s_cbranch_vccnz .LBB67_24
; %bb.8:
	s_load_dwordx4 s[0:3], s[4:5], 0x0
	s_lshl_b32 s4, s9, 4
	s_mov_b32 s5, s10
	s_add_i32 s21, s7, s8
	s_lshl_b64 s[4:5], s[4:5], 2
	s_waitcnt lgkmcnt(0)
	s_add_u32 s22, s2, s4
	s_mul_i32 s4, s11, s12
	s_addc_u32 s23, s3, s5
	s_add_i32 s4, s4, s7
	s_mul_i32 s4, s4, s13
	s_mul_i32 s25, s25, s14
	s_add_i32 s4, s4, s8
	s_add_i32 s4, s4, s25
	s_mul_i32 s5, s13, s26
	s_add_i32 s4, s4, s24
	s_lshl_b32 s5, s5, 9
	s_lshl_b32 s4, s4, 7
	s_add_i32 s5, s5, s4
	v_or_b32_e32 v2, s5, v0
	v_ashrrev_i32_e32 v3, 31, v2
	v_lshlrev_b64 v[2:3], 2, v[2:3]
	v_mov_b32_e32 v1, s1
	v_add_co_u32_e32 v2, vcc, s0, v2
	v_addc_co_u32_e32 v3, vcc, v1, v3, vcc
	global_load_dword v5, v[2:3], off
	v_lshl_or_b32 v4, s21, 7, v0
	v_cvt_f32_u32_e32 v0, s9
	v_cvt_f32_ubyte0_e32 v1, 0
	s_lshl_b32 s0, s6, 2
	s_add_i32 s0, s0, s21
	v_mac_f32_e32 v0, 0x4f800000, v1
	v_rcp_f32_e32 v0, v0
	v_cvt_f32_u32_e32 v1, s9
	s_ashr_i32 s1, s0, 31
	s_lshl_b64 s[0:1], s[0:1], 3
	v_mul_f32_e32 v0, 0x5f7ffffc, v0
	v_rcp_iflag_f32_e32 v1, v1
	s_add_u32 s0, s2, s0
	v_mul_f32_e32 v9, 0x2f800000, v0
	s_addc_u32 s1, s3, s1
	v_trunc_f32_e32 v10, v9
	s_load_dwordx2 s[0:1], s[0:1], 0x0
	v_mac_f32_e32 v0, 0xcf800000, v10
	v_cvt_u32_f32_e32 v9, v0
	v_mul_f32_e32 v0, 0x4f7ffffe, v1
	v_cvt_u32_f32_e32 v10, v10
	v_cvt_u32_f32_e32 v11, v0
	s_add_i32 s8, s6, -1
	s_waitcnt lgkmcnt(0)
	v_mov_b32_e32 v6, s1
	v_mov_b32_e32 v7, s0
	;; [unrolled: 1-line block ×3, first 2 shown]
	s_mov_b32 s6, 0x3fb8aa3b
	s_mov_b32 s7, 0xc2ce8ed0
	;; [unrolled: 1-line block ×4, first 2 shown]
	v_mov_b32_e32 v12, 0x7f800000
	s_mul_hi_i32 s11, s8, s15
	s_cmp_lg_u64 s[10:11], 0
	s_mul_i32 s4, s8, s15
	s_cbranch_scc0 .LBB67_15
.LBB67_9:
	s_sub_u32 s0, 0, s9
	v_readfirstlane_b32 s5, v9
	v_readfirstlane_b32 s24, v10
	s_subb_u32 s1, 0, 0
	s_mul_hi_u32 s20, s0, s5
	s_mul_i32 s25, s0, s24
	s_mul_i32 s14, s1, s5
	s_add_i32 s20, s20, s25
	s_add_i32 s20, s20, s14
	s_mul_i32 s26, s0, s5
	s_mul_hi_u32 s14, s5, s20
	s_mul_i32 s25, s5, s20
	s_mul_hi_u32 s5, s5, s26
	s_add_u32 s5, s5, s25
	s_addc_u32 s14, 0, s14
	s_mul_hi_u32 s27, s24, s26
	s_mul_i32 s26, s24, s26
	s_add_u32 s5, s5, s26
	s_mul_hi_u32 s25, s24, s20
	s_addc_u32 s5, s14, s27
	s_addc_u32 s14, s25, 0
	s_mul_i32 s20, s24, s20
	s_add_u32 s5, s5, s20
	s_addc_u32 s14, 0, s14
	v_add_co_u32_e32 v0, vcc, s5, v9
	s_cmp_lg_u64 vcc, 0
	s_addc_u32 s5, s24, s14
	v_readfirstlane_b32 s20, v0
	s_mul_i32 s14, s0, s5
	s_mul_hi_u32 s24, s0, s20
	s_add_i32 s14, s24, s14
	s_mul_i32 s1, s1, s20
	s_add_i32 s14, s14, s1
	s_mul_i32 s0, s0, s20
	s_mul_hi_u32 s24, s5, s0
	s_mul_i32 s25, s5, s0
	s_mul_i32 s27, s20, s14
	s_mul_hi_u32 s0, s20, s0
	s_mul_hi_u32 s26, s20, s14
	s_add_u32 s0, s0, s27
	s_addc_u32 s20, 0, s26
	s_add_u32 s0, s0, s25
	s_mul_hi_u32 s1, s5, s14
	s_addc_u32 s0, s20, s24
	s_addc_u32 s1, s1, 0
	s_mul_i32 s14, s5, s14
	s_add_u32 s0, s0, s14
	s_addc_u32 s1, 0, s1
	v_add_co_u32_e32 v0, vcc, s0, v0
	s_cmp_lg_u64 vcc, 0
	s_addc_u32 s5, s5, s1
	s_ashr_i32 s0, s11, 31
	s_add_u32 s24, s4, s0
	s_mov_b32 s1, s0
	s_addc_u32 s25, s11, s0
	s_xor_b64 s[24:25], s[24:25], s[0:1]
	v_readfirstlane_b32 s14, v0
	s_mul_i32 s11, s24, s5
	s_mul_hi_u32 s20, s24, s14
	s_mul_hi_u32 s1, s24, s5
	s_add_u32 s11, s20, s11
	s_addc_u32 s1, 0, s1
	s_mul_hi_u32 s26, s25, s14
	s_mul_i32 s14, s25, s14
	s_add_u32 s11, s11, s14
	s_mul_hi_u32 s20, s25, s5
	s_addc_u32 s1, s1, s26
	s_addc_u32 s11, s20, 0
	s_mul_i32 s5, s25, s5
	s_add_u32 s1, s1, s5
	s_addc_u32 s5, 0, s11
	s_mul_i32 s5, s9, s5
	s_mul_hi_u32 s20, s9, s1
	s_add_i32 s20, s20, s5
	s_mul_i32 s5, s9, s1
	v_mov_b32_e32 v0, s5
	s_add_u32 s11, s1, 1
	s_add_u32 s14, s1, 2
	v_sub_co_u32_e32 v0, vcc, s24, v0
	s_cmp_lg_u64 vcc, 0
	s_subb_u32 s5, s25, s20
	v_subrev_co_u32_e32 v1, vcc, s9, v0
	s_cmp_lg_u64 vcc, 0
	s_subb_u32 s20, s5, 0
	v_cmp_le_u32_e32 vcc, s9, v1
	s_cmp_eq_u32 s20, 0
	v_cndmask_b32_e64 v1, 0, -1, vcc
	s_cselect_b64 vcc, -1, 0
	v_cndmask_b32_e32 v1, -1, v1, vcc
	v_mov_b32_e32 v13, s11
	v_mov_b32_e32 v14, s14
	v_cmp_ne_u32_e32 vcc, 0, v1
	v_cndmask_b32_e32 v1, v13, v14, vcc
	v_cmp_le_u32_e32 vcc, s9, v0
	s_cmp_eq_u32 s5, 0
	v_cndmask_b32_e64 v0, 0, -1, vcc
	s_cselect_b64 vcc, -1, 0
	v_cndmask_b32_e32 v0, -1, v0, vcc
	v_mov_b32_e32 v13, s1
	v_cmp_ne_u32_e32 vcc, 0, v0
	v_cndmask_b32_e32 v0, v13, v1, vcc
	v_xor_b32_e32 v0, s0, v0
	v_subrev_co_u32_e32 v0, vcc, s0, v0
	s_cbranch_execnz .LBB67_11
.LBB67_10:
	s_sub_i32 s0, 0, s9
	v_mul_lo_u32 v0, s0, v11
	v_mul_hi_u32 v0, v11, v0
	v_add_u32_e32 v0, v11, v0
	v_mul_hi_u32 v0, s4, v0
	v_mul_lo_u32 v13, v0, s9
	v_sub_u32_e32 v13, s4, v13
	v_add_u32_e32 v1, 1, v0
	v_subrev_u32_e32 v14, s9, v13
	v_cmp_le_u32_e32 vcc, s9, v13
	v_cndmask_b32_e32 v13, v13, v14, vcc
	v_cndmask_b32_e32 v0, v0, v1, vcc
	v_add_u32_e32 v1, 1, v0
	v_cmp_le_u32_e32 vcc, s9, v13
	v_cndmask_b32_e32 v0, v0, v1, vcc
.LBB67_11:
	v_cmp_ne_u32_e32 vcc, v8, v0
	s_cbranch_vccz .LBB67_14
; %bb.12:
	s_add_i32 s0, s8, s9
	s_lshl_b32 s0, s0, 2
	v_mul_hi_u32 v1, v0, s16
	s_add_i32 s0, s0, s21
	s_mov_b32 s1, s10
	v_add_u32_e32 v1, v1, v0
	s_lshl_b64 s[0:1], s[0:1], 3
	v_lshrrev_b32_e32 v1, s17, v1
	s_add_u32 s4, s2, s0
	v_mul_lo_u32 v13, v1, s18
	s_addc_u32 s5, s3, s1
	v_cmp_eq_u32_e32 vcc, v13, v0
	v_cmp_gt_u32_e64 s[0:1], s19, v1
	s_or_b64 s[0:1], s[0:1], vcc
	s_and_b64 vcc, exec, s[0:1]
	s_cbranch_vccnz .LBB67_16
; %bb.13:
	s_add_i32 s11, s8, -1
	s_mov_b64 s[0:1], 0
	s_branch .LBB67_17
.LBB67_14:
                                        ; implicit-def: $sgpr0_sgpr1
                                        ; implicit-def: $vgpr14
                                        ; implicit-def: $vgpr1
                                        ; implicit-def: $vgpr13
                                        ; implicit-def: $sgpr11
                                        ; implicit-def: $vgpr0
	s_branch .LBB67_18
.LBB67_15:
                                        ; implicit-def: $vgpr0_vgpr1
	s_branch .LBB67_10
.LBB67_16:
	s_mov_b64 s[0:1], -1
	s_mov_b32 s11, s8
	v_mov_b32_e32 v0, v8
.LBB67_17:
	v_lshl_add_u32 v14, s8, 9, v4
	v_ashrrev_i32_e32 v15, 31, v14
	v_lshlrev_b64 v[14:15], 2, v[14:15]
	v_mov_b32_e32 v1, s23
	v_add_co_u32_e32 v14, vcc, s22, v14
	v_addc_co_u32_e32 v15, vcc, v1, v15, vcc
	global_load_dword v14, v[14:15], off
	s_load_dwordx2 s[4:5], s[4:5], 0x0
	v_max_f32_e32 v1, v7, v7
	s_waitcnt lgkmcnt(0)
	v_max_f32_e64 v13, s4, s4
	v_max_f32_e32 v1, v1, v13
	v_sub_f32_e32 v13, v7, v1
	v_sub_f32_e32 v15, s4, v1
	v_mul_f32_e32 v16, 0x3fb8aa3b, v13
	v_mul_f32_e32 v17, 0x3fb8aa3b, v15
	v_fma_f32 v18, v13, s6, -v16
	v_rndne_f32_e32 v19, v16
	v_fma_f32 v20, v15, s6, -v17
	v_rndne_f32_e32 v21, v17
	v_fmac_f32_e32 v18, 0x32a5705f, v13
	v_sub_f32_e32 v16, v16, v19
	v_fmac_f32_e32 v20, 0x32a5705f, v15
	v_sub_f32_e32 v17, v17, v21
	v_add_f32_e32 v16, v16, v18
	v_cvt_i32_f32_e32 v19, v19
	v_add_f32_e32 v17, v17, v20
	v_exp_f32_e32 v16, v16
	v_cvt_i32_f32_e32 v21, v21
	v_exp_f32_e32 v17, v17
	v_cmp_ngt_f32_e32 vcc, s7, v13
	v_ldexp_f32 v16, v16, v19
	v_cndmask_b32_e32 v16, 0, v16, vcc
	v_ldexp_f32 v17, v17, v21
	v_cmp_ngt_f32_e32 vcc, s7, v15
	v_cndmask_b32_e32 v17, 0, v17, vcc
	v_cmp_nlt_f32_e32 vcc, s12, v13
	v_cndmask_b32_e32 v16, v12, v16, vcc
	v_cmp_nlt_f32_e32 vcc, s12, v15
	v_cndmask_b32_e32 v17, v12, v17, vcc
	v_cmp_le_f32_e32 vcc, s13, v13
	v_cndmask_b32_e32 v16, 0, v16, vcc
	v_cmp_le_f32_e32 vcc, s13, v15
	v_cndmask_b32_e32 v15, 0, v17, vcc
	v_mul_f32_e32 v13, s5, v15
	v_fmac_f32_e32 v13, v6, v16
	s_waitcnt vmcnt(0)
	v_mul_f32_e32 v14, v14, v15
	v_fmac_f32_e32 v14, v5, v16
	s_cbranch_execnz .LBB67_19
.LBB67_18:
	s_add_i32 s11, s8, -1
	s_mov_b64 s[0:1], 0
	v_mov_b32_e32 v0, v8
	v_mov_b32_e32 v13, v6
	;; [unrolled: 1-line block ×3, first 2 shown]
	s_waitcnt vmcnt(0)
	v_mov_b32_e32 v14, v5
.LBB67_19:
	s_andn2_b64 vcc, exec, s[0:1]
	s_cbranch_vccz .LBB67_23
; %bb.20:
	v_mov_b32_e32 v8, v0
	s_mov_b32 s8, s11
	v_mov_b32_e32 v6, v13
	v_mov_b32_e32 v7, v1
	s_waitcnt vmcnt(0)
	v_mov_b32_e32 v5, v14
	s_mul_hi_i32 s11, s8, s15
	s_cmp_lg_u64 s[10:11], 0
	s_mul_i32 s4, s8, s15
	s_cbranch_scc1 .LBB67_9
	s_branch .LBB67_15
.LBB67_21:
                                        ; implicit-def: $sgpr20_sgpr21
	s_load_dwordx4 s[16:19], s[4:5], 0x44
	s_branch .LBB67_2
.LBB67_22:
                                        ; implicit-def: $vgpr2_vgpr3
	s_branch .LBB67_5
.LBB67_23:
	v_div_scale_f32 v0, s[0:1], v13, v13, v14
	v_rcp_f32_e32 v1, v0
	v_div_scale_f32 v4, vcc, v14, v13, v14
	s_waitcnt vmcnt(0)
	v_fma_f32 v5, -v0, v1, 1.0
	v_fmac_f32_e32 v1, v5, v1
	v_mul_f32_e32 v5, v4, v1
	v_fma_f32 v6, -v0, v5, v4
	v_fmac_f32_e32 v5, v6, v1
	v_fma_f32 v0, -v0, v5, v4
	v_div_fmas_f32 v0, v0, v1, v5
	v_div_fixup_f32 v0, v0, v13, v14
	global_store_dword v[2:3], v0, off
.LBB67_24:
	s_endpgm
	.section	.rodata,"a",@progbits
	.p2align	6, 0x0
	.amdhsa_kernel _ZL33flash_attn_stream_k_fixup_generalILi128ELi4ELi1EEvPfPK15HIP_vector_typeIfLj2EEiiiiS1_IjLj3EES5_S5_S5_
		.amdhsa_group_segment_fixed_size 0
		.amdhsa_private_segment_fixed_size 0
		.amdhsa_kernarg_size 336
		.amdhsa_user_sgpr_count 6
		.amdhsa_user_sgpr_private_segment_buffer 1
		.amdhsa_user_sgpr_dispatch_ptr 0
		.amdhsa_user_sgpr_queue_ptr 0
		.amdhsa_user_sgpr_kernarg_segment_ptr 1
		.amdhsa_user_sgpr_dispatch_id 0
		.amdhsa_user_sgpr_flat_scratch_init 0
		.amdhsa_user_sgpr_kernarg_preload_length 0
		.amdhsa_user_sgpr_kernarg_preload_offset 0
		.amdhsa_user_sgpr_private_segment_size 0
		.amdhsa_uses_dynamic_stack 0
		.amdhsa_system_sgpr_private_segment_wavefront_offset 0
		.amdhsa_system_sgpr_workgroup_id_x 1
		.amdhsa_system_sgpr_workgroup_id_y 1
		.amdhsa_system_sgpr_workgroup_id_z 1
		.amdhsa_system_sgpr_workgroup_info 0
		.amdhsa_system_vgpr_workitem_id 0
		.amdhsa_next_free_vgpr 22
		.amdhsa_next_free_sgpr 32
		.amdhsa_accum_offset 24
		.amdhsa_reserve_vcc 1
		.amdhsa_reserve_flat_scratch 0
		.amdhsa_float_round_mode_32 0
		.amdhsa_float_round_mode_16_64 0
		.amdhsa_float_denorm_mode_32 3
		.amdhsa_float_denorm_mode_16_64 3
		.amdhsa_dx10_clamp 1
		.amdhsa_ieee_mode 1
		.amdhsa_fp16_overflow 0
		.amdhsa_tg_split 0
		.amdhsa_exception_fp_ieee_invalid_op 0
		.amdhsa_exception_fp_denorm_src 0
		.amdhsa_exception_fp_ieee_div_zero 0
		.amdhsa_exception_fp_ieee_overflow 0
		.amdhsa_exception_fp_ieee_underflow 0
		.amdhsa_exception_fp_ieee_inexact 0
		.amdhsa_exception_int_div_zero 0
	.end_amdhsa_kernel
	.section	.text._ZL33flash_attn_stream_k_fixup_generalILi128ELi4ELi1EEvPfPK15HIP_vector_typeIfLj2EEiiiiS1_IjLj3EES5_S5_S5_,"axG",@progbits,_ZL33flash_attn_stream_k_fixup_generalILi128ELi4ELi1EEvPfPK15HIP_vector_typeIfLj2EEiiiiS1_IjLj3EES5_S5_S5_,comdat
.Lfunc_end67:
	.size	_ZL33flash_attn_stream_k_fixup_generalILi128ELi4ELi1EEvPfPK15HIP_vector_typeIfLj2EEiiiiS1_IjLj3EES5_S5_S5_, .Lfunc_end67-_ZL33flash_attn_stream_k_fixup_generalILi128ELi4ELi1EEvPfPK15HIP_vector_typeIfLj2EEiiiiS1_IjLj3EES5_S5_S5_
                                        ; -- End function
	.section	.AMDGPU.csdata,"",@progbits
; Kernel info:
; codeLenInByte = 2816
; NumSgprs: 36
; NumVgprs: 22
; NumAgprs: 0
; TotalNumVgprs: 22
; ScratchSize: 0
; MemoryBound: 0
; FloatMode: 240
; IeeeMode: 1
; LDSByteSize: 0 bytes/workgroup (compile time only)
; SGPRBlocks: 4
; VGPRBlocks: 2
; NumSGPRsForWavesPerEU: 36
; NumVGPRsForWavesPerEU: 22
; AccumOffset: 24
; Occupancy: 8
; WaveLimiterHint : 0
; COMPUTE_PGM_RSRC2:SCRATCH_EN: 0
; COMPUTE_PGM_RSRC2:USER_SGPR: 6
; COMPUTE_PGM_RSRC2:TRAP_HANDLER: 0
; COMPUTE_PGM_RSRC2:TGID_X_EN: 1
; COMPUTE_PGM_RSRC2:TGID_Y_EN: 1
; COMPUTE_PGM_RSRC2:TGID_Z_EN: 1
; COMPUTE_PGM_RSRC2:TIDIG_COMP_CNT: 0
; COMPUTE_PGM_RSRC3_GFX90A:ACCUM_OFFSET: 5
; COMPUTE_PGM_RSRC3_GFX90A:TG_SPLIT: 0
	.section	.text._ZL15flash_attn_tileILi128ELi128ELi2ELi1ELb0EEvPKcS1_S1_S1_S1_PKiPfP15HIP_vector_typeIfLj2EEffffjfiS5_IjLj3EEiiiiiiiiiiiliiliiiiil,"axG",@progbits,_ZL15flash_attn_tileILi128ELi128ELi2ELi1ELb0EEvPKcS1_S1_S1_S1_PKiPfP15HIP_vector_typeIfLj2EEffffjfiS5_IjLj3EEiiiiiiiiiiiliiliiiiil,comdat
	.globl	_ZL15flash_attn_tileILi128ELi128ELi2ELi1ELb0EEvPKcS1_S1_S1_S1_PKiPfP15HIP_vector_typeIfLj2EEffffjfiS5_IjLj3EEiiiiiiiiiiiliiliiiiil ; -- Begin function _ZL15flash_attn_tileILi128ELi128ELi2ELi1ELb0EEvPKcS1_S1_S1_S1_PKiPfP15HIP_vector_typeIfLj2EEffffjfiS5_IjLj3EEiiiiiiiiiiiliiliiiiil
	.p2align	8
	.type	_ZL15flash_attn_tileILi128ELi128ELi2ELi1ELb0EEvPKcS1_S1_S1_S1_PKiPfP15HIP_vector_typeIfLj2EEffffjfiS5_IjLj3EEiiiiiiiiiiiliiliiiiil,@function
_ZL15flash_attn_tileILi128ELi128ELi2ELi1ELb0EEvPKcS1_S1_S1_S1_PKiPfP15HIP_vector_typeIfLj2EEffffjfiS5_IjLj3EEiiiiiiiiiiiliiliiiiil: ; @_ZL15flash_attn_tileILi128ELi128ELi2ELi1ELb0EEvPKcS1_S1_S1_S1_PKiPfP15HIP_vector_typeIfLj2EEffffjfiS5_IjLj3EEiiiiiiiiiiiliiliiiiil
; %bb.0:
	s_load_dwordx4 s[36:39], s[4:5], 0x5c
	s_load_dwordx2 s[14:15], s[4:5], 0x80
	s_add_u32 flat_scratch_lo, s6, s11
	s_addc_u32 flat_scratch_hi, s7, 0
	s_add_u32 s0, s0, s11
	s_waitcnt lgkmcnt(0)
	v_cvt_f32_u32_e32 v1, s39
	s_addc_u32 s1, s1, 0
	s_sub_i32 s6, 0, s39
	s_load_dwordx16 s[16:31], s[4:5], 0x0
	v_rcp_iflag_f32_e32 v1, v1
	s_load_dwordx2 s[46:47], s[4:5], 0xb8
	s_mov_b64 s[44:45], 0
	v_mul_f32_e32 v1, 0x4f7ffffe, v1
	v_cvt_u32_f32_e32 v1, v1
	v_readfirstlane_b32 s7, v1
	s_mul_i32 s6, s6, s7
	s_mul_hi_u32 s6, s7, s6
	s_add_i32 s7, s7, s6
	s_mul_hi_u32 s6, s10, s7
	s_mul_i32 s7, s6, s39
	s_sub_i32 s7, s10, s7
	s_add_i32 s11, s6, 1
	s_sub_i32 s12, s7, s39
	s_cmp_ge_u32 s7, s39
	s_cselect_b32 s6, s11, s6
	s_cselect_b32 s7, s12, s7
	s_add_i32 s11, s6, 1
	s_cmp_ge_u32 s7, s39
	s_cselect_b32 s33, s11, s6
	s_abs_i32 s6, s15
	v_cvt_f32_u32_e32 v1, s6
	s_mul_i32 s12, s33, s39
	s_sub_i32 s13, 0, s6
	s_sub_i32 s34, s10, s12
	v_rcp_iflag_f32_e32 v1, v1
	s_abs_i32 s11, s39
	s_xor_b32 s7, s39, s15
	s_ashr_i32 s7, s7, 31
	v_mul_f32_e32 v1, 0x4f7ffffe, v1
	v_cvt_u32_f32_e32 v1, v1
	v_readfirstlane_b32 s10, v1
	s_mul_i32 s13, s13, s10
	s_mul_hi_u32 s12, s10, s13
	s_add_i32 s10, s10, s12
	s_mul_hi_u32 s10, s11, s10
	s_mul_i32 s12, s10, s6
	s_sub_i32 s11, s11, s12
	s_add_i32 s13, s10, 1
	s_sub_i32 s12, s11, s6
	s_cmp_ge_u32 s11, s6
	s_cselect_b32 s10, s13, s10
	s_cselect_b32 s11, s12, s11
	s_add_i32 s12, s10, 1
	s_cmp_ge_u32 s11, s6
	s_cselect_b32 s6, s12, s10
	s_xor_b32 s6, s6, s7
	s_sub_i32 s15, s6, s7
	s_abs_i32 s48, s15
	v_cvt_f32_u32_e32 v1, s48
	s_sub_i32 s7, 0, s48
	s_waitcnt lgkmcnt(0)
	s_cmp_eq_u64 s[22:23], 0
	v_rcp_iflag_f32_e32 v1, v1
	v_mul_f32_e32 v1, 0x4f7ffffe, v1
	v_cvt_u32_f32_e32 v1, v1
	v_readfirstlane_b32 s6, v1
	s_mul_i32 s7, s7, s6
	s_mul_hi_u32 s7, s6, s7
	s_cbranch_scc1 .LBB68_2
; %bb.1:
	s_abs_i32 s12, s46
	v_cvt_f32_u32_e32 v1, s12
	s_sub_i32 s40, 0, s12
	s_abs_i32 s35, s33
	s_ashr_i32 s13, s33, 31
	v_rcp_iflag_f32_e32 v1, v1
	s_load_dwordx2 s[10:11], s[4:5], 0xc8
	v_mul_f32_e32 v1, 0x4f7ffffe, v1
	v_cvt_u32_f32_e32 v1, v1
	v_readfirstlane_b32 s41, v1
	s_mul_i32 s40, s40, s41
	s_mul_hi_u32 s40, s41, s40
	s_add_i32 s41, s41, s40
	s_mul_hi_u32 s40, s35, s41
	s_mul_i32 s40, s40, s12
	s_sub_i32 s35, s35, s40
	s_sub_i32 s40, s35, s12
	s_cmp_ge_u32 s35, s12
	s_cselect_b32 s35, s40, s35
	s_sub_i32 s40, s35, s12
	s_cmp_ge_u32 s35, s12
	s_cselect_b32 s12, s40, s35
	s_xor_b32 s12, s12, s13
	s_sub_i32 s12, s12, s13
	s_ashr_i32 s13, s12, 31
	s_waitcnt lgkmcnt(0)
	s_mul_i32 s11, s12, s11
	s_mul_hi_u32 s35, s12, s10
	s_add_i32 s11, s35, s11
	s_mul_i32 s13, s13, s10
	s_add_i32 s11, s11, s13
	s_mul_i32 s12, s12, s10
	s_add_u32 s44, s22, s12
	s_addc_u32 s45, s23, s11
.LBB68_2:
	s_load_dwordx4 s[40:43], s[4:5], 0x40
	s_add_i32 s22, s6, s7
	s_load_dword s6, s[4:5], 0x50
	s_abs_i32 s23, s34
	v_mov_b32_e32 v30, 1.0
	s_waitcnt lgkmcnt(0)
	v_cmp_le_f32_e64 s[10:11], s41, 0
	s_and_b64 vcc, exec, s[10:11]
	s_cbranch_vccnz .LBB68_4
; %bb.3:
	s_sub_i32 s7, s34, s6
	s_lshl_b32 s7, s7, 1
	s_add_i32 s10, s34, 1
	s_or_b32 s11, s7, 1
	s_cmp_lt_u32 s34, s6
	s_cselect_b64 vcc, -1, 0
	s_and_b64 s[6:7], vcc, exec
	v_mov_b32_e32 v1, s43
	v_mov_b32_e32 v2, s42
	s_cselect_b32 s6, s10, s11
	v_cndmask_b32_e32 v18, v1, v2, vcc
	v_cvt_f32_i32_e32 v1, s6
	v_cmp_neq_f32_e32 vcc, 1.0, v18
	s_mov_b32 s6, 0x3f2aaaab
	s_movk_i32 s10, 0x204
	v_cndmask_b32_e32 v19, 1.0, v1, vcc
	v_cmp_eq_f32_e32 vcc, 0, v19
	v_cndmask_b32_e64 v20, |v18|, 1.0, vcc
	v_frexp_mant_f32_e32 v1, v20
	v_cmp_gt_f32_e64 s[6:7], s6, v1
	v_cndmask_b32_e64 v2, 1.0, 2.0, s[6:7]
	v_mul_f32_e32 v1, v1, v2
	v_add_f32_e32 v2, 1.0, v1
	v_rcp_f32_e32 v10, v2
	v_add_f32_e32 v3, -1.0, v2
	v_sub_f32_e32 v5, v1, v3
	v_add_f32_e32 v3, -1.0, v1
	v_mul_f32_e32 v1, v3, v10
	v_mul_f32_e32 v4, v2, v1
	v_fma_f32 v6, v1, v2, -v4
	v_fmac_f32_e32 v6, v1, v5
	v_add_f32_e32 v2, v4, v6
	v_sub_f32_e32 v5, v3, v2
	v_pk_add_f32 v[8:9], v[2:3], v[4:5] neg_lo:[0,1] neg_hi:[0,1]
	v_mov_b32_e32 v7, v2
	v_pk_add_f32 v[2:3], v[8:9], v[6:7] neg_lo:[0,1] neg_hi:[0,1]
	v_add_f32_e32 v2, v2, v3
	v_add_f32_e32 v2, v5, v2
	v_mul_f32_e32 v3, v10, v2
	v_add_f32_e32 v2, v1, v3
	v_sub_f32_e32 v1, v2, v1
	v_sub_f32_e32 v1, v3, v1
	v_mul_f32_e32 v3, v2, v2
	v_fma_f32 v5, v2, v2, -v3
	v_add_f32_e32 v4, v1, v1
	v_fmac_f32_e32 v5, v2, v4
	v_add_f32_e32 v4, v3, v5
	v_mov_b32_e32 v6, 0x3e91f4c4
	v_fmac_f32_e32 v6, 0x3e76c4e1, v4
	v_mov_b32_e32 v7, 0x3ecccdef
	v_fmac_f32_e32 v7, v4, v6
	v_sub_f32_e32 v3, v4, v3
	v_sub_f32_e32 v12, v5, v3
	v_mul_f32_e32 v3, v4, v7
	v_fma_f32 v5, v4, v7, -v3
	v_fmac_f32_e32 v5, v12, v7
	v_add_f32_e32 v6, v3, v5
	v_add_f32_e32 v7, 0x3f2aaaaa, v6
	v_sub_f32_e32 v3, v6, v3
	v_sub_f32_e32 v3, v5, v3
	v_add_f32_e32 v5, 0xbf2aaaaa, v7
	v_add_f32_e32 v3, 0x31739010, v3
	v_sub_f32_e32 v5, v6, v5
	v_pk_mul_f32 v[8:9], v[2:3], v[4:5]
	v_fma_f32 v6, v4, v2, -v8
	v_pk_add_f32 v[10:11], v[2:3], v[4:5]
	v_fmac_f32_e32 v6, v4, v1
	v_mov_b32_e32 v9, v11
	v_fmac_f32_e32 v6, v12, v2
	v_pk_add_f32 v[4:5], v[8:9], v[6:7]
	v_sub_f32_e32 v3, v4, v8
	v_sub_f32_e32 v3, v6, v3
	;; [unrolled: 1-line block ×3, first 2 shown]
	v_add_f32_e32 v9, v11, v6
	v_mov_b32_e32 v6, v5
	v_pk_mul_f32 v[6:7], v[4:5], v[6:7]
	v_cvt_f64_f32_e32 v[10:11], v20
	v_frexp_exp_i32_f64_e32 v7, v[10:11]
	v_subbrev_co_u32_e64 v7, s[6:7], 0, v7, s[6:7]
	v_cvt_f32_i32_e32 v7, v7
	v_fma_f32 v8, v4, v5, -v6
	v_fmac_f32_e32 v8, v4, v9
	s_mov_b32 s6, 0x3f317218
	v_mul_f32_e32 v4, 0x3f317218, v7
	v_fmac_f32_e32 v8, v3, v5
	v_fma_f32 v10, v7, s6, -v4
	v_fmac_f32_e32 v10, 0xb102e308, v7
	v_ldexp_f32 v11, v2, 1
	v_add_f32_e32 v5, v6, v8
	v_pk_add_f32 v[2:3], v[4:5], v[10:11]
	v_mov_b32_e32 v12, v5
	v_mov_b32_e32 v13, v3
	;; [unrolled: 1-line block ×3, first 2 shown]
	v_pk_add_f32 v[6:7], v[12:13], v[6:7] neg_lo:[0,1] neg_hi:[0,1]
	v_mov_b32_e32 v9, v5
	v_ldexp_f32 v1, v1, 1
	v_pk_add_f32 v[6:7], v[8:9], v[6:7] neg_lo:[0,1] neg_hi:[0,1]
	v_add_f32_e32 v1, v1, v6
	v_add_f32_e32 v5, v1, v7
	v_pk_add_f32 v[6:7], v[2:3], v[4:5] neg_lo:[0,1] neg_hi:[0,1]
	v_pk_add_f32 v[8:9], v[2:3], v[4:5]
	v_mov_b32_e32 v12, v6
	v_mov_b32_e32 v13, v9
	;; [unrolled: 1-line block ×3, first 2 shown]
	v_pk_add_f32 v[12:13], v[10:11], v[12:13]
	v_mov_b32_e32 v4, v13
	v_pk_add_f32 v[14:15], v[4:5], v[2:3] neg_lo:[0,1] neg_hi:[0,1]
	v_mov_b32_e32 v1, v14
	v_mov_b32_e32 v12, v9
	v_mov_b32_e32 v2, v3
	v_mov_b32_e32 v3, v14
	v_pk_add_f32 v[6:7], v[10:11], v[6:7] neg_lo:[0,1] neg_hi:[0,1]
	v_pk_add_f32 v[16:17], v[8:9], v[0:1] neg_lo:[0,1] neg_hi:[0,1]
	;; [unrolled: 1-line block ×3, first 2 shown]
	v_mov_b32_e32 v10, v5
	v_pk_add_f32 v[2:3], v[10:11], v[2:3] neg_lo:[0,1] neg_hi:[0,1]
	v_mov_b32_e32 v16, v6
	v_pk_add_f32 v[8:9], v[16:17], v[2:3]
	v_mov_b32_e32 v10, v9
	v_pk_add_f32 v[10:11], v[8:9], v[10:11]
	v_pk_add_f32 v[4:5], v[4:5], v[10:11]
	v_mov_b32_e32 v7, v13
	v_mov_b32_e32 v9, v4
	v_pk_add_f32 v[12:13], v[8:9], v[6:7] neg_lo:[0,1] neg_hi:[0,1]
	v_mov_b32_e32 v3, v10
	v_sub_f32_e32 v1, v8, v12
	v_pk_add_f32 v[2:3], v[2:3], v[12:13] neg_lo:[0,1] neg_hi:[0,1]
	v_sub_f32_e32 v1, v6, v1
	v_add_f32_e32 v1, v2, v1
	v_add_f32_e32 v1, v1, v3
	;; [unrolled: 1-line block ×3, first 2 shown]
	v_sub_f32_e32 v3, v2, v4
	v_sub_f32_e32 v1, v1, v3
	v_mul_f32_e32 v3, v19, v2
	v_fma_f32 v2, v19, v2, -v3
	v_fmac_f32_e32 v2, v19, v1
	v_add_f32_e32 v1, v3, v2
	v_cmp_class_f32_e64 s[6:7], v3, s10
	v_sub_f32_e32 v4, v1, v3
	v_cndmask_b32_e64 v1, v1, v3, s[6:7]
	s_mov_b32 s12, 0x42b17218
	v_mov_b32_e32 v3, 0x37000000
	v_cmp_eq_f32_e64 s[6:7], s12, v1
	v_cndmask_b32_e64 v3, 0, v3, s[6:7]
	v_sub_f32_e32 v2, v2, v4
	v_sub_f32_e32 v4, v1, v3
	s_mov_b32 s6, 0x3fb8aa3b
	v_mul_f32_e32 v5, 0x3fb8aa3b, v4
	v_fma_f32 v6, v4, s6, -v5
	v_rndne_f32_e32 v7, v5
	v_fmac_f32_e32 v6, 0x32a5705f, v4
	v_sub_f32_e32 v5, v5, v7
	v_add_f32_e32 v5, v5, v6
	v_exp_f32_e32 v5, v5
	v_cvt_i32_f32_e32 v6, v7
	s_mov_b32 s11, 0x7f800000
	v_cmp_neq_f32_e64 s[6:7], |v1|, s11
	v_cndmask_b32_e64 v1, 0, v2, s[6:7]
	s_mov_b32 s6, 0xc2ce8ed0
	v_ldexp_f32 v2, v5, v6
	v_cmp_ngt_f32_e64 s[6:7], s6, v4
	v_add_f32_e32 v1, v3, v1
	v_cndmask_b32_e64 v2, 0, v2, s[6:7]
	v_mov_b32_e32 v3, 0x7f800000
	v_cmp_nlt_f32_e64 s[6:7], s12, v4
	v_cndmask_b32_e64 v2, v3, v2, s[6:7]
	v_fma_f32 v1, v2, v1, v2
	v_cmp_class_f32_e64 s[6:7], v2, s10
	v_trunc_f32_e32 v4, v19
	v_cndmask_b32_e64 v1, v1, v2, s[6:7]
	v_cndmask_b32_e64 v2, v18, 1.0, vcc
	v_cmp_eq_f32_e32 vcc, v4, v19
	v_mul_f32_e32 v4, 0.5, v19
	v_trunc_f32_e32 v6, v4
	v_cmp_neq_f32_e64 s[6:7], v6, v4
	s_and_b64 s[6:7], vcc, s[6:7]
	v_cndmask_b32_e64 v4, 1.0, v2, s[6:7]
	s_brev_b32 s35, -2
	v_mov_b32_e32 v5, 0x7fc00000
	v_bfi_b32 v1, s35, v1, v4
	v_cndmask_b32_e32 v4, v5, v1, vcc
	v_cmp_gt_f32_e32 vcc, 0, v2
	v_cndmask_b32_e32 v1, v1, v4, vcc
	v_cmp_eq_f32_e32 vcc, s11, v20
	v_cmp_eq_f32_e64 s[10:11], 0, v2
	v_cmp_gt_f32_e64 s[12:13], 0, v19
	s_xor_b64 s[12:13], s[12:13], s[10:11]
	v_cndmask_b32_e64 v3, v3, 0, s[12:13]
	v_cndmask_b32_e64 v4, 0, v2, s[6:7]
	v_bfi_b32 v3, s35, v3, v4
	s_or_b64 vcc, vcc, s[10:11]
	v_cndmask_b32_e32 v1, v1, v3, vcc
	v_cmp_o_f32_e32 vcc, v2, v2
	v_cndmask_b32_e32 v30, v5, v1, vcc
.LBB68_4:
	v_bfe_u32 v5, v0, 10, 10
	v_lshlrev_b32_e32 v2, 7, v5
	v_and_b32_e32 v7, 0x3ff, v0
	v_and_b32_e32 v2, 0x180, v2
	v_lshlrev_b32_e32 v26, 2, v7
	s_lshl_b32 s6, s8, 1
	v_lshrrev_b32_e32 v1, 2, v5
	v_add_u32_e32 v0, v2, v26
	s_movk_i32 s7, 0x80
	s_mul_hi_u32 s10, s23, s22
	v_cmp_gt_u32_e32 vcc, s7, v0
	v_add_u32_e32 v27, s6, v1
	s_and_saveexec_b64 s[6:7], vcc
	s_cbranch_execz .LBB68_6
; %bb.5:
	s_load_dwordx4 s[52:55], s[4:5], 0x70
	v_mul_hi_u32 v0, s36, v27
	v_add_u32_e32 v0, v27, v0
	v_lshrrev_b32_e32 v0, s37, v0
	v_mul_lo_u32 v0, v0, s38
	s_waitcnt lgkmcnt(0)
	s_mul_i32 s11, s33, s54
	s_ashr_i32 s13, s11, 31
	s_mul_i32 s12, s34, s53
	s_add_u32 s11, s16, s11
	s_addc_u32 s13, s17, s13
	s_ashr_i32 s16, s12, 31
	s_add_u32 s11, s11, s12
	s_addc_u32 s16, s13, s16
	v_sub_u32_e32 v3, v27, v0
	s_ashr_i32 s17, s52, 31
	v_mov_b32_e32 v0, s52
	v_alignbit_b32 v0, s17, v0, 2
	v_mad_u64_u32 v[8:9], s[12:13], v0, v3, 0
	v_mov_b32_e32 v0, v9
	s_lshr_b32 s12, s17, 2
	v_mad_u64_u32 v[10:11], s[12:13], s12, v3, v[0:1]
	v_mov_b32_e32 v9, v10
	v_lshlrev_b64 v[8:9], 2, v[8:9]
	v_mov_b32_e32 v0, s16
	v_add_co_u32_e32 v3, vcc, s11, v8
	v_addc_co_u32_e32 v0, vcc, v0, v9, vcc
	v_lshlrev_b32_e32 v2, 2, v2
	v_add_co_u32_e32 v2, vcc, v3, v2
	v_addc_co_u32_e32 v0, vcc, 0, v0, vcc
	v_lshlrev_b32_e32 v3, 2, v26
	v_add_co_u32_e32 v2, vcc, v2, v3
	v_addc_co_u32_e32 v3, vcc, 0, v0, vcc
	global_load_dwordx4 v[8:11], v[2:3], off
	v_mul_i32_i24_e32 v4, -3, v1
	v_lshlrev_b32_e32 v6, 1, v7
	s_waitcnt vmcnt(0)
	v_pk_mul_f32 v[0:1], v[8:9], s[40:41] op_sel_hi:[1,0]
	v_pk_mul_f32 v[2:3], v[10:11], s[40:41] op_sel_hi:[1,0]
	v_cvt_f16_f32_e32 v8, v1
	v_cvt_f16_f32_e32 v1, v3
	;; [unrolled: 1-line block ×4, first 2 shown]
	v_add_lshl_u32 v3, v4, v5, 6
	v_add_lshl_u32 v3, v3, v6, 2
	v_pack_b32_f16 v1, v2, v1
	v_pack_b32_f16 v0, v0, v8
	ds_write_b64 v3, v[0:1] offset:18944
.LBB68_6:
	s_or_b64 exec, exec, s[6:7]
	s_ashr_i32 s35, s34, 31
	s_ashr_i32 s6, s15, 31
	s_cmp_eq_u64 s[26:27], 0
	s_waitcnt lgkmcnt(0)
	s_barrier
	s_cbranch_scc1 .LBB68_8
; %bb.7:
	s_load_dword s7, s[4:5], 0xd0
	s_mov_b32 s13, 0
	s_waitcnt lgkmcnt(0)
	s_mul_i32 s7, s7, s33
	s_add_i32 s12, s7, s8
	s_lshl_b64 s[12:13], s[12:13], 2
	s_add_u32 s12, s26, s12
	s_addc_u32 s13, s27, s13
	s_load_dword s14, s[12:13], 0x0
.LBB68_8:
	s_nop 0
	s_load_dwordx2 s[12:13], s[4:5], 0x8c
	s_load_dwordx4 s[40:43], s[4:5], 0x98
	s_load_dwordx2 s[16:17], s[4:5], 0xa8
	s_ashr_i32 s7, s33, 31
	s_ashr_i32 s22, s47, 1
	s_waitcnt lgkmcnt(0)
	s_ashr_i32 s15, s12, 2
	s_mul_i32 s11, s33, s41
	s_mul_hi_u32 s12, s33, s40
	s_add_i32 s11, s12, s11
	s_mul_i32 s12, s7, s40
	s_ashr_i32 s8, s42, 2
	s_add_i32 s11, s11, s12
	s_mul_i32 s12, s33, s40
	s_add_u32 s12, s18, s12
	s_mul_i32 s18, s10, s48
	s_addc_u32 s11, s19, s11
	s_sub_i32 s18, s23, s18
	s_xor_b32 s6, s35, s6
	s_add_i32 s19, s10, 1
	s_sub_i32 s23, s18, s48
	s_cmp_ge_u32 s18, s48
	s_cselect_b32 s10, s19, s10
	s_cselect_b32 s18, s23, s18
	s_add_i32 s19, s10, 1
	s_cmp_ge_u32 s18, s48
	s_cselect_b32 s10, s19, s10
	s_xor_b32 s10, s10, s6
	s_sub_i32 s6, s10, s6
	s_mul_i32 s10, s6, s13
	s_ashr_i32 s13, s10, 31
	s_add_u32 s23, s12, s10
	s_addc_u32 s26, s11, s13
	s_mul_i32 s10, s33, s17
	s_mul_hi_u32 s11, s33, s16
	s_add_i32 s10, s11, s10
	s_mul_i32 s7, s7, s16
	s_add_i32 s10, s10, s7
	s_mul_i32 s7, s33, s16
	s_add_u32 s7, s20, s7
	s_mul_i32 s6, s6, s43
	s_addc_u32 s10, s21, s10
	s_ashr_i32 s11, s6, 31
	s_add_u32 s18, s7, s6
	s_addc_u32 s19, s10, s11
	s_lshl_b32 s20, s9, 7
	s_add_i32 s21, s14, 0xffffff80
	s_cmp_ge_i32 s20, s21
	v_mov_b32_e32 v1, 0
	v_lshlrev_b32_e32 v28, 2, v5
	v_lshrrev_b32_e32 v36, 3, v7
	v_and_b32_e32 v6, 28, v26
	v_lshlrev_b32_e32 v32, 5, v5
	v_lshlrev_b32_e32 v35, 6, v5
	v_and_b32_e32 v33, 3, v7
	v_lshrrev_b32_e32 v31, 4, v7
	v_and_b32_e32 v4, 60, v26
	v_and_b32_e32 v3, 3, v5
	v_lshlrev_b32_e32 v29, 3, v7
	v_mbcnt_lo_u32_b32 v34, -1, 0
	s_cbranch_scc1 .LBB68_16
; %bb.9:
	v_mul_hi_u32 v8, s36, v27
	v_add_u32_e32 v1, v36, v28
	v_lshlrev_b32_e32 v2, 2, v6
	s_movk_i32 s6, 0x90
	v_add_u32_e32 v8, v27, v8
	v_mad_u32_u24 v37, v1, s6, v2
	v_mul_lo_u32 v10, s15, v1
	s_lshl_b32 s6, s15, 5
	v_lshrrev_b32_e32 v8, s37, v8
	v_add_u32_e32 v12, s6, v10
	v_and_b32_e32 v1, 0x60, v32
	v_mul_lo_u32 v8, v8, s38
	v_add_u32_e32 v14, s6, v12
	v_add_u32_e32 v2, v1, v7
	v_sub_u32_e32 v8, v27, v8
	v_add_u32_e32 v16, s6, v14
	v_mad_u64_u32 v[8:9], s[6:7], v8, s22, v[2:3]
	s_movk_i32 s10, 0x3fc
	v_mul_u32_u24_e32 v41, 0x90, v2
	v_and_b32_e32 v18, 0xff00, v35
	v_and_or_b32 v2, v5, s10, v33
	v_mov_b32_e32 v9, 0x4c00
	v_lshl_add_u32 v44, v2, 2, v9
	v_add_u32_e32 v2, 0x4800, v18
	v_lshl_or_b32 v1, v1, 1, v2
	s_cmp_lg_u64 s[44:45], 0
	v_lshl_add_u32 v45, v7, 1, v1
	v_lshl_add_u32 v1, v5, 1, v31
	v_add_u32_e32 v42, 0x4a00, v18
	v_mul_lo_u32 v18, s8, v1
	s_cselect_b64 s[10:11], -1, 0
	s_lshl_b32 s12, s8, 4
	v_lshlrev_b32_e32 v9, 2, v4
	v_add_u32_e32 v20, s12, v18
	v_lshl_or_b32 v46, v1, 8, v9
	v_add_u32_e32 v22, s12, v20
	v_and_b32_e32 v1, 3, v5
	v_add_u32_e32 v24, s12, v22
	v_lshlrev_b32_e32 v50, 8, v1
	v_mov_b32_e32 v0, 0
	v_ashrrev_i32_e32 v11, 31, v10
	v_ashrrev_i32_e32 v13, 31, v12
	;; [unrolled: 1-line block ×8, first 2 shown]
	v_lshl_or_b32 v51, v1, 1, v2
	v_or_b32_e32 v1, 0x400, v50
	v_or_b32_e32 v2, 0x800, v50
	;; [unrolled: 1-line block ×15, first 2 shown]
	s_add_u32 s12, s4, 0xd0
	v_cndmask_b32_e64 v70, 0, 1, s[10:11]
	v_add_u32_e32 v38, 0x1200, v37
	v_add_u32_e32 v39, 0x2400, v37
	;; [unrolled: 1-line block ×3, first 2 shown]
	v_cmp_eq_u32_e64 s[6:7], 0, v7
	v_add_u32_e32 v43, 0x4c00, v28
	v_add_u32_e32 v47, 0x1000, v46
	;; [unrolled: 1-line block ×4, first 2 shown]
	s_addc_u32 s13, s5, 0
	v_mov_b32_e32 v71, 0xfeffffff
	v_lshlrev_b64 v[10:11], 2, v[10:11]
	v_lshlrev_b32_e32 v52, 2, v6
	v_lshlrev_b64 v[12:13], 2, v[12:13]
	v_lshlrev_b64 v[14:15], 2, v[14:15]
	;; [unrolled: 1-line block ×3, first 2 shown]
	v_mbcnt_hi_u32_b32 v53, -1, v34
	s_mov_b32 s27, 0x3fb8aa3b
	s_mov_b32 s40, 0xc2ce8ed0
	;; [unrolled: 1-line block ×3, first 2 shown]
	v_lshlrev_b64 v[18:19], 2, v[18:19]
	v_lshlrev_b32_e32 v54, 2, v4
	v_lshlrev_b64 v[20:21], 2, v[20:21]
	v_lshlrev_b64 v[22:23], 2, v[22:23]
	;; [unrolled: 1-line block ×3, first 2 shown]
	v_add_u32_e32 v55, v29, v1
	v_add_u32_e32 v56, v29, v2
	;; [unrolled: 1-line block ×15, first 2 shown]
	v_cmp_ne_u32_e64 s[10:11], 1, v70
	v_mov_b32_e32 v70, 0x7f800000
	v_mov_b32_e32 v1, v0
	;; [unrolled: 1-line block ×3, first 2 shown]
.LBB68_10:                              ; =>This Inner Loop Header: Depth=1
	s_mul_hi_i32 s17, s20, s15
	s_mul_i32 s16, s20, s15
	s_lshl_b64 s[16:17], s[16:17], 2
	s_add_u32 s16, s23, s16
	s_addc_u32 s17, s26, s17
	v_mov_b32_e32 v2, s17
	v_add_co_u32_e32 v72, vcc, s16, v10
	v_addc_co_u32_e32 v2, vcc, v2, v11, vcc
	v_add_co_u32_e32 v88, vcc, v72, v52
	v_addc_co_u32_e32 v89, vcc, 0, v2, vcc
	v_mov_b32_e32 v2, s17
	v_add_co_u32_e32 v72, vcc, s16, v12
	v_addc_co_u32_e32 v2, vcc, v2, v13, vcc
	v_add_co_u32_e32 v90, vcc, v72, v52
	v_addc_co_u32_e32 v91, vcc, 0, v2, vcc
	;; [unrolled: 5-line block ×3, first 2 shown]
	v_mov_b32_e32 v2, s17
	v_add_co_u32_e32 v80, vcc, s16, v16
	v_addc_co_u32_e32 v2, vcc, v2, v17, vcc
	v_add_co_u32_e32 v94, vcc, v80, v52
	global_load_dwordx4 v[72:75], v[88:89], off
	global_load_dwordx4 v[76:79], v[90:91], off
	v_addc_co_u32_e32 v95, vcc, 0, v2, vcc
	global_load_dwordx4 v[80:83], v[92:93], off
	global_load_dwordx4 v[84:87], v[94:95], off
	v_mov_b32_e32 v2, 0
	s_and_b64 vcc, exec, s[10:11]
	s_waitcnt vmcnt(3)
	ds_write_b128 v37, v[72:75]
	s_waitcnt vmcnt(2)
	ds_write_b128 v38, v[76:79]
	;; [unrolled: 2-line block ×4, first 2 shown]
	s_waitcnt lgkmcnt(0)
	s_barrier
	ds_read_b128 v[72:75], v41
	ds_read_b128 v[76:79], v42
	s_waitcnt lgkmcnt(0)
	;;#ASMSTART
	v_dot2_f32_f16 v2, v72, v76, v2
	;;#ASMEND
	;;#ASMSTART
	v_dot2_f32_f16 v2, v73, v77, v2
	;;#ASMEND
	;;#ASMSTART
	v_dot2_f32_f16 v2, v74, v78, v2
	;;#ASMEND
	;;#ASMSTART
	v_dot2_f32_f16 v2, v75, v79, v2
	;;#ASMEND
	ds_read_b128 v[72:75], v41 offset:16
	ds_read_b128 v[76:79], v42 offset:16
	s_waitcnt lgkmcnt(0)
	;;#ASMSTART
	v_dot2_f32_f16 v2, v72, v76, v2
	;;#ASMEND
	;;#ASMSTART
	v_dot2_f32_f16 v2, v73, v77, v2
	;;#ASMEND
	;;#ASMSTART
	v_dot2_f32_f16 v2, v74, v78, v2
	;;#ASMEND
	;;#ASMSTART
	v_dot2_f32_f16 v2, v75, v79, v2
	;;#ASMEND
	ds_read_b128 v[72:75], v41 offset:32
	ds_read_b128 v[76:79], v42 offset:32
	;; [unrolled: 15-line block ×7, first 2 shown]
	s_waitcnt lgkmcnt(0)
	;;#ASMSTART
	v_dot2_f32_f16 v2, v72, v76, v2
	;;#ASMEND
	;;#ASMSTART
	v_dot2_f32_f16 v2, v73, v77, v2
	;;#ASMEND
	;; [unrolled: 3-line block ×4, first 2 shown]
	s_barrier
	global_load_dwordx4 v[72:75], v[88:89], off offset:128
	global_load_dwordx4 v[76:79], v[90:91], off offset:128
	;; [unrolled: 1-line block ×4, first 2 shown]
	s_waitcnt vmcnt(3)
	ds_write_b128 v37, v[72:75]
	s_waitcnt vmcnt(2)
	ds_write_b128 v38, v[76:79]
	s_waitcnt vmcnt(1)
	ds_write_b128 v39, v[80:83]
	s_waitcnt vmcnt(0)
	ds_write_b128 v40, v[84:87]
	s_waitcnt lgkmcnt(0)
	s_barrier
	ds_read_b128 v[72:75], v41
	ds_read_b128 v[76:79], v42 offset:128
	s_waitcnt lgkmcnt(0)
	;;#ASMSTART
	v_dot2_f32_f16 v2, v72, v76, v2
	;;#ASMEND
	;;#ASMSTART
	v_dot2_f32_f16 v2, v73, v77, v2
	;;#ASMEND
	;;#ASMSTART
	v_dot2_f32_f16 v2, v74, v78, v2
	;;#ASMEND
	;;#ASMSTART
	v_dot2_f32_f16 v2, v75, v79, v2
	;;#ASMEND
	ds_read_b128 v[72:75], v41 offset:16
	ds_read_b128 v[76:79], v42 offset:144
	s_waitcnt lgkmcnt(0)
	;;#ASMSTART
	v_dot2_f32_f16 v2, v72, v76, v2
	;;#ASMEND
	;;#ASMSTART
	v_dot2_f32_f16 v2, v73, v77, v2
	;;#ASMEND
	;;#ASMSTART
	v_dot2_f32_f16 v2, v74, v78, v2
	;;#ASMEND
	;;#ASMSTART
	v_dot2_f32_f16 v2, v75, v79, v2
	;;#ASMEND
	ds_read_b128 v[72:75], v41 offset:32
	;; [unrolled: 15-line block ×7, first 2 shown]
	ds_read_b128 v[76:79], v42 offset:240
	s_waitcnt lgkmcnt(0)
	;;#ASMSTART
	v_dot2_f32_f16 v2, v72, v76, v2
	;;#ASMEND
	;;#ASMSTART
	v_dot2_f32_f16 v2, v73, v77, v2
	;;#ASMEND
	;; [unrolled: 3-line block ×3, first 2 shown]
	v_mov_b32_e32 v72, 0
	;;#ASMSTART
	v_dot2_f32_f16 v2, v75, v79, v2
	;;#ASMEND
	s_cbranch_vccnz .LBB68_12
; %bb.11:                               ;   in Loop: Header=BB68_10 Depth=1
	v_add_u32_e32 v72, s20, v8
	v_ashrrev_i32_e32 v73, 31, v72
	v_lshlrev_b64 v[72:73], 1, v[72:73]
	v_mov_b32_e32 v74, s45
	v_add_co_u32_e32 v72, vcc, s44, v72
	v_addc_co_u32_e32 v73, vcc, v74, v73, vcc
	flat_load_ushort v72, v[72:73]
	s_waitcnt vmcnt(0) lgkmcnt(0)
	v_cvt_f32_f16_e32 v72, v72
	v_mul_f32_e32 v72, v30, v72
.LBB68_12:                              ;   in Loop: Header=BB68_10 Depth=1
	v_add_f32_e32 v72, v2, v72
	v_add_f32_e32 v2, 0x40051340, v72
	v_max_f32_e32 v73, v71, v71
	v_max_f32_e32 v2, v73, v2
	v_and_b32_e32 v73, 0x60, v53
	v_add_u32_e32 v75, 32, v73
	v_xor_b32_e32 v73, 16, v53
	v_cmp_lt_i32_e32 vcc, v73, v75
	v_cndmask_b32_e32 v73, v53, v73, vcc
	v_lshlrev_b32_e32 v73, 2, v73
	ds_bpermute_b32 v73, v73, v2
	s_waitcnt lgkmcnt(0)
	v_max_f32_e32 v73, v73, v73
	v_max_f32_e32 v2, v2, v73
	v_xor_b32_e32 v73, 8, v53
	v_cmp_lt_i32_e32 vcc, v73, v75
	v_cndmask_b32_e32 v73, v53, v73, vcc
	v_lshlrev_b32_e32 v73, 2, v73
	ds_bpermute_b32 v73, v73, v2
	s_waitcnt lgkmcnt(0)
	v_max_f32_e32 v73, v73, v73
	v_max_f32_e32 v2, v2, v73
	;; [unrolled: 8-line block ×4, first 2 shown]
	v_xor_b32_e32 v73, 1, v53
	v_cmp_lt_i32_e32 vcc, v73, v75
	v_cndmask_b32_e32 v75, v53, v73, vcc
	v_lshlrev_b32_e32 v75, 2, v75
	ds_bpermute_b32 v75, v75, v74
	s_and_saveexec_b64 s[16:17], s[6:7]
	s_cbranch_execz .LBB68_14
; %bb.13:                               ;   in Loop: Header=BB68_10 Depth=1
	s_waitcnt lgkmcnt(0)
	v_max_f32_e32 v75, v75, v75
	v_max_f32_e32 v74, v74, v74
	;; [unrolled: 1-line block ×3, first 2 shown]
	ds_write_b32 v43, v74
.LBB68_14:                              ;   in Loop: Header=BB68_10 Depth=1
	s_or_b64 exec, exec, s[16:17]
	s_mul_hi_i32 s17, s20, s8
	s_mul_i32 s16, s20, s8
	s_lshl_b64 s[16:17], s[16:17], 2
	s_add_u32 s16, s18, s16
	s_addc_u32 s17, s19, s17
	v_mov_b32_e32 v74, s17
	s_waitcnt lgkmcnt(0)
	v_add_co_u32_e32 v75, vcc, s16, v18
	v_addc_co_u32_e32 v74, vcc, v74, v19, vcc
	v_add_co_u32_e32 v82, vcc, v75, v54
	v_addc_co_u32_e32 v83, vcc, 0, v74, vcc
	v_mov_b32_e32 v74, s17
	v_add_co_u32_e32 v75, vcc, s16, v20
	v_addc_co_u32_e32 v74, vcc, v74, v21, vcc
	v_add_co_u32_e32 v84, vcc, v75, v54
	v_addc_co_u32_e32 v85, vcc, 0, v74, vcc
	s_barrier
	global_load_dwordx4 v[74:77], v[82:83], off
	global_load_dwordx4 v[78:81], v[84:85], off
	v_mov_b32_e32 v82, s17
	v_add_co_u32_e32 v83, vcc, s16, v22
	v_addc_co_u32_e32 v82, vcc, v82, v23, vcc
	v_add_co_u32_e32 v90, vcc, v83, v54
	v_addc_co_u32_e32 v91, vcc, 0, v82, vcc
	v_mov_b32_e32 v82, s17
	v_add_co_u32_e32 v83, vcc, s16, v24
	v_addc_co_u32_e32 v82, vcc, v82, v25, vcc
	v_add_co_u32_e32 v92, vcc, v83, v54
	v_addc_co_u32_e32 v93, vcc, 0, v82, vcc
	global_load_dwordx4 v[82:85], v[90:91], off
	global_load_dwordx4 v[86:89], v[92:93], off
	ds_read_b32 v90, v44
	v_and_b32_e32 v91, 0x7c, v53
	v_add_u32_e32 v91, 4, v91
	v_cmp_lt_i32_e32 vcc, v2, v91
	v_cndmask_b32_e32 v2, v53, v2, vcc
	v_lshlrev_b32_e32 v2, 2, v2
	s_waitcnt lgkmcnt(0)
	ds_bpermute_b32 v2, v2, v90
	v_cmp_lt_i32_e32 vcc, v73, v91
	v_max_f32_e32 v90, v90, v90
	v_cndmask_b32_e32 v73, v53, v73, vcc
	v_lshlrev_b32_e32 v73, 2, v73
	s_waitcnt lgkmcnt(0)
	v_max_f32_e32 v2, v2, v2
	v_max_f32_e32 v2, v90, v2
	ds_bpermute_b32 v73, v73, v2
	s_or_b32 s16, s20, 64
	s_mul_hi_i32 s17, s16, s8
	s_mul_i32 s16, s16, s8
	s_lshl_b64 s[16:17], s[16:17], 2
	s_waitcnt lgkmcnt(0)
	v_max_f32_e32 v73, v73, v73
	v_max_f32_e32 v2, v2, v73
	v_sub_f32_e32 v72, v72, v2
	v_mul_f32_e32 v73, 0x3fb8aa3b, v72
	v_fma_f32 v90, v72, s27, -v73
	v_rndne_f32_e32 v91, v73
	v_fmac_f32_e32 v90, 0x32a5705f, v72
	v_sub_f32_e32 v73, v73, v91
	v_add_f32_e32 v73, v73, v90
	v_cvt_i32_f32_e32 v91, v91
	v_exp_f32_e32 v73, v73
	v_cmp_ngt_f32_e32 vcc, s40, v72
	s_add_u32 s16, s18, s16
	s_addc_u32 s17, s19, s17
	v_ldexp_f32 v73, v73, v91
	v_cndmask_b32_e32 v73, 0, v73, vcc
	v_cmp_nlt_f32_e32 vcc, s41, v72
	v_cndmask_b32_e32 v120, v70, v73, vcc
	v_cvt_f16_f32_e32 v72, v120
	v_add_co_u32_e32 v73, vcc, s16, v18
	v_add_u32_e32 v121, v29, v50
	v_sub_f32_e32 v71, v71, v2
	v_mul_f32_e32 v138, 0x3fb8aa3b, v71
	v_fma_f32 v139, v71, s27, -v138
	v_rndne_f32_e32 v140, v138
	v_fmac_f32_e32 v139, 0x32a5705f, v71
	v_sub_f32_e32 v138, v138, v140
	v_add_f32_e32 v138, v138, v139
	v_exp_f32_e32 v138, v138
	v_cvt_i32_f32_e32 v139, v140
	ds_write_b16 v45, v72
	s_waitcnt vmcnt(3)
	ds_write_b128 v46, v[74:77]
	s_waitcnt vmcnt(2)
	ds_write_b128 v47, v[78:81]
	;; [unrolled: 2-line block ×4, first 2 shown]
	v_mov_b32_e32 v72, s17
	v_addc_co_u32_e32 v74, vcc, v72, v19, vcc
	v_add_co_u32_e32 v72, vcc, v73, v54
	v_addc_co_u32_e32 v73, vcc, 0, v74, vcc
	v_mov_b32_e32 v74, s17
	v_add_co_u32_e32 v75, vcc, s16, v20
	v_addc_co_u32_e32 v74, vcc, v74, v21, vcc
	v_add_co_u32_e32 v76, vcc, v75, v54
	v_addc_co_u32_e32 v77, vcc, 0, v74, vcc
	v_mov_b32_e32 v80, s17
	v_add_co_u32_e32 v81, vcc, s16, v22
	v_addc_co_u32_e32 v82, vcc, v80, v23, vcc
	v_add_co_u32_e32 v80, vcc, v81, v54
	v_addc_co_u32_e32 v81, vcc, 0, v82, vcc
	v_mov_b32_e32 v82, s17
	v_add_co_u32_e32 v83, vcc, s16, v24
	v_addc_co_u32_e32 v82, vcc, v82, v25, vcc
	v_add_co_u32_e32 v84, vcc, v83, v54
	v_addc_co_u32_e32 v85, vcc, 0, v82, vcc
	s_waitcnt lgkmcnt(0)
	s_barrier
	ds_read_u16 v122, v51
	ds_read_u16 v123, v51 offset:8
	ds_read_u16 v124, v51 offset:16
	;; [unrolled: 1-line block ×7, first 2 shown]
	ds_read_b64 v[88:89], v121
	ds_read_b64 v[90:91], v55
	;; [unrolled: 1-line block ×16, first 2 shown]
	ds_read_u16 v130, v51 offset:64
	ds_read_u16 v131, v51 offset:72
	;; [unrolled: 1-line block ×8, first 2 shown]
	s_waitcnt lgkmcnt(0)
	s_barrier
	global_load_dwordx4 v[72:75], v[72:73], off
	s_nop 0
	global_load_dwordx4 v[76:79], v[76:77], off
	s_nop 0
	;; [unrolled: 2-line block ×3, first 2 shown]
	global_load_dwordx4 v[84:87], v[84:85], off
	v_ldexp_f32 v138, v138, v139
	v_cmp_ngt_f32_e32 vcc, s40, v71
	v_cndmask_b32_e32 v138, 0, v138, vcc
	v_cmp_nlt_f32_e32 vcc, s41, v71
	v_cndmask_b32_e32 v71, v70, v138, vcc
	v_cvt_f16_f32_e32 v138, v71
	v_fma_f32 v9, v9, v71, v120
	v_pk_mul_f16 v71, v88, v122 op_sel_hi:[1,0]
	s_waitcnt vmcnt(3)
	ds_write_b128 v46, v[72:75]
	s_waitcnt vmcnt(2)
	ds_write_b128 v47, v[76:79]
	;; [unrolled: 2-line block ×4, first 2 shown]
	v_pk_fma_f16 v0, v0, v138, v71 op_sel_hi:[1,0,1]
	v_pk_mul_f16 v71, v89, v122 op_sel_hi:[1,0]
	v_pk_fma_f16 v1, v1, v138, v71 op_sel_hi:[1,0,1]
	v_pk_fma_f16 v0, v90, v123, v0 op_sel_hi:[1,0,1]
	;; [unrolled: 1-line block ×31, first 2 shown]
	s_waitcnt lgkmcnt(0)
	s_barrier
	ds_read_b64 v[0:1], v121
	ds_read_u16 v78, v51 offset:128
	ds_read_u16 v79, v51 offset:136
	;; [unrolled: 1-line block ×8, first 2 shown]
	ds_read_b64 v[72:73], v55
	ds_read_b64 v[74:75], v56
	;; [unrolled: 1-line block ×3, first 2 shown]
	s_waitcnt lgkmcnt(10)
	v_pk_fma_f16 v0, v0, v78, v71 op_sel_hi:[1,0,1]
	v_pk_fma_f16 v1, v1, v78, v88 op_sel_hi:[1,0,1]
	s_waitcnt lgkmcnt(2)
	v_pk_fma_f16 v0, v72, v79, v0 op_sel_hi:[1,0,1]
	v_pk_fma_f16 v1, v73, v79, v1 op_sel_hi:[1,0,1]
	;; [unrolled: 3-line block ×3, first 2 shown]
	s_waitcnt lgkmcnt(0)
	v_pk_fma_f16 v78, v76, v81, v0 op_sel_hi:[1,0,1]
	ds_read_b64 v[0:1], v58
	v_pk_fma_f16 v71, v77, v81, v71 op_sel_hi:[1,0,1]
	ds_read_b64 v[72:73], v59
	ds_read_b64 v[74:75], v60
	;; [unrolled: 1-line block ×3, first 2 shown]
	s_waitcnt lgkmcnt(3)
	v_pk_fma_f16 v0, v0, v82, v78 op_sel_hi:[1,0,1]
	v_pk_fma_f16 v1, v1, v82, v71 op_sel_hi:[1,0,1]
	s_waitcnt lgkmcnt(2)
	v_pk_fma_f16 v0, v72, v83, v0 op_sel_hi:[1,0,1]
	v_pk_fma_f16 v1, v73, v83, v1 op_sel_hi:[1,0,1]
	;; [unrolled: 3-line block ×4, first 2 shown]
	ds_read_b64 v[0:1], v62
	ds_read_b64 v[72:73], v63
	;; [unrolled: 1-line block ×4, first 2 shown]
	ds_read_u16 v79, v51 offset:192
	ds_read_u16 v80, v51 offset:200
	;; [unrolled: 1-line block ×8, first 2 shown]
	s_waitcnt lgkmcnt(7)
	v_pk_fma_f16 v0, v0, v79, v71 op_sel_hi:[1,0,1]
	v_pk_fma_f16 v1, v1, v79, v78 op_sel_hi:[1,0,1]
	s_waitcnt lgkmcnt(6)
	v_pk_fma_f16 v0, v72, v80, v0 op_sel_hi:[1,0,1]
	v_pk_fma_f16 v1, v73, v80, v1 op_sel_hi:[1,0,1]
	;; [unrolled: 3-line block ×3, first 2 shown]
	s_waitcnt lgkmcnt(4)
	v_pk_fma_f16 v78, v76, v82, v0 op_sel_hi:[1,0,1]
	ds_read_b64 v[0:1], v66
	v_pk_fma_f16 v71, v77, v82, v71 op_sel_hi:[1,0,1]
	ds_read_b64 v[72:73], v67
	ds_read_b64 v[74:75], v68
	;; [unrolled: 1-line block ×3, first 2 shown]
	s_waitcnt lgkmcnt(0)
	s_barrier
	s_load_dword s16, s[12:13], 0x4
	v_pk_fma_f16 v0, v0, v83, v78 op_sel_hi:[1,0,1]
	v_pk_fma_f16 v1, v1, v83, v71 op_sel_hi:[1,0,1]
	;; [unrolled: 1-line block ×4, first 2 shown]
	s_waitcnt lgkmcnt(0)
	s_lshl_b32 s16, s16, 7
	v_pk_fma_f16 v0, v74, v85, v0 op_sel_hi:[1,0,1]
	v_pk_fma_f16 v1, v75, v85, v1 op_sel_hi:[1,0,1]
	s_add_i32 s20, s16, s20
	v_pk_fma_f16 v0, v76, v86, v0 op_sel_hi:[1,0,1]
	s_cmp_lt_i32 s20, s21
	v_pk_fma_f16 v1, v77, v86, v1 op_sel_hi:[1,0,1]
	s_cbranch_scc0 .LBB68_17
; %bb.15:                               ;   in Loop: Header=BB68_10 Depth=1
	v_mov_b32_e32 v71, v2
	s_branch .LBB68_10
.LBB68_16:
	v_mov_b32_e32 v2, 0xfeffffff
	v_mov_b32_e32 v9, 0
	;; [unrolled: 1-line block ×3, first 2 shown]
.LBB68_17:
	s_cmp_gt_i32 s14, s20
	s_cbranch_scc1 .LBB68_19
; %bb.18:
	v_mbcnt_hi_u32_b32 v8, -1, v34
	v_and_b32_e32 v10, 0x60, v8
	v_add_u32_e32 v10, 32, v10
	v_xor_b32_e32 v11, 16, v8
	v_xor_b32_e32 v12, 8, v8
	;; [unrolled: 1-line block ×5, first 2 shown]
	v_and_b32_e32 v16, 3, v5
	s_cbranch_execz .LBB68_20
	s_branch .LBB68_27
.LBB68_19:
                                        ; implicit-def: $vgpr8
                                        ; implicit-def: $vgpr10
                                        ; implicit-def: $vgpr11
                                        ; implicit-def: $vgpr12
                                        ; implicit-def: $vgpr13
                                        ; implicit-def: $vgpr14
                                        ; implicit-def: $vgpr15
                                        ; implicit-def: $vgpr16
.LBB68_20:
	s_mul_hi_i32 s7, s20, s15
	s_mul_i32 s6, s20, s15
	v_lshl_add_u32 v18, v5, 2, v36
	s_sub_i32 s16, s14, s20
	s_lshl_b64 s[6:7], s[6:7], 2
	v_mul_lo_u32 v14, s15, v18
	s_add_u32 s14, s23, s6
	v_ashrrev_i32_e32 v15, 31, v14
	s_addc_u32 s17, s26, s7
	v_lshlrev_b64 v[10:11], 2, v[14:15]
	v_mov_b32_e32 v12, s17
	v_add_co_u32_e32 v10, vcc, s14, v10
	v_lshlrev_b32_e32 v6, 2, v6
	v_addc_co_u32_e32 v11, vcc, v12, v11, vcc
	v_add_co_u32_e32 v22, vcc, v10, v6
	s_mov_b64 s[6:7], src_private_base
	v_addc_co_u32_e32 v23, vcc, 0, v11, vcc
	v_mov_b32_e32 v8, 0
	v_mov_b32_e32 v24, s7
	v_cmp_gt_i32_e32 vcc, s16, v18
	v_mov_b32_e32 v25, 0
	buffer_store_dword v8, off, s[0:3], 0
	buffer_store_dword v8, off, s[0:3], 0 offset:8
	buffer_store_dword v8, off, s[0:3], 0 offset:4
	;; [unrolled: 1-line block ×3, first 2 shown]
	v_cndmask_b32_e32 v11, v24, v23, vcc
	v_cndmask_b32_e32 v10, v25, v22, vcc
	flat_load_dwordx4 v[10:13], v[10:11]
	s_lshl_b32 s15, s15, 5
	v_add_u32_e32 v14, s15, v14
	v_ashrrev_i32_e32 v15, 31, v14
	s_movk_i32 s6, 0x90
	v_lshlrev_b64 v[16:17], 2, v[14:15]
	v_mad_u32_u24 v36, v18, s6, v6
	v_mov_b32_e32 v20, s17
	v_add_co_u32_e64 v15, s[6:7], s14, v16
	v_addc_co_u32_e64 v16, s[6:7], v20, v17, s[6:7]
	v_add_co_u32_e64 v37, s[6:7], v15, v6
	v_add_u32_e32 v19, 32, v18
	v_addc_co_u32_e64 v38, s[6:7], 0, v16, s[6:7]
	v_cmp_gt_i32_e64 s[6:7], s16, v19
	buffer_store_dword v8, off, s[0:3], 0
	buffer_store_dword v8, off, s[0:3], 0 offset:8
	buffer_store_dword v8, off, s[0:3], 0 offset:4
	;; [unrolled: 1-line block ×3, first 2 shown]
	v_cndmask_b32_e64 v17, v24, v38, s[6:7]
	v_cndmask_b32_e64 v16, v25, v37, s[6:7]
	v_add_u32_e32 v14, s15, v14
	v_ashrrev_i32_e32 v15, 31, v14
	v_add_u32_e32 v19, 64, v18
	v_cmp_gt_i32_e64 s[12:13], s16, v19
	v_and_b32_e32 v35, 0xff00, v35
	s_waitcnt vmcnt(0) lgkmcnt(0)
	ds_write_b128 v36, v[10:13]
	flat_load_dwordx4 v[10:13], v[16:17]
	v_lshlrev_b64 v[16:17], 2, v[14:15]
	v_add_co_u32_e64 v15, s[10:11], s14, v16
	v_addc_co_u32_e64 v16, s[10:11], v20, v17, s[10:11]
	v_add_co_u32_e64 v39, s[10:11], v15, v6
	v_addc_co_u32_e64 v40, s[10:11], 0, v16, s[10:11]
	v_cndmask_b32_e64 v17, v24, v40, s[12:13]
	v_cndmask_b32_e64 v16, v25, v39, s[12:13]
	buffer_store_dword v8, off, s[0:3], 0
	buffer_store_dword v8, off, s[0:3], 0 offset:8
	buffer_store_dword v8, off, s[0:3], 0 offset:4
	buffer_store_dword v8, off, s[0:3], 0 offset:12
	v_add_u32_e32 v14, s15, v14
	v_ashrrev_i32_e32 v15, 31, v14
	v_lshlrev_b64 v[14:15], 2, v[14:15]
	v_add_co_u32_e64 v14, s[10:11], s14, v14
	s_waitcnt vmcnt(0) lgkmcnt(0)
	ds_write_b128 v36, v[10:13] offset:4608
	flat_load_dwordx4 v[10:13], v[16:17]
	v_mov_b32_e32 v17, s17
	v_addc_co_u32_e64 v15, s[10:11], v17, v15, s[10:11]
	v_add_co_u32_e64 v17, s[10:11], v14, v6
	v_add_u32_e32 v16, 0x60, v18
	v_addc_co_u32_e64 v41, s[10:11], 0, v15, s[10:11]
	v_cmp_gt_i32_e64 s[10:11], s16, v16
	v_cndmask_b32_e64 v15, v24, v41, s[10:11]
	v_cndmask_b32_e64 v14, v25, v17, s[10:11]
	buffer_store_dword v8, off, s[0:3], 0
	buffer_store_dword v8, off, s[0:3], 0 offset:8
	buffer_store_dword v8, off, s[0:3], 0 offset:4
	;; [unrolled: 1-line block ×3, first 2 shown]
	v_and_b32_e32 v6, 0x60, v32
	v_add_u32_e32 v6, v6, v7
	v_mul_u32_u24_e32 v42, 0x90, v6
	v_mov_b32_e32 v16, 0
	s_movk_i32 s17, 0x80
	s_waitcnt vmcnt(0) lgkmcnt(0)
	ds_write_b128 v36, v[10:13] offset:9216
	flat_load_dwordx4 v[10:13], v[14:15]
	v_add_co_u32_e64 v14, s[14:15], s17, v22
	v_addc_co_u32_e64 v15, s[14:15], 0, v23, s[14:15]
	v_cndmask_b32_e32 v14, v25, v14, vcc
	v_cndmask_b32_e32 v15, v24, v15, vcc
	s_waitcnt vmcnt(0) lgkmcnt(0)
	ds_write_b128 v36, v[10:13] offset:13824
	s_waitcnt lgkmcnt(0)
	s_barrier
	ds_read_b128 v[10:13], v42
	ds_read_b128 v[18:21], v35 offset:18944
	s_waitcnt lgkmcnt(0)
	;;#ASMSTART
	v_dot2_f32_f16 v16, v10, v18, v16
	;;#ASMEND
	;;#ASMSTART
	v_dot2_f32_f16 v16, v11, v19, v16
	;;#ASMEND
	;;#ASMSTART
	v_dot2_f32_f16 v16, v12, v20, v16
	;;#ASMEND
	;;#ASMSTART
	v_dot2_f32_f16 v16, v13, v21, v16
	;;#ASMEND
	ds_read_b128 v[10:13], v42 offset:16
	ds_read_b128 v[18:21], v35 offset:18960
	s_waitcnt lgkmcnt(0)
	;;#ASMSTART
	v_dot2_f32_f16 v16, v10, v18, v16
	;;#ASMEND
	;;#ASMSTART
	v_dot2_f32_f16 v16, v11, v19, v16
	;;#ASMEND
	;;#ASMSTART
	v_dot2_f32_f16 v16, v12, v20, v16
	;;#ASMEND
	;;#ASMSTART
	v_dot2_f32_f16 v16, v13, v21, v16
	;;#ASMEND
	ds_read_b128 v[10:13], v42 offset:32
	;; [unrolled: 15-line block ×7, first 2 shown]
	ds_read_b128 v[18:21], v35 offset:19056
	s_waitcnt lgkmcnt(0)
	;;#ASMSTART
	v_dot2_f32_f16 v16, v10, v18, v16
	;;#ASMEND
	;;#ASMSTART
	v_dot2_f32_f16 v16, v11, v19, v16
	;;#ASMEND
	;; [unrolled: 3-line block ×4, first 2 shown]
	s_barrier
	buffer_store_dword v8, off, s[0:3], 0
	buffer_store_dword v8, off, s[0:3], 0 offset:8
	buffer_store_dword v8, off, s[0:3], 0 offset:4
	buffer_store_dword v8, off, s[0:3], 0 offset:12
	flat_load_dwordx4 v[10:13], v[14:15]
	v_add_co_u32_e32 v14, vcc, s17, v37
	v_addc_co_u32_e32 v15, vcc, 0, v38, vcc
	v_cndmask_b32_e64 v15, v24, v15, s[6:7]
	v_cndmask_b32_e64 v14, v25, v14, s[6:7]
	buffer_store_dword v8, off, s[0:3], 0
	buffer_store_dword v8, off, s[0:3], 0 offset:8
	buffer_store_dword v8, off, s[0:3], 0 offset:4
	;; [unrolled: 1-line block ×3, first 2 shown]
	s_waitcnt vmcnt(0) lgkmcnt(0)
	ds_write_b128 v36, v[10:13]
	flat_load_dwordx4 v[10:13], v[14:15]
	v_add_co_u32_e32 v14, vcc, s17, v39
	v_addc_co_u32_e32 v15, vcc, 0, v40, vcc
	v_cndmask_b32_e64 v15, v24, v15, s[12:13]
	v_cndmask_b32_e64 v14, v25, v14, s[12:13]
	buffer_store_dword v8, off, s[0:3], 0
	buffer_store_dword v8, off, s[0:3], 0 offset:8
	buffer_store_dword v8, off, s[0:3], 0 offset:4
	;; [unrolled: 1-line block ×3, first 2 shown]
	s_waitcnt vmcnt(0) lgkmcnt(0)
	ds_write_b128 v36, v[10:13] offset:4608
	flat_load_dwordx4 v[10:13], v[14:15]
	v_add_co_u32_e32 v14, vcc, s17, v17
	v_addc_co_u32_e32 v15, vcc, 0, v41, vcc
	v_cndmask_b32_e64 v15, v24, v15, s[10:11]
	v_cndmask_b32_e64 v14, v25, v14, s[10:11]
	buffer_store_dword v8, off, s[0:3], 0
	buffer_store_dword v8, off, s[0:3], 0 offset:8
	buffer_store_dword v8, off, s[0:3], 0 offset:4
	;; [unrolled: 1-line block ×3, first 2 shown]
	v_cmp_gt_i32_e32 vcc, s16, v6
	s_waitcnt vmcnt(0) lgkmcnt(0)
	ds_write_b128 v36, v[10:13] offset:9216
	flat_load_dwordx4 v[10:13], v[14:15]
	s_waitcnt vmcnt(0) lgkmcnt(0)
	ds_write_b128 v36, v[10:13] offset:13824
	s_waitcnt lgkmcnt(0)
	s_barrier
	ds_read_b128 v[10:13], v42
	ds_read_b128 v[18:21], v35 offset:19072
	s_waitcnt lgkmcnt(0)
	;;#ASMSTART
	v_dot2_f32_f16 v16, v10, v18, v16
	;;#ASMEND
	;;#ASMSTART
	v_dot2_f32_f16 v16, v11, v19, v16
	;;#ASMEND
	;;#ASMSTART
	v_dot2_f32_f16 v16, v12, v20, v16
	;;#ASMEND
	;;#ASMSTART
	v_dot2_f32_f16 v16, v13, v21, v16
	;;#ASMEND
	ds_read_b128 v[10:13], v42 offset:16
	ds_read_b128 v[18:21], v35 offset:19088
	s_waitcnt lgkmcnt(0)
	;;#ASMSTART
	v_dot2_f32_f16 v16, v10, v18, v16
	;;#ASMEND
	;;#ASMSTART
	v_dot2_f32_f16 v16, v11, v19, v16
	;;#ASMEND
	;;#ASMSTART
	v_dot2_f32_f16 v16, v12, v20, v16
	;;#ASMEND
	;;#ASMSTART
	v_dot2_f32_f16 v16, v13, v21, v16
	;;#ASMEND
	ds_read_b128 v[10:13], v42 offset:32
	;; [unrolled: 15-line block ×7, first 2 shown]
	ds_read_b128 v[18:21], v35 offset:19184
	s_waitcnt lgkmcnt(0)
	;;#ASMSTART
	v_dot2_f32_f16 v16, v10, v18, v16
	;;#ASMEND
	;;#ASMSTART
	v_dot2_f32_f16 v16, v11, v19, v16
	;;#ASMEND
	;; [unrolled: 3-line block ×3, first 2 shown]
	v_mov_b32_e32 v12, v2
	;;#ASMSTART
	v_dot2_f32_f16 v16, v13, v21, v16
	;;#ASMEND
	s_and_saveexec_b64 s[6:7], vcc
	s_cbranch_execz .LBB68_24
; %bb.21:
	s_cmp_eq_u64 s[44:45], 0
	s_cbranch_scc1 .LBB68_23
; %bb.22:
	v_mul_hi_u32 v8, s36, v27
	v_add_u32_e32 v8, v27, v8
	v_lshrrev_b32_e32 v8, s37, v8
	v_mul_lo_u32 v8, v8, s38
	v_sub_u32_e32 v8, v27, v8
	v_mul_lo_u32 v8, v8, s22
	v_add3_u32 v10, v8, v6, s20
	v_ashrrev_i32_e32 v11, 31, v10
	v_lshlrev_b64 v[10:11], 1, v[10:11]
	v_mov_b32_e32 v8, s45
	v_add_co_u32_e32 v10, vcc, s44, v10
	v_addc_co_u32_e32 v11, vcc, v8, v11, vcc
	flat_load_ushort v8, v[10:11]
	s_waitcnt vmcnt(0) lgkmcnt(0)
	v_cvt_f32_f16_e32 v8, v8
	v_mul_f32_e32 v8, v30, v8
.LBB68_23:
	v_add_f32_e32 v16, v16, v8
	v_add_f32_e32 v8, 0x40051340, v16
	v_max_f32_e32 v10, v2, v2
	v_max_f32_e32 v12, v10, v8
.LBB68_24:
	s_or_b64 exec, exec, s[6:7]
	v_mbcnt_hi_u32_b32 v8, -1, v34
	v_and_b32_e32 v10, 0x60, v8
	v_add_u32_e32 v10, 32, v10
	v_xor_b32_e32 v11, 16, v8
	v_cmp_lt_i32_e32 vcc, v11, v10
	v_cndmask_b32_e32 v13, v8, v11, vcc
	v_lshlrev_b32_e32 v13, 2, v13
	ds_bpermute_b32 v13, v13, v12
	v_max_f32_e32 v14, v12, v12
	v_xor_b32_e32 v12, 8, v8
	v_cmp_lt_i32_e32 vcc, v12, v10
	s_waitcnt lgkmcnt(0)
	v_max_f32_e32 v13, v13, v13
	v_max_f32_e32 v14, v14, v13
	v_cndmask_b32_e32 v13, v8, v12, vcc
	v_lshlrev_b32_e32 v13, 2, v13
	ds_bpermute_b32 v15, v13, v14
	v_xor_b32_e32 v13, 4, v8
	v_cmp_lt_i32_e32 vcc, v13, v10
	s_waitcnt lgkmcnt(0)
	v_max_f32_e32 v15, v15, v15
	v_max_f32_e32 v15, v14, v15
	v_cndmask_b32_e32 v14, v8, v13, vcc
	v_lshlrev_b32_e32 v14, 2, v14
	ds_bpermute_b32 v17, v14, v15
	;; [unrolled: 8-line block ×4, first 2 shown]
	v_cmp_eq_u32_e32 vcc, 0, v7
	s_and_saveexec_b64 s[6:7], vcc
	s_cbranch_execz .LBB68_26
; %bb.25:
	s_waitcnt lgkmcnt(0)
	v_max_f32_e32 v18, v18, v18
	v_max_f32_e32 v17, v17, v17
	;; [unrolled: 1-line block ×3, first 2 shown]
	ds_write_b32 v28, v17 offset:19488
.LBB68_26:
	s_or_b64 exec, exec, s[6:7]
	s_movk_i32 s6, 0x3fc
	v_and_or_b32 v17, v5, s6, v33
	v_lshlrev_b32_e32 v17, 2, v17
	s_waitcnt lgkmcnt(0)
	s_barrier
	ds_read_b32 v17, v17 offset:19488
	v_and_b32_e32 v18, 0x7c, v8
	v_add_u32_e32 v18, 4, v18
	v_cmp_lt_i32_e32 vcc, v14, v18
	v_cndmask_b32_e32 v19, v8, v14, vcc
	v_lshlrev_b32_e32 v19, 2, v19
	s_waitcnt lgkmcnt(0)
	ds_bpermute_b32 v19, v19, v17
	v_cmp_lt_i32_e32 vcc, v15, v18
	v_max_f32_e32 v17, v17, v17
	v_cndmask_b32_e32 v18, v8, v15, vcc
	v_lshlrev_b32_e32 v18, 2, v18
	s_waitcnt lgkmcnt(0)
	v_max_f32_e32 v19, v19, v19
	v_max_f32_e32 v17, v17, v19
	ds_bpermute_b32 v18, v18, v17
	s_mov_b32 s10, 0x3fb8aa3b
	s_mov_b32 s7, 0xc2ce8ed0
	;; [unrolled: 1-line block ×3, first 2 shown]
	v_mov_b32_e32 v63, 0x7f800000
	s_waitcnt lgkmcnt(0)
	v_max_f32_e32 v18, v18, v18
	v_max_f32_e32 v62, v17, v18
	v_sub_f32_e32 v16, v16, v62
	v_mul_f32_e32 v17, 0x3fb8aa3b, v16
	v_fma_f32 v18, v16, s10, -v17
	v_rndne_f32_e32 v19, v17
	v_fmac_f32_e32 v18, 0x32a5705f, v16
	v_sub_f32_e32 v17, v17, v19
	v_add_f32_e32 v17, v17, v18
	v_exp_f32_e32 v17, v17
	v_cvt_i32_f32_e32 v18, v19
	v_cmp_ngt_f32_e32 vcc, s7, v16
	s_mul_hi_i32 s15, s20, s8
	s_mul_i32 s14, s20, s8
	v_ldexp_f32 v17, v17, v18
	v_cndmask_b32_e32 v17, 0, v17, vcc
	v_cmp_nlt_f32_e32 vcc, s6, v16
	v_cndmask_b32_e32 v16, v63, v17, vcc
	v_cmp_gt_u32_e32 vcc, s16, v6
	v_cndmask_b32_e32 v64, 0, v16, vcc
	v_cvt_f16_f32_e32 v16, v64
	v_and_b32_e32 v17, 0x7f80, v32
	v_mov_b32_e32 v18, 0x4800
	v_lshl_add_u32 v32, v17, 1, v18
	v_lshl_add_u32 v6, v6, 1, v32
	ds_write_b16 v6, v16
	v_lshl_add_u32 v6, v5, 1, v31
	s_mov_b64 s[12:13], src_private_base
	v_mul_lo_u32 v20, s8, v6
	s_lshl_b32 s11, s8, 4
	s_lshl_b64 s[14:15], s[14:15], 2
	v_ashrrev_i32_e32 v21, 31, v20
	s_add_u32 s12, s18, s14
	s_addc_u32 s14, s19, s15
	v_lshlrev_b64 v[22:23], 2, v[20:21]
	v_mov_b32_e32 v16, s14
	v_add_co_u32_e32 v17, vcc, s12, v22
	v_lshlrev_b32_e32 v4, 2, v4
	v_addc_co_u32_e32 v16, vcc, v16, v23, vcc
	v_add_co_u32_e32 v18, vcc, v17, v4
	v_addc_co_u32_e32 v16, vcc, 0, v16, vcc
	v_mov_b32_e32 v65, 0
	v_mov_b32_e32 v66, s13
	v_cmp_gt_i32_e32 vcc, s16, v6
	v_mov_b32_e32 v67, 0
	buffer_store_dword v65, off, s[0:3], 0
	buffer_store_dword v65, off, s[0:3], 0 offset:8
	buffer_store_dword v65, off, s[0:3], 0 offset:4
	;; [unrolled: 1-line block ×3, first 2 shown]
	v_cndmask_b32_e32 v17, v66, v16, vcc
	v_cndmask_b32_e32 v16, v67, v18, vcc
	flat_load_dwordx4 v[16:19], v[16:17]
	v_add_u32_e32 v20, s11, v20
	v_ashrrev_i32_e32 v21, 31, v20
	v_lshlrev_b64 v[24:25], 2, v[20:21]
	v_mov_b32_e32 v21, s14
	v_add_co_u32_e32 v30, vcc, s12, v24
	v_addc_co_u32_e32 v21, vcc, v21, v25, vcc
	v_add_co_u32_e32 v30, vcc, v30, v4
	v_add_u32_e32 v69, 16, v6
	v_addc_co_u32_e32 v21, vcc, 0, v21, vcc
	v_lshl_or_b32 v68, v6, 8, v4
	v_cmp_gt_i32_e32 vcc, s16, v69
	v_cndmask_b32_e32 v31, v66, v21, vcc
	v_cndmask_b32_e32 v30, v67, v30, vcc
	buffer_store_dword v65, off, s[0:3], 0
	buffer_store_dword v65, off, s[0:3], 0 offset:8
	buffer_store_dword v65, off, s[0:3], 0 offset:4
	;; [unrolled: 1-line block ×3, first 2 shown]
	v_add_u32_e32 v20, s11, v20
	v_ashrrev_i32_e32 v21, 31, v20
	v_lshlrev_b64 v[58:59], 2, v[20:21]
	v_add_co_u32_e32 v21, vcc, s12, v58
	v_add_u32_e32 v70, 32, v6
	v_lshl_or_b32 v71, v69, 8, v4
	v_add_u32_e32 v20, s11, v20
	v_add_u32_e32 v72, 48, v6
	v_lshl_or_b32 v73, v70, 8, v4
	s_or_b32 s11, s20, 64
	s_mul_hi_i32 s13, s11, s8
	v_lshl_or_b32 v75, v72, 8, v4
	v_lshl_or_b32 v76, v3, 1, v32
	s_waitcnt vmcnt(0) lgkmcnt(0)
	ds_write_b128 v68, v[16:19]
	flat_load_dwordx4 v[16:19], v[30:31]
	v_mov_b32_e32 v30, s14
	v_addc_co_u32_e32 v30, vcc, v30, v59, vcc
	v_add_co_u32_e32 v21, vcc, v21, v4
	v_addc_co_u32_e32 v30, vcc, 0, v30, vcc
	v_cmp_gt_i32_e32 vcc, s16, v70
	v_cndmask_b32_e32 v31, v66, v30, vcc
	v_cndmask_b32_e32 v30, v67, v21, vcc
	buffer_store_dword v65, off, s[0:3], 0
	buffer_store_dword v65, off, s[0:3], 0 offset:8
	buffer_store_dword v65, off, s[0:3], 0 offset:4
	;; [unrolled: 1-line block ×3, first 2 shown]
	v_ashrrev_i32_e32 v21, 31, v20
	v_lshlrev_b64 v[60:61], 2, v[20:21]
	v_add_co_u32_e32 v20, vcc, s12, v60
	s_mul_i32 s12, s11, s8
	s_lshl_b64 s[12:13], s[12:13], 2
	s_add_u32 s8, s18, s12
	s_addc_u32 s11, s19, s13
	s_sub_i32 s12, s16, 64
	v_mov_b32_e32 v92, s11
	s_waitcnt vmcnt(0) lgkmcnt(0)
	ds_write_b128 v71, v[16:19]
	flat_load_dwordx4 v[16:19], v[30:31]
	v_mov_b32_e32 v30, s14
	v_addc_co_u32_e32 v21, vcc, v30, v61, vcc
	v_add_co_u32_e32 v20, vcc, v20, v4
	v_addc_co_u32_e32 v21, vcc, 0, v21, vcc
	v_cmp_gt_i32_e32 vcc, s16, v72
	v_cndmask_b32_e32 v21, v66, v21, vcc
	v_cndmask_b32_e32 v20, v67, v20, vcc
	buffer_store_dword v65, off, s[0:3], 0
	buffer_store_dword v65, off, s[0:3], 0 offset:8
	buffer_store_dword v65, off, s[0:3], 0 offset:4
	;; [unrolled: 1-line block ×3, first 2 shown]
	s_waitcnt vmcnt(0) lgkmcnt(0)
	ds_write_b128 v73, v[16:19]
	flat_load_dwordx4 v[16:19], v[20:21]
	v_lshlrev_b32_e32 v20, 8, v3
	v_lshl_add_u32 v74, v7, 3, v20
	v_mov_b32_e32 v20, s11
	v_add_co_u32_e32 v21, vcc, s8, v22
	v_addc_co_u32_e32 v20, vcc, v20, v23, vcc
	v_add_co_u32_e32 v21, vcc, v21, v4
	v_addc_co_u32_e32 v20, vcc, 0, v20, vcc
	v_cmp_gt_i32_e32 vcc, s12, v6
	v_cndmask_b32_e32 v55, v66, v20, vcc
	v_cndmask_b32_e32 v54, v67, v21, vcc
	v_add_co_u32_e32 v24, vcc, s8, v24
	v_addc_co_u32_e32 v25, vcc, v92, v25, vcc
	v_add_co_u32_e32 v24, vcc, v24, v4
	v_addc_co_u32_e32 v25, vcc, 0, v25, vcc
	v_cmp_gt_i32_e32 vcc, s12, v69
	v_cndmask_b32_e32 v25, v66, v25, vcc
	v_cndmask_b32_e32 v24, v67, v24, vcc
	s_waitcnt vmcnt(0) lgkmcnt(0)
	ds_write_b128 v75, v[16:19]
	s_waitcnt lgkmcnt(0)
	s_barrier
	ds_read2st64_b64 v[16:19], v74 offset1:2
	ds_read_u16 v6, v76
	ds_read_u16 v77, v76 offset:8
	ds_read_u16 v78, v76 offset:16
	;; [unrolled: 1-line block ×7, first 2 shown]
	ds_read2st64_b64 v[20:23], v74 offset0:4 offset1:6
	ds_read2st64_b64 v[30:33], v74 offset0:8 offset1:10
	ds_read2st64_b64 v[34:37], v74 offset0:12 offset1:14
	ds_read2st64_b64 v[38:41], v74 offset0:16 offset1:18
	ds_read2st64_b64 v[42:45], v74 offset0:20 offset1:22
	ds_read2st64_b64 v[46:49], v74 offset0:24 offset1:26
	ds_read2st64_b64 v[50:53], v74 offset0:28 offset1:30
	ds_read_u16 v84, v76 offset:64
	ds_read_u16 v85, v76 offset:72
	;; [unrolled: 1-line block ×8, first 2 shown]
	s_waitcnt lgkmcnt(0)
	s_barrier
	buffer_store_dword v65, off, s[0:3], 0
	buffer_store_dword v65, off, s[0:3], 0 offset:8
	buffer_store_dword v65, off, s[0:3], 0 offset:4
	;; [unrolled: 1-line block ×3, first 2 shown]
	flat_load_dwordx4 v[54:57], v[54:55]
	s_nop 0
	buffer_store_dword v65, off, s[0:3], 0
	buffer_store_dword v65, off, s[0:3], 0 offset:8
	buffer_store_dword v65, off, s[0:3], 0 offset:4
	;; [unrolled: 1-line block ×3, first 2 shown]
	s_waitcnt vmcnt(0) lgkmcnt(0)
	ds_write_b128 v68, v[54:57]
	flat_load_dwordx4 v[54:57], v[24:25]
	v_mov_b32_e32 v24, s11
	v_add_co_u32_e32 v25, vcc, s8, v58
	v_addc_co_u32_e32 v24, vcc, v24, v59, vcc
	v_add_co_u32_e32 v58, vcc, v25, v4
	v_addc_co_u32_e32 v24, vcc, 0, v24, vcc
	v_cmp_gt_i32_e32 vcc, s12, v70
	v_cndmask_b32_e32 v25, v66, v24, vcc
	v_cndmask_b32_e32 v24, v67, v58, vcc
	buffer_store_dword v65, off, s[0:3], 0
	buffer_store_dword v65, off, s[0:3], 0 offset:8
	buffer_store_dword v65, off, s[0:3], 0 offset:4
	;; [unrolled: 1-line block ×3, first 2 shown]
	s_waitcnt vmcnt(0) lgkmcnt(0)
	ds_write_b128 v71, v[54:57]
	flat_load_dwordx4 v[54:57], v[24:25]
	v_mov_b32_e32 v24, s11
	v_add_co_u32_e32 v25, vcc, s8, v60
	v_addc_co_u32_e32 v24, vcc, v24, v61, vcc
	v_add_co_u32_e32 v4, vcc, v25, v4
	v_addc_co_u32_e32 v24, vcc, 0, v24, vcc
	v_cmp_gt_i32_e32 vcc, s12, v72
	v_cndmask_b32_e32 v25, v66, v24, vcc
	v_cndmask_b32_e32 v24, v67, v4, vcc
	buffer_store_dword v65, off, s[0:3], 0
	buffer_store_dword v65, off, s[0:3], 0 offset:8
	buffer_store_dword v65, off, s[0:3], 0 offset:4
	;; [unrolled: 1-line block ×3, first 2 shown]
	v_sub_f32_e32 v4, v2, v62
	v_mul_f32_e32 v2, 0x3fb8aa3b, v4
	v_cmp_ngt_f32_e32 vcc, s7, v4
	s_waitcnt vmcnt(0) lgkmcnt(0)
	ds_write_b128 v73, v[54:57]
	flat_load_dwordx4 v[54:57], v[24:25]
	v_fma_f32 v24, v4, s10, -v2
	v_rndne_f32_e32 v25, v2
	v_fmac_f32_e32 v24, 0x32a5705f, v4
	v_sub_f32_e32 v2, v2, v25
	v_add_f32_e32 v2, v2, v24
	v_cvt_i32_f32_e32 v25, v25
	v_exp_f32_e32 v24, v2
	v_mov_b32_e32 v2, v62
	v_ldexp_f32 v24, v24, v25
	v_cndmask_b32_e32 v24, 0, v24, vcc
	v_cmp_nlt_f32_e32 vcc, s6, v4
	v_cndmask_b32_e32 v4, v63, v24, vcc
	v_cvt_f16_f32_e32 v24, v4
	v_fma_f32 v9, v9, v4, v64
	v_pk_mul_f16 v4, v16, v6 op_sel_hi:[1,0]
	v_pk_mul_f16 v6, v17, v6 op_sel_hi:[1,0]
	v_pk_fma_f16 v0, v0, v24, v4 op_sel_hi:[1,0,1]
	v_pk_fma_f16 v1, v1, v24, v6 op_sel_hi:[1,0,1]
	;; [unrolled: 1-line block ×32, first 2 shown]
	s_waitcnt vmcnt(0) lgkmcnt(0)
	ds_write_b128 v75, v[54:57]
	s_waitcnt lgkmcnt(0)
	s_barrier
	ds_read2st64_b64 v[16:19], v74 offset1:2
	ds_read_u16 v4, v76 offset:128
	ds_read_u16 v6, v76 offset:136
	ds_read_u16 v24, v76 offset:144
	ds_read_u16 v25, v76 offset:152
	ds_read_u16 v54, v76 offset:160
	ds_read_u16 v55, v76 offset:168
	ds_read_u16 v56, v76 offset:176
	ds_read_u16 v57, v76 offset:184
	ds_read2st64_b64 v[20:23], v74 offset0:4 offset1:6
	ds_read2st64_b64 v[30:33], v74 offset0:8 offset1:10
	;; [unrolled: 1-line block ×7, first 2 shown]
	ds_read_u16 v58, v76 offset:192
	ds_read_u16 v59, v76 offset:200
	;; [unrolled: 1-line block ×8, first 2 shown]
	s_waitcnt lgkmcnt(14)
	v_pk_fma_f16 v0, v16, v4, v0 op_sel_hi:[1,0,1]
	v_pk_fma_f16 v1, v17, v4, v1 op_sel_hi:[1,0,1]
	;; [unrolled: 1-line block ×8, first 2 shown]
	s_waitcnt lgkmcnt(13)
	v_pk_fma_f16 v0, v30, v54, v0 op_sel_hi:[1,0,1]
	v_pk_fma_f16 v1, v31, v54, v1 op_sel_hi:[1,0,1]
	;; [unrolled: 1-line block ×4, first 2 shown]
	s_waitcnt lgkmcnt(12)
	v_pk_fma_f16 v0, v34, v56, v0 op_sel_hi:[1,0,1]
	v_pk_fma_f16 v1, v35, v56, v1 op_sel_hi:[1,0,1]
	v_pk_fma_f16 v0, v36, v57, v0 op_sel_hi:[1,0,1]
	v_pk_fma_f16 v1, v37, v57, v1 op_sel_hi:[1,0,1]
	s_waitcnt lgkmcnt(7)
	v_pk_fma_f16 v0, v38, v58, v0 op_sel_hi:[1,0,1]
	v_pk_fma_f16 v1, v39, v58, v1 op_sel_hi:[1,0,1]
	s_waitcnt lgkmcnt(6)
	v_pk_fma_f16 v0, v40, v59, v0 op_sel_hi:[1,0,1]
	v_pk_fma_f16 v1, v41, v59, v1 op_sel_hi:[1,0,1]
	;; [unrolled: 3-line block ×8, first 2 shown]
	v_mov_b32_e32 v16, v3
	s_barrier
.LBB68_27:
	v_cmp_lt_i32_e32 vcc, v11, v10
	v_cndmask_b32_e32 v3, v8, v11, vcc
	v_lshlrev_b32_e32 v3, 2, v3
	ds_bpermute_b32 v3, v3, v9
	v_cmp_lt_i32_e32 vcc, v12, v10
	v_cndmask_b32_e32 v4, v8, v12, vcc
	v_lshlrev_b32_e32 v4, 2, v4
	v_cmp_lt_i32_e32 vcc, v13, v10
	s_waitcnt lgkmcnt(0)
	v_add_f32_e32 v3, v9, v3
	ds_bpermute_b32 v4, v4, v3
	v_cndmask_b32_e32 v6, v8, v13, vcc
	v_lshlrev_b32_e32 v6, 2, v6
	v_cmp_lt_i32_e32 vcc, v14, v10
	v_cmp_ne_u32_e64 s[6:7], 0, v16
	s_waitcnt lgkmcnt(0)
	v_add_f32_e32 v3, v3, v4
	ds_bpermute_b32 v4, v6, v3
	v_cndmask_b32_e32 v6, v8, v14, vcc
	v_lshlrev_b32_e32 v6, 2, v6
	v_cmp_lt_i32_e32 vcc, v15, v10
	s_waitcnt lgkmcnt(0)
	v_add_f32_e32 v3, v3, v4
	ds_bpermute_b32 v4, v6, v3
	v_cndmask_b32_e32 v6, v8, v15, vcc
	v_lshlrev_b32_e32 v6, 2, v6
	v_cmp_eq_u32_e32 vcc, 0, v16
	s_waitcnt lgkmcnt(0)
	v_add_f32_e32 v3, v3, v4
	ds_bpermute_b32 v4, v6, v3
	s_waitcnt lgkmcnt(0)
	v_add_f32_e32 v3, v3, v4
	s_and_saveexec_b64 s[10:11], s[6:7]
	s_xor_b64 s[10:11], exec, s[10:11]
	s_cbranch_execnz .LBB68_31
; %bb.28:
	s_andn2_saveexec_b64 s[6:7], s[10:11]
	s_cbranch_execnz .LBB68_34
.LBB68_29:
	s_or_b64 exec, exec, s[6:7]
	s_and_saveexec_b64 s[6:7], vcc
	s_cbranch_execnz .LBB68_35
.LBB68_30:
	s_endpgm
.LBB68_31:
	v_lshl_add_u32 v4, v5, 8, v29
	v_cmp_eq_u32_e64 s[6:7], 0, v7
	ds_write_b64 v4, v[0:1]
	s_and_saveexec_b64 s[12:13], s[6:7]
	s_cbranch_execz .LBB68_33
; %bb.32:
	ds_write_b32 v28, v3 offset:18944
.LBB68_33:
	s_or_b64 exec, exec, s[12:13]
                                        ; implicit-def: $vgpr5
                                        ; implicit-def: $vgpr28
	s_andn2_saveexec_b64 s[6:7], s[10:11]
	s_cbranch_execz .LBB68_29
.LBB68_34:
	v_lshlrev_b32_e32 v4, 8, v5
	v_lshl_add_u32 v6, v7, 3, v4
	s_waitcnt lgkmcnt(0)
	s_barrier
	ds_read2_b64 v[8:11], v6 offset0:32 offset1:64
	v_add_u32_e32 v4, 0x4a04, v28
	ds_read2_b32 v[4:5], v4 offset1:1
	s_waitcnt lgkmcnt(1)
	v_pk_add_f16 v8, v8, v0
	v_pk_add_f16 v9, v9, v1
	ds_read_b32 v12, v28 offset:18956
	ds_read_b64 v[0:1], v6 offset:768
	s_waitcnt lgkmcnt(2)
	v_add_f32_e32 v3, v3, v4
	v_pk_add_f16 v4, v10, v8
	v_pk_add_f16 v6, v11, v9
	v_add_f32_e32 v3, v3, v5
	s_waitcnt lgkmcnt(0)
	v_pk_add_f16 v0, v0, v4
	v_pk_add_f16 v1, v1, v6
	v_add_f32_e32 v3, v3, v12
	s_or_b64 exec, exec, s[6:7]
	s_and_saveexec_b64 s[6:7], vcc
	s_cbranch_execz .LBB68_30
.LBB68_35:
	s_cmp_eq_u64 s[24:25], 0
	s_cselect_b64 s[6:7], -1, 0
	s_cmp_lg_u32 s9, 0
	s_cselect_b64 s[10:11], -1, 0
	s_or_b64 s[6:7], s[10:11], s[6:7]
	s_and_b64 vcc, exec, s[6:7]
	s_cbranch_vccnz .LBB68_37
; %bb.36:
	s_lshl_b64 s[6:7], s[34:35], 2
	s_add_u32 s6, s24, s6
	s_addc_u32 s7, s25, s7
	v_mov_b32_e32 v4, 0
	global_load_dword v5, v4, s[6:7]
	v_max_f32_e32 v4, v2, v2
	s_mov_b32 s6, 0x3fb8aa3b
	s_mov_b32 s7, 0xc2ce8ed0
	s_waitcnt vmcnt(0)
	v_max_f32_e32 v6, v5, v5
	v_max_f32_e32 v4, v4, v6
	v_sub_f32_e32 v2, v2, v4
	v_sub_f32_e32 v5, v5, v4
	v_mul_f32_e32 v6, 0x3fb8aa3b, v2
	v_mul_f32_e32 v8, 0x3fb8aa3b, v5
	v_fma_f32 v9, v2, s6, -v6
	v_rndne_f32_e32 v10, v6
	v_fma_f32 v11, v5, s6, -v8
	v_rndne_f32_e32 v12, v8
	v_fmac_f32_e32 v9, 0x32a5705f, v2
	v_sub_f32_e32 v6, v6, v10
	v_fmac_f32_e32 v11, 0x32a5705f, v5
	v_sub_f32_e32 v8, v8, v12
	v_add_f32_e32 v6, v6, v9
	v_cvt_i32_f32_e32 v10, v10
	v_add_f32_e32 v8, v8, v11
	v_exp_f32_e32 v6, v6
	v_cvt_i32_f32_e32 v12, v12
	v_exp_f32_e32 v8, v8
	v_cmp_ngt_f32_e32 vcc, s7, v2
	v_ldexp_f32 v6, v6, v10
	s_mov_b32 s6, 0x42b17218
	v_ldexp_f32 v8, v8, v12
	v_cndmask_b32_e32 v6, 0, v6, vcc
	v_cmp_ngt_f32_e32 vcc, s7, v5
	v_mov_b32_e32 v9, 0x7f800000
	v_cndmask_b32_e32 v8, 0, v8, vcc
	v_cmp_nlt_f32_e32 vcc, s6, v2
	v_cndmask_b32_e32 v2, v9, v6, vcc
	v_cvt_f16_f32_e32 v6, v2
	v_cmp_nlt_f32_e32 vcc, s6, v5
	v_cndmask_b32_e32 v5, v9, v8, vcc
	v_fmac_f32_e32 v5, v3, v2
	v_pk_mul_f16 v0, v6, v0 op_sel_hi:[0,1]
	v_pk_mul_f16 v1, v6, v1 op_sel_hi:[0,1]
	v_pk_mov_b32 v[2:3], v[4:5], v[4:5] op_sel:[0,1]
	v_cmp_gt_i32_e32 vcc, s38, v27
	s_and_b64 exec, exec, vcc
	s_cbranch_execz .LBB68_30
	s_branch .LBB68_38
.LBB68_37:
	v_mov_b32_e32 v5, v3
	v_cmp_gt_i32_e32 vcc, s38, v27
	s_and_b64 exec, exec, vcc
	s_cbranch_execz .LBB68_30
.LBB68_38:
	s_load_dword s6, s[4:5], 0xd4
	v_div_scale_f32 v4, s[4:5], v5, v5, 1.0
	v_rcp_f32_e32 v6, v4
	s_mul_i32 s33, s33, s38
	s_waitcnt lgkmcnt(0)
	s_cmp_lg_u32 s6, 1
	s_cselect_b64 s[4:5], -1, 0
	v_fma_f32 v8, -v4, v6, 1.0
	v_fmac_f32_e32 v6, v8, v6
	v_div_scale_f32 v8, vcc, 1.0, v5, 1.0
	v_mul_f32_e32 v9, v8, v6
	v_fma_f32 v10, -v4, v9, v8
	v_fmac_f32_e32 v9, v10, v6
	v_fma_f32 v4, -v4, v9, v8
	v_div_fmas_f32 v4, v4, v6, v9
	v_div_fixup_f32 v4, v4, v5, 1.0
	v_cndmask_b32_e64 v6, v4, 1.0, s[4:5]
	v_add_u32_e32 v4, s33, v27
	v_mul_lo_u32 v4, v4, s39
	v_add_u32_e32 v4, s34, v4
	v_mul_lo_u32 v4, s6, v4
	v_add_u32_e32 v4, s9, v4
	v_lshl_add_u32 v8, v4, 7, v26
	v_mov_b32_e32 v9, 0
	v_lshlrev_b64 v[8:9], 2, v[8:9]
	v_cvt_f32_f16_sdwa v11, v0 dst_sel:DWORD dst_unused:UNUSED_PAD src0_sel:WORD_1
	v_cvt_f32_f16_e32 v10, v0
	v_cvt_f32_f16_sdwa v13, v1 dst_sel:DWORD dst_unused:UNUSED_PAD src0_sel:WORD_1
	v_cvt_f32_f16_e32 v12, v1
	v_mov_b32_e32 v5, s29
	v_add_co_u32_e32 v0, vcc, s28, v8
	v_addc_co_u32_e32 v1, vcc, v5, v9, vcc
	v_cmp_eq_u32_e32 vcc, 0, v7
	v_pk_mul_f32 v[8:9], v[6:7], v[10:11] op_sel_hi:[0,1]
	v_pk_mul_f32 v[10:11], v[6:7], v[12:13] op_sel_hi:[0,1]
	s_and_b64 s[4:5], vcc, s[4:5]
	global_store_dwordx4 v[0:1], v[8:11], off
	s_and_b64 exec, exec, s[4:5]
	s_cbranch_execz .LBB68_30
; %bb.39:
	v_ashrrev_i32_e32 v5, 31, v4
	v_lshlrev_b64 v[0:1], 3, v[4:5]
	v_mov_b32_e32 v4, s31
	v_add_co_u32_e32 v0, vcc, s30, v0
	v_addc_co_u32_e32 v1, vcc, v4, v1, vcc
	global_store_dwordx2 v[0:1], v[2:3], off
	s_endpgm
	.section	.rodata,"a",@progbits
	.p2align	6, 0x0
	.amdhsa_kernel _ZL15flash_attn_tileILi128ELi128ELi2ELi1ELb0EEvPKcS1_S1_S1_S1_PKiPfP15HIP_vector_typeIfLj2EEffffjfiS5_IjLj3EEiiiiiiiiiiiliiliiiiil
		.amdhsa_group_segment_fixed_size 19520
		.amdhsa_private_segment_fixed_size 32
		.amdhsa_kernarg_size 464
		.amdhsa_user_sgpr_count 8
		.amdhsa_user_sgpr_private_segment_buffer 1
		.amdhsa_user_sgpr_dispatch_ptr 0
		.amdhsa_user_sgpr_queue_ptr 0
		.amdhsa_user_sgpr_kernarg_segment_ptr 1
		.amdhsa_user_sgpr_dispatch_id 0
		.amdhsa_user_sgpr_flat_scratch_init 1
		.amdhsa_user_sgpr_kernarg_preload_length 0
		.amdhsa_user_sgpr_kernarg_preload_offset 0
		.amdhsa_user_sgpr_private_segment_size 0
		.amdhsa_uses_dynamic_stack 0
		.amdhsa_system_sgpr_private_segment_wavefront_offset 1
		.amdhsa_system_sgpr_workgroup_id_x 1
		.amdhsa_system_sgpr_workgroup_id_y 1
		.amdhsa_system_sgpr_workgroup_id_z 1
		.amdhsa_system_sgpr_workgroup_info 0
		.amdhsa_system_vgpr_workitem_id 1
		.amdhsa_next_free_vgpr 141
		.amdhsa_next_free_sgpr 56
		.amdhsa_accum_offset 144
		.amdhsa_reserve_vcc 1
		.amdhsa_reserve_flat_scratch 1
		.amdhsa_float_round_mode_32 0
		.amdhsa_float_round_mode_16_64 0
		.amdhsa_float_denorm_mode_32 3
		.amdhsa_float_denorm_mode_16_64 3
		.amdhsa_dx10_clamp 1
		.amdhsa_ieee_mode 1
		.amdhsa_fp16_overflow 0
		.amdhsa_tg_split 0
		.amdhsa_exception_fp_ieee_invalid_op 0
		.amdhsa_exception_fp_denorm_src 0
		.amdhsa_exception_fp_ieee_div_zero 0
		.amdhsa_exception_fp_ieee_overflow 0
		.amdhsa_exception_fp_ieee_underflow 0
		.amdhsa_exception_fp_ieee_inexact 0
		.amdhsa_exception_int_div_zero 0
	.end_amdhsa_kernel
	.section	.text._ZL15flash_attn_tileILi128ELi128ELi2ELi1ELb0EEvPKcS1_S1_S1_S1_PKiPfP15HIP_vector_typeIfLj2EEffffjfiS5_IjLj3EEiiiiiiiiiiiliiliiiiil,"axG",@progbits,_ZL15flash_attn_tileILi128ELi128ELi2ELi1ELb0EEvPKcS1_S1_S1_S1_PKiPfP15HIP_vector_typeIfLj2EEffffjfiS5_IjLj3EEiiiiiiiiiiiliiliiiiil,comdat
.Lfunc_end68:
	.size	_ZL15flash_attn_tileILi128ELi128ELi2ELi1ELb0EEvPKcS1_S1_S1_S1_PKiPfP15HIP_vector_typeIfLj2EEffffjfiS5_IjLj3EEiiiiiiiiiiiliiliiiiil, .Lfunc_end68-_ZL15flash_attn_tileILi128ELi128ELi2ELi1ELb0EEvPKcS1_S1_S1_S1_PKiPfP15HIP_vector_typeIfLj2EEffffjfiS5_IjLj3EEiiiiiiiiiiiliiliiiiil
                                        ; -- End function
	.section	.AMDGPU.csdata,"",@progbits
; Kernel info:
; codeLenInByte = 11532
; NumSgprs: 62
; NumVgprs: 141
; NumAgprs: 0
; TotalNumVgprs: 141
; ScratchSize: 32
; MemoryBound: 0
; FloatMode: 240
; IeeeMode: 1
; LDSByteSize: 19520 bytes/workgroup (compile time only)
; SGPRBlocks: 7
; VGPRBlocks: 17
; NumSGPRsForWavesPerEU: 62
; NumVGPRsForWavesPerEU: 141
; AccumOffset: 144
; Occupancy: 3
; WaveLimiterHint : 1
; COMPUTE_PGM_RSRC2:SCRATCH_EN: 1
; COMPUTE_PGM_RSRC2:USER_SGPR: 8
; COMPUTE_PGM_RSRC2:TRAP_HANDLER: 0
; COMPUTE_PGM_RSRC2:TGID_X_EN: 1
; COMPUTE_PGM_RSRC2:TGID_Y_EN: 1
; COMPUTE_PGM_RSRC2:TGID_Z_EN: 1
; COMPUTE_PGM_RSRC2:TIDIG_COMP_CNT: 1
; COMPUTE_PGM_RSRC3_GFX90A:ACCUM_OFFSET: 35
; COMPUTE_PGM_RSRC3_GFX90A:TG_SPLIT: 0
	.section	.text._ZL33flash_attn_stream_k_fixup_uniformILi128ELi2ELi1EEvPfPK15HIP_vector_typeIfLj2EEiiiiiiS1_IjLj3EES5_S5_,"axG",@progbits,_ZL33flash_attn_stream_k_fixup_uniformILi128ELi2ELi1EEvPfPK15HIP_vector_typeIfLj2EEiiiiiiS1_IjLj3EES5_S5_,comdat
	.globl	_ZL33flash_attn_stream_k_fixup_uniformILi128ELi2ELi1EEvPfPK15HIP_vector_typeIfLj2EEiiiiiiS1_IjLj3EES5_S5_ ; -- Begin function _ZL33flash_attn_stream_k_fixup_uniformILi128ELi2ELi1EEvPfPK15HIP_vector_typeIfLj2EEiiiiiiS1_IjLj3EES5_S5_
	.p2align	8
	.type	_ZL33flash_attn_stream_k_fixup_uniformILi128ELi2ELi1EEvPfPK15HIP_vector_typeIfLj2EEiiiiiiS1_IjLj3EES5_S5_,@function
_ZL33flash_attn_stream_k_fixup_uniformILi128ELi2ELi1EEvPfPK15HIP_vector_typeIfLj2EEiiiiiiS1_IjLj3EES5_S5_: ; @_ZL33flash_attn_stream_k_fixup_uniformILi128ELi2ELi1EEvPfPK15HIP_vector_typeIfLj2EEiiiiiiS1_IjLj3EES5_S5_
; %bb.0:
	s_load_dwordx8 s[12:19], s[4:5], 0x1c
	s_load_dwordx2 s[10:11], s[4:5], 0x10
	s_load_dwordx4 s[0:3], s[4:5], 0x3c
	s_waitcnt lgkmcnt(0)
	s_mul_hi_u32 s9, s15, s6
	s_add_i32 s9, s6, s9
	s_lshr_b32 s9, s9, s16
	s_mul_i32 s15, s9, s17
	s_sub_i32 s15, s6, s15
	s_mul_hi_u32 s16, s15, s18
	s_add_i32 s16, s15, s16
	s_lshr_b32 s16, s16, s19
	s_mul_i32 s0, s16, s0
	s_sub_i32 s0, s15, s0
	;; [unrolled: 5-line block ×3, first 2 shown]
	s_lshl_b32 s0, s17, 1
	s_add_i32 s0, s0, s7
	s_cmp_lt_i32 s0, s10
	s_cselect_b64 s[0:1], -1, 0
	s_add_i32 s2, s15, s8
	s_cmp_lt_i32 s2, s13
	s_cselect_b64 s[2:3], -1, 0
	s_and_b64 s[0:1], s[0:1], s[2:3]
	s_andn2_b64 vcc, exec, s[0:1]
	s_cbranch_vccnz .LBB69_6
; %bb.1:
	s_load_dwordx4 s[0:3], s[4:5], 0x0
	s_mul_i32 s4, s9, s10
	s_add_i32 s4, s4, s7
	s_mul_i32 s4, s4, s11
	s_mul_i32 s16, s16, s13
	s_add_i32 s4, s4, s8
	s_add_i32 s4, s4, s16
	s_mul_i32 s5, s11, s17
	s_add_i32 s4, s4, s15
	s_lshl_b32 s5, s5, 8
	s_lshl_b32 s4, s4, 7
	s_add_i32 s5, s5, s4
	v_or_b32_e32 v2, s5, v0
	v_ashrrev_i32_e32 v3, 31, v2
	v_lshlrev_b64 v[2:3], 2, v[2:3]
	s_waitcnt lgkmcnt(0)
	v_mov_b32_e32 v1, s1
	v_add_co_u32_e32 v2, vcc, s0, v2
	v_addc_co_u32_e32 v3, vcc, v1, v3, vcc
	global_load_dword v8, v[2:3], off
	s_add_i32 s4, s7, s8
	s_mul_i32 s7, s6, s14
	s_add_i32 s5, s7, s14
	s_lshl_b32 s0, s5, 1
	s_add_i32 s0, s4, s0
	s_add_i32 s0, s0, -2
	s_ashr_i32 s1, s0, 31
	s_lshl_b64 s[0:1], s[0:1], 3
	s_add_u32 s0, s2, s0
	s_addc_u32 s1, s3, s1
	s_load_dword s10, s[0:1], 0x4
	s_add_i32 s8, s5, -2
	s_cmp_lt_i32 s8, s7
	s_cbranch_scc1 .LBB69_4
; %bb.2:
	s_lshl_b32 s8, s12, 3
	s_ashr_i32 s9, s8, 31
	s_lshl_b64 s[8:9], s[8:9], 2
	s_add_u32 s8, s2, s8
	s_addc_u32 s11, s3, s9
	s_add_i32 s6, s6, 1
	s_add_i32 s9, s5, -1
	s_mul_i32 s5, s14, s6
	s_load_dword s0, s[0:1], 0x0
	s_lshl_b32 s1, s4, 7
	s_lshl_b32 s6, s5, 8
	s_add_i32 s1, s1, s6
	v_or_b32_e32 v0, s1, v0
	s_lshl_b32 s1, s5, 1
	s_add_i32 s1, s4, s1
	s_lshl_b32 s4, s12, 1
	s_add_i32 s1, s1, s4
	v_add_u32_e32 v0, 0xfffffe00, v0
	s_add_i32 s4, s1, -4
	s_waitcnt lgkmcnt(0)
	v_mov_b32_e32 v7, s10
	v_mov_b32_e32 v6, s0
	;; [unrolled: 1-line block ×3, first 2 shown]
	s_mov_b32 s6, 0x3fb8aa3b
	s_mov_b32 s10, 0xc2ce8ed0
	;; [unrolled: 1-line block ×3, first 2 shown]
	v_mov_b32_e32 v5, 0x7f800000
	s_mov_b32 s12, 0xc1a00000
.LBB69_3:                               ; =>This Inner Loop Header: Depth=1
	v_ashrrev_i32_e32 v1, 31, v0
	v_lshlrev_b64 v[10:11], 2, v[0:1]
	v_add_co_u32_e32 v10, vcc, s8, v10
	v_addc_co_u32_e32 v11, vcc, v4, v11, vcc
	global_load_dword v1, v[10:11], off
	s_ashr_i32 s5, s4, 31
	s_lshl_b64 s[0:1], s[4:5], 3
	s_add_u32 s0, s2, s0
	s_addc_u32 s1, s3, s1
	s_load_dwordx2 s[14:15], s[0:1], 0x0
	s_waitcnt vmcnt(1)
	v_mov_b32_e32 v9, v8
	v_max_f32_e32 v8, v6, v6
	v_mov_b32_e32 v10, v7
	s_add_i32 s9, s9, -1
	s_waitcnt lgkmcnt(0)
	v_max_f32_e64 v7, s14, s14
	v_max_f32_e32 v7, v8, v7
	v_sub_f32_e32 v11, s14, v7
	v_sub_f32_e32 v8, v6, v7
	v_mul_f32_e32 v12, 0x3fb8aa3b, v11
	v_mov_b32_e32 v6, v7
	v_mul_f32_e32 v7, 0x3fb8aa3b, v8
	v_fma_f32 v15, v11, s6, -v12
	v_rndne_f32_e32 v16, v12
	v_fma_f32 v13, v8, s6, -v7
	v_rndne_f32_e32 v14, v7
	v_fmac_f32_e32 v15, 0x32a5705f, v11
	v_sub_f32_e32 v12, v12, v16
	v_fmac_f32_e32 v13, 0x32a5705f, v8
	v_sub_f32_e32 v7, v7, v14
	v_add_f32_e32 v12, v12, v15
	v_cvt_i32_f32_e32 v16, v16
	v_add_f32_e32 v7, v7, v13
	v_exp_f32_e32 v12, v12
	v_cvt_i32_f32_e32 v14, v14
	v_exp_f32_e32 v7, v7
	v_cmp_ngt_f32_e32 vcc, s10, v11
	v_ldexp_f32 v12, v12, v16
	v_cmp_ngt_f32_e64 s[0:1], s10, v8
	v_ldexp_f32 v7, v7, v14
	v_cndmask_b32_e32 v12, 0, v12, vcc
	v_cmp_nlt_f32_e32 vcc, s11, v11
	v_cndmask_b32_e64 v7, 0, v7, s[0:1]
	v_cmp_nlt_f32_e64 s[0:1], s11, v8
	v_cndmask_b32_e32 v12, v5, v12, vcc
	v_cmp_le_f32_e32 vcc, s12, v11
	v_cndmask_b32_e64 v7, v5, v7, s[0:1]
	v_cmp_le_f32_e64 s[0:1], s12, v8
	v_cndmask_b32_e32 v8, 0, v12, vcc
	s_add_i32 s4, s4, -2
	v_cndmask_b32_e64 v11, 0, v7, s[0:1]
	v_mul_f32_e32 v7, s15, v8
	v_add_u32_e32 v0, 0xffffff00, v0
	s_cmp_le_i32 s9, s7
	v_fmac_f32_e32 v7, v10, v11
	s_waitcnt vmcnt(0)
	v_mul_f32_e32 v8, v1, v8
	v_fmac_f32_e32 v8, v9, v11
	s_cbranch_scc0 .LBB69_3
	s_branch .LBB69_5
.LBB69_4:
	s_waitcnt lgkmcnt(0)
	v_mov_b32_e32 v7, s10
.LBB69_5:
	s_waitcnt vmcnt(0)
	v_div_scale_f32 v0, s[0:1], v7, v7, v8
	v_rcp_f32_e32 v1, v0
	v_div_scale_f32 v4, vcc, v8, v7, v8
	v_fma_f32 v5, -v0, v1, 1.0
	v_fmac_f32_e32 v1, v5, v1
	v_mul_f32_e32 v5, v4, v1
	v_fma_f32 v6, -v0, v5, v4
	v_fmac_f32_e32 v5, v6, v1
	v_fma_f32 v0, -v0, v5, v4
	v_div_fmas_f32 v0, v0, v1, v5
	v_div_fixup_f32 v0, v0, v7, v8
	global_store_dword v[2:3], v0, off
.LBB69_6:
	s_endpgm
	.section	.rodata,"a",@progbits
	.p2align	6, 0x0
	.amdhsa_kernel _ZL33flash_attn_stream_k_fixup_uniformILi128ELi2ELi1EEvPfPK15HIP_vector_typeIfLj2EEiiiiiiS1_IjLj3EES5_S5_
		.amdhsa_group_segment_fixed_size 0
		.amdhsa_private_segment_fixed_size 0
		.amdhsa_kernarg_size 76
		.amdhsa_user_sgpr_count 6
		.amdhsa_user_sgpr_private_segment_buffer 1
		.amdhsa_user_sgpr_dispatch_ptr 0
		.amdhsa_user_sgpr_queue_ptr 0
		.amdhsa_user_sgpr_kernarg_segment_ptr 1
		.amdhsa_user_sgpr_dispatch_id 0
		.amdhsa_user_sgpr_flat_scratch_init 0
		.amdhsa_user_sgpr_kernarg_preload_length 0
		.amdhsa_user_sgpr_kernarg_preload_offset 0
		.amdhsa_user_sgpr_private_segment_size 0
		.amdhsa_uses_dynamic_stack 0
		.amdhsa_system_sgpr_private_segment_wavefront_offset 0
		.amdhsa_system_sgpr_workgroup_id_x 1
		.amdhsa_system_sgpr_workgroup_id_y 1
		.amdhsa_system_sgpr_workgroup_id_z 1
		.amdhsa_system_sgpr_workgroup_info 0
		.amdhsa_system_vgpr_workitem_id 0
		.amdhsa_next_free_vgpr 17
		.amdhsa_next_free_sgpr 20
		.amdhsa_accum_offset 20
		.amdhsa_reserve_vcc 1
		.amdhsa_reserve_flat_scratch 0
		.amdhsa_float_round_mode_32 0
		.amdhsa_float_round_mode_16_64 0
		.amdhsa_float_denorm_mode_32 3
		.amdhsa_float_denorm_mode_16_64 3
		.amdhsa_dx10_clamp 1
		.amdhsa_ieee_mode 1
		.amdhsa_fp16_overflow 0
		.amdhsa_tg_split 0
		.amdhsa_exception_fp_ieee_invalid_op 0
		.amdhsa_exception_fp_denorm_src 0
		.amdhsa_exception_fp_ieee_div_zero 0
		.amdhsa_exception_fp_ieee_overflow 0
		.amdhsa_exception_fp_ieee_underflow 0
		.amdhsa_exception_fp_ieee_inexact 0
		.amdhsa_exception_int_div_zero 0
	.end_amdhsa_kernel
	.section	.text._ZL33flash_attn_stream_k_fixup_uniformILi128ELi2ELi1EEvPfPK15HIP_vector_typeIfLj2EEiiiiiiS1_IjLj3EES5_S5_,"axG",@progbits,_ZL33flash_attn_stream_k_fixup_uniformILi128ELi2ELi1EEvPfPK15HIP_vector_typeIfLj2EEiiiiiiS1_IjLj3EES5_S5_,comdat
.Lfunc_end69:
	.size	_ZL33flash_attn_stream_k_fixup_uniformILi128ELi2ELi1EEvPfPK15HIP_vector_typeIfLj2EEiiiiiiS1_IjLj3EES5_S5_, .Lfunc_end69-_ZL33flash_attn_stream_k_fixup_uniformILi128ELi2ELi1EEvPfPK15HIP_vector_typeIfLj2EEiiiiiiS1_IjLj3EES5_S5_
                                        ; -- End function
	.section	.AMDGPU.csdata,"",@progbits
; Kernel info:
; codeLenInByte = 836
; NumSgprs: 24
; NumVgprs: 17
; NumAgprs: 0
; TotalNumVgprs: 17
; ScratchSize: 0
; MemoryBound: 0
; FloatMode: 240
; IeeeMode: 1
; LDSByteSize: 0 bytes/workgroup (compile time only)
; SGPRBlocks: 2
; VGPRBlocks: 2
; NumSGPRsForWavesPerEU: 24
; NumVGPRsForWavesPerEU: 17
; AccumOffset: 20
; Occupancy: 8
; WaveLimiterHint : 0
; COMPUTE_PGM_RSRC2:SCRATCH_EN: 0
; COMPUTE_PGM_RSRC2:USER_SGPR: 6
; COMPUTE_PGM_RSRC2:TRAP_HANDLER: 0
; COMPUTE_PGM_RSRC2:TGID_X_EN: 1
; COMPUTE_PGM_RSRC2:TGID_Y_EN: 1
; COMPUTE_PGM_RSRC2:TGID_Z_EN: 1
; COMPUTE_PGM_RSRC2:TIDIG_COMP_CNT: 0
; COMPUTE_PGM_RSRC3_GFX90A:ACCUM_OFFSET: 4
; COMPUTE_PGM_RSRC3_GFX90A:TG_SPLIT: 0
	.section	.text._ZL33flash_attn_stream_k_fixup_generalILi128ELi2ELi1EEvPfPK15HIP_vector_typeIfLj2EEiiiiS1_IjLj3EES5_S5_S5_,"axG",@progbits,_ZL33flash_attn_stream_k_fixup_generalILi128ELi2ELi1EEvPfPK15HIP_vector_typeIfLj2EEiiiiS1_IjLj3EES5_S5_S5_,comdat
	.globl	_ZL33flash_attn_stream_k_fixup_generalILi128ELi2ELi1EEvPfPK15HIP_vector_typeIfLj2EEiiiiS1_IjLj3EES5_S5_S5_ ; -- Begin function _ZL33flash_attn_stream_k_fixup_generalILi128ELi2ELi1EEvPfPK15HIP_vector_typeIfLj2EEiiiiS1_IjLj3EES5_S5_S5_
	.p2align	8
	.type	_ZL33flash_attn_stream_k_fixup_generalILi128ELi2ELi1EEvPfPK15HIP_vector_typeIfLj2EEiiiiS1_IjLj3EES5_S5_S5_,@function
_ZL33flash_attn_stream_k_fixup_generalILi128ELi2ELi1EEvPfPK15HIP_vector_typeIfLj2EEiiiiS1_IjLj3EES5_S5_S5_: ; @_ZL33flash_attn_stream_k_fixup_generalILi128ELi2ELi1EEvPfPK15HIP_vector_typeIfLj2EEiiiiS1_IjLj3EES5_S5_S5_
; %bb.0:
	s_load_dwordx4 s[12:15], s[4:5], 0x10
	s_load_dword s9, s[4:5], 0x50
	s_mov_b32 s2, 0
	s_waitcnt lgkmcnt(0)
	s_mul_hi_i32 s3, s15, s6
	s_cmp_lg_u64 s[2:3], 0
	s_mul_i32 s2, s15, s6
	s_cbranch_scc0 .LBB70_21
; %bb.1:
	v_cvt_f32_u32_e32 v1, s9
	v_cvt_f32_ubyte0_e32 v2, 0
	s_sub_u32 s10, 0, s9
	s_subb_u32 s11, 0, 0
	v_madmk_f32 v1, v2, 0x4f800000, v1
	v_rcp_f32_e32 v1, v1
	v_mul_f32_e32 v1, 0x5f7ffffc, v1
	v_mul_f32_e32 v2, 0x2f800000, v1
	v_trunc_f32_e32 v2, v2
	v_madmk_f32 v1, v2, 0xcf800000, v1
	v_cvt_u32_f32_e32 v2, v2
	v_cvt_u32_f32_e32 v1, v1
	v_readfirstlane_b32 s16, v2
	v_readfirstlane_b32 s17, v1
	s_mul_i32 s18, s10, s16
	s_mul_hi_u32 s20, s10, s17
	s_mul_i32 s19, s11, s17
	s_add_i32 s18, s20, s18
	s_add_i32 s18, s18, s19
	s_mul_i32 s21, s10, s17
	s_mul_hi_u32 s19, s17, s18
	s_mul_i32 s20, s17, s18
	s_mul_hi_u32 s17, s17, s21
	s_add_u32 s17, s17, s20
	s_addc_u32 s19, 0, s19
	s_mul_hi_u32 s22, s16, s21
	s_mul_i32 s21, s16, s21
	s_add_u32 s17, s17, s21
	s_mul_hi_u32 s20, s16, s18
	s_addc_u32 s17, s19, s22
	s_addc_u32 s19, s20, 0
	s_mul_i32 s18, s16, s18
	s_add_u32 s17, s17, s18
	s_addc_u32 s18, 0, s19
	v_add_co_u32_e32 v1, vcc, s17, v1
	s_cmp_lg_u64 vcc, 0
	s_addc_u32 s16, s16, s18
	v_readfirstlane_b32 s18, v1
	s_mul_i32 s17, s10, s16
	s_mul_hi_u32 s19, s10, s18
	s_add_i32 s17, s19, s17
	s_mul_i32 s11, s11, s18
	s_add_i32 s17, s17, s11
	s_mul_i32 s10, s10, s18
	s_mul_hi_u32 s19, s16, s10
	s_mul_i32 s20, s16, s10
	s_mul_i32 s22, s18, s17
	s_mul_hi_u32 s10, s18, s10
	s_mul_hi_u32 s21, s18, s17
	s_add_u32 s10, s10, s22
	s_addc_u32 s18, 0, s21
	s_add_u32 s10, s10, s20
	s_mul_hi_u32 s11, s16, s17
	s_addc_u32 s10, s18, s19
	s_addc_u32 s11, s11, 0
	s_mul_i32 s17, s16, s17
	s_add_u32 s10, s10, s17
	s_addc_u32 s11, 0, s11
	v_add_co_u32_e32 v1, vcc, s10, v1
	s_cmp_lg_u64 vcc, 0
	s_addc_u32 s18, s16, s11
	s_ashr_i32 s10, s3, 31
	s_add_u32 s16, s2, s10
	s_mov_b32 s11, s10
	s_addc_u32 s17, s3, s10
	s_xor_b64 s[16:17], s[16:17], s[10:11]
	v_readfirstlane_b32 s20, v1
	s_mul_i32 s19, s16, s18
	s_mul_hi_u32 s21, s16, s20
	s_mul_hi_u32 s3, s16, s18
	s_add_u32 s19, s21, s19
	s_addc_u32 s3, 0, s3
	s_mul_hi_u32 s22, s17, s20
	s_mul_i32 s20, s17, s20
	s_add_u32 s19, s19, s20
	s_mul_hi_u32 s21, s17, s18
	s_addc_u32 s3, s3, s22
	s_addc_u32 s19, s21, 0
	s_mul_i32 s18, s17, s18
	s_add_u32 s3, s3, s18
	s_addc_u32 s18, 0, s19
	s_add_u32 s19, s3, 1
	s_addc_u32 s20, s18, 0
	s_add_u32 s21, s3, 2
	s_mul_i32 s23, s9, s18
	s_mul_hi_u32 s24, s9, s3
	s_addc_u32 s22, s18, 0
	s_add_i32 s24, s24, s23
	s_mul_i32 s23, s9, s3
	v_mov_b32_e32 v1, s23
	v_sub_co_u32_e32 v1, vcc, s16, v1
	s_cmp_lg_u64 vcc, 0
	s_subb_u32 s16, s17, s24
	v_subrev_co_u32_e32 v2, vcc, s9, v1
	s_cmp_lg_u64 vcc, 0
	s_subb_u32 s17, s16, 0
	v_readfirstlane_b32 s23, v2
	s_cmp_ge_u32 s23, s9
	s_cselect_b32 s23, -1, 0
	s_cmp_eq_u32 s17, 0
	s_cselect_b32 s17, s23, -1
	s_cmp_lg_u32 s17, 0
	s_cselect_b32 s17, s22, s20
	v_readfirstlane_b32 s20, v1
	s_cselect_b32 s19, s21, s19
	s_cmp_ge_u32 s20, s9
	s_cselect_b32 s20, -1, 0
	s_cmp_eq_u32 s16, 0
	s_cselect_b32 s16, s20, -1
	s_cmp_lg_u32 s16, 0
	s_cselect_b32 s17, s17, s18
	s_cselect_b32 s16, s19, s3
	s_xor_b64 s[16:17], s[16:17], s[10:11]
	s_sub_u32 s20, s16, s10
	s_load_dwordx4 s[16:19], s[4:5], 0x44
	s_cbranch_execnz .LBB70_3
.LBB70_2:
	v_cvt_f32_u32_e32 v1, s9
	s_sub_i32 s0, 0, s9
	v_rcp_iflag_f32_e32 v1, v1
	v_mul_f32_e32 v1, 0x4f7ffffe, v1
	v_cvt_u32_f32_e32 v1, v1
	v_readfirstlane_b32 s1, v1
	s_mul_i32 s0, s0, s1
	s_mul_hi_u32 s0, s1, s0
	s_add_i32 s1, s1, s0
	s_mul_hi_u32 s0, s2, s1
	s_mul_i32 s3, s0, s9
	s_sub_i32 s2, s2, s3
	s_add_i32 s1, s0, 1
	s_sub_i32 s3, s2, s9
	s_cmp_ge_u32 s2, s9
	s_cselect_b32 s0, s1, s0
	s_cselect_b32 s2, s3, s2
	s_add_i32 s1, s0, 1
	s_cmp_ge_u32 s2, s9
	s_cselect_b32 s20, s1, s0
.LBB70_3:
	s_add_i32 s0, s6, 1
	s_mul_hi_i32 s3, s15, s0
	s_mov_b32 s2, 0
	s_cmp_lg_u64 s[2:3], 0
	s_mul_i32 s2, s15, s0
	s_cbranch_scc0 .LBB70_22
; %bb.4:
	v_cvt_f32_u32_e32 v1, s9
	v_cvt_f32_ubyte0_e32 v2, 0
	s_sub_u32 s10, 0, s9
	s_subb_u32 s11, 0, 0
	v_madmk_f32 v1, v2, 0x4f800000, v1
	v_rcp_f32_e32 v1, v1
	v_mul_f32_e32 v1, 0x5f7ffffc, v1
	v_mul_f32_e32 v2, 0x2f800000, v1
	v_trunc_f32_e32 v2, v2
	v_madmk_f32 v1, v2, 0xcf800000, v1
	v_cvt_u32_f32_e32 v2, v2
	v_cvt_u32_f32_e32 v1, v1
	s_waitcnt lgkmcnt(0)
	v_readfirstlane_b32 s19, v2
	v_readfirstlane_b32 s21, v1
	s_mul_i32 s22, s10, s19
	s_mul_hi_u32 s24, s10, s21
	s_mul_i32 s23, s11, s21
	s_add_i32 s22, s24, s22
	s_add_i32 s22, s22, s23
	s_mul_i32 s25, s10, s21
	s_mul_hi_u32 s23, s21, s22
	s_mul_i32 s24, s21, s22
	s_mul_hi_u32 s21, s21, s25
	s_add_u32 s21, s21, s24
	s_addc_u32 s23, 0, s23
	s_mul_hi_u32 s26, s19, s25
	s_mul_i32 s25, s19, s25
	s_add_u32 s21, s21, s25
	s_mul_hi_u32 s24, s19, s22
	s_addc_u32 s21, s23, s26
	s_addc_u32 s23, s24, 0
	s_mul_i32 s22, s19, s22
	s_add_u32 s21, s21, s22
	s_addc_u32 s22, 0, s23
	v_add_co_u32_e32 v1, vcc, s21, v1
	s_cmp_lg_u64 vcc, 0
	s_addc_u32 s19, s19, s22
	v_readfirstlane_b32 s22, v1
	s_mul_i32 s21, s10, s19
	s_mul_hi_u32 s23, s10, s22
	s_add_i32 s21, s23, s21
	s_mul_i32 s11, s11, s22
	s_add_i32 s21, s21, s11
	s_mul_i32 s10, s10, s22
	s_mul_hi_u32 s23, s19, s10
	s_mul_i32 s24, s19, s10
	s_mul_i32 s26, s22, s21
	s_mul_hi_u32 s10, s22, s10
	s_mul_hi_u32 s25, s22, s21
	s_add_u32 s10, s10, s26
	s_addc_u32 s22, 0, s25
	s_add_u32 s10, s10, s24
	s_mul_hi_u32 s11, s19, s21
	s_addc_u32 s10, s22, s23
	s_addc_u32 s11, s11, 0
	s_mul_i32 s21, s19, s21
	s_add_u32 s10, s10, s21
	s_addc_u32 s11, 0, s11
	v_add_co_u32_e32 v1, vcc, s10, v1
	s_cmp_lg_u64 vcc, 0
	s_addc_u32 s19, s19, s11
	s_ashr_i32 s10, s3, 31
	s_add_u32 s22, s2, s10
	s_mov_b32 s11, s10
	s_addc_u32 s23, s3, s10
	s_xor_b64 s[22:23], s[22:23], s[10:11]
	v_readfirstlane_b32 s21, v1
	s_mul_i32 s11, s22, s19
	s_mul_hi_u32 s24, s22, s21
	s_mul_hi_u32 s3, s22, s19
	s_add_u32 s11, s24, s11
	s_addc_u32 s3, 0, s3
	s_mul_hi_u32 s25, s23, s21
	s_mul_i32 s21, s23, s21
	s_add_u32 s11, s11, s21
	s_mul_hi_u32 s24, s23, s19
	s_addc_u32 s3, s3, s25
	s_addc_u32 s11, s24, 0
	s_mul_i32 s19, s23, s19
	s_add_u32 s3, s3, s19
	s_addc_u32 s11, 0, s11
	s_mul_i32 s11, s9, s11
	s_mul_hi_u32 s24, s9, s3
	s_add_i32 s24, s24, s11
	s_mul_i32 s11, s9, s3
	v_mov_b32_e32 v1, s11
	s_add_u32 s19, s3, 1
	s_add_u32 s21, s3, 2
	v_sub_co_u32_e32 v1, vcc, s22, v1
	s_cmp_lg_u64 vcc, 0
	s_subb_u32 s11, s23, s24
	v_subrev_co_u32_e32 v2, vcc, s9, v1
	s_cmp_lg_u64 vcc, 0
	s_subb_u32 s22, s11, 0
	v_cmp_le_u32_e32 vcc, s9, v2
	s_cmp_eq_u32 s22, 0
	v_cndmask_b32_e64 v2, 0, -1, vcc
	s_cselect_b64 vcc, -1, 0
	v_cndmask_b32_e32 v2, -1, v2, vcc
	v_mov_b32_e32 v3, s19
	v_mov_b32_e32 v4, s21
	v_cmp_ne_u32_e32 vcc, 0, v2
	v_cndmask_b32_e32 v2, v3, v4, vcc
	v_cmp_le_u32_e32 vcc, s9, v1
	s_cmp_eq_u32 s11, 0
	v_cndmask_b32_e64 v1, 0, -1, vcc
	s_cselect_b64 vcc, -1, 0
	v_cndmask_b32_e32 v1, -1, v1, vcc
	v_mov_b32_e32 v3, s3
	v_cmp_ne_u32_e32 vcc, 0, v1
	v_cndmask_b32_e32 v1, v3, v2, vcc
	v_xor_b32_e32 v1, s10, v1
	v_subrev_co_u32_e32 v2, vcc, s10, v1
	s_cbranch_execnz .LBB70_6
.LBB70_5:
	v_cvt_f32_u32_e32 v1, s9
	s_sub_i32 s0, 0, s9
	s_mov_b32 s1, 0
	v_rcp_iflag_f32_e32 v1, v1
	v_mul_f32_e32 v1, 0x4f7ffffe, v1
	v_cvt_u32_f32_e32 v1, v1
	v_readfirstlane_b32 s3, v1
	s_mul_i32 s0, s0, s3
	s_mul_hi_u32 s0, s3, s0
	s_add_i32 s3, s3, s0
	s_mul_hi_u32 s0, s2, s3
	s_mul_i32 s10, s0, s9
	s_sub_i32 s2, s2, s10
	s_add_i32 s3, s0, 1
	s_sub_i32 s10, s2, s9
	s_cmp_ge_u32 s2, s9
	s_cselect_b32 s0, s3, s0
	s_cselect_b32 s2, s10, s2
	s_add_i32 s3, s0, 1
	s_cmp_ge_u32 s2, s9
	s_cselect_b32 s0, s3, s0
	v_pk_mov_b32 v[2:3], s[0:1], s[0:1] op_sel:[0,1]
.LBB70_6:
	s_waitcnt lgkmcnt(0)
	s_mul_hi_u32 s0, s20, s16
	s_add_i32 s0, s0, s20
	v_mul_hi_u32 v1, v2, s16
	s_lshr_b32 s19, s0, s17
	v_add_u32_e32 v1, v1, v2
	s_mul_i32 s0, s19, s18
	v_lshrrev_b32_e32 v1, s17, v1
	s_cmp_eq_u32 s0, s20
	v_cmp_eq_u32_e64 s[0:1], s19, v1
	v_mul_lo_u32 v1, v1, s18
	v_cmp_eq_u32_e32 vcc, s20, v2
	s_cselect_b64 s[10:11], -1, 0
	v_cmp_ne_u32_e64 s[2:3], v1, v2
	s_and_b64 s[0:1], s[0:1], s[2:3]
	s_or_b64 s[2:3], vcc, s[10:11]
	s_or_b64 s[0:1], s[2:3], s[0:1]
	s_and_b64 vcc, exec, s[0:1]
	s_cbranch_vccnz .LBB70_24
; %bb.7:
	s_load_dwordx8 s[24:31], s[4:5], 0x20
	s_load_dword s0, s[4:5], 0x40
	s_mov_b32 s10, 0
	s_waitcnt lgkmcnt(0)
	s_mul_hi_u32 s1, s20, s24
	s_add_i32 s1, s1, s20
	s_lshr_b32 s11, s1, s25
	s_mul_i32 s1, s11, s26
	s_sub_i32 s1, s20, s1
	s_mul_hi_u32 s2, s1, s27
	s_add_i32 s2, s1, s2
	s_lshr_b32 s25, s2, s28
	s_mul_i32 s2, s25, s29
	s_sub_i32 s1, s1, s2
	;; [unrolled: 5-line block ×3, first 2 shown]
	s_mul_hi_u32 s1, s0, s16
	s_add_i32 s0, s0, s1
	s_lshr_b32 s26, s0, s17
	s_lshl_b32 s0, s26, 1
	s_add_i32 s0, s0, s7
	s_cmp_lt_i32 s0, s12
	s_cselect_b64 s[0:1], -1, 0
	s_add_i32 s2, s24, s8
	s_cmp_lt_i32 s2, s14
	s_cselect_b64 s[2:3], -1, 0
	s_and_b64 s[0:1], s[0:1], s[2:3]
	s_andn2_b64 vcc, exec, s[0:1]
	s_cbranch_vccnz .LBB70_24
; %bb.8:
	s_load_dwordx4 s[0:3], s[4:5], 0x0
	s_lshl_b32 s4, s9, 3
	s_mov_b32 s5, s10
	s_add_i32 s21, s7, s8
	s_lshl_b64 s[4:5], s[4:5], 2
	s_waitcnt lgkmcnt(0)
	s_add_u32 s22, s2, s4
	s_mul_i32 s4, s11, s12
	s_addc_u32 s23, s3, s5
	s_add_i32 s4, s4, s7
	s_mul_i32 s4, s4, s13
	s_mul_i32 s25, s25, s14
	s_add_i32 s4, s4, s8
	s_add_i32 s4, s4, s25
	s_mul_i32 s5, s13, s26
	s_add_i32 s4, s4, s24
	s_lshl_b32 s5, s5, 8
	s_lshl_b32 s4, s4, 7
	s_add_i32 s5, s5, s4
	v_or_b32_e32 v2, s5, v0
	v_ashrrev_i32_e32 v3, 31, v2
	v_lshlrev_b64 v[2:3], 2, v[2:3]
	v_mov_b32_e32 v1, s1
	v_add_co_u32_e32 v2, vcc, s0, v2
	v_addc_co_u32_e32 v3, vcc, v1, v3, vcc
	global_load_dword v5, v[2:3], off
	v_lshl_or_b32 v4, s21, 7, v0
	v_cvt_f32_u32_e32 v0, s9
	v_cvt_f32_ubyte0_e32 v1, 0
	s_lshl_b32 s0, s6, 1
	s_add_i32 s0, s0, s21
	v_mac_f32_e32 v0, 0x4f800000, v1
	v_rcp_f32_e32 v0, v0
	v_cvt_f32_u32_e32 v1, s9
	s_ashr_i32 s1, s0, 31
	s_lshl_b64 s[0:1], s[0:1], 3
	v_mul_f32_e32 v0, 0x5f7ffffc, v0
	v_rcp_iflag_f32_e32 v1, v1
	s_add_u32 s0, s2, s0
	v_mul_f32_e32 v9, 0x2f800000, v0
	s_addc_u32 s1, s3, s1
	v_trunc_f32_e32 v10, v9
	s_load_dwordx2 s[0:1], s[0:1], 0x0
	v_mac_f32_e32 v0, 0xcf800000, v10
	v_cvt_u32_f32_e32 v9, v0
	v_mul_f32_e32 v0, 0x4f7ffffe, v1
	v_cvt_u32_f32_e32 v10, v10
	v_cvt_u32_f32_e32 v11, v0
	s_add_i32 s8, s6, -1
	s_waitcnt lgkmcnt(0)
	v_mov_b32_e32 v6, s1
	v_mov_b32_e32 v7, s0
	;; [unrolled: 1-line block ×3, first 2 shown]
	s_mov_b32 s6, 0x3fb8aa3b
	s_mov_b32 s7, 0xc2ce8ed0
	;; [unrolled: 1-line block ×4, first 2 shown]
	v_mov_b32_e32 v12, 0x7f800000
	s_mul_hi_i32 s11, s8, s15
	s_cmp_lg_u64 s[10:11], 0
	s_mul_i32 s4, s8, s15
	s_cbranch_scc0 .LBB70_15
.LBB70_9:
	s_sub_u32 s0, 0, s9
	v_readfirstlane_b32 s5, v9
	v_readfirstlane_b32 s24, v10
	s_subb_u32 s1, 0, 0
	s_mul_hi_u32 s20, s0, s5
	s_mul_i32 s25, s0, s24
	s_mul_i32 s14, s1, s5
	s_add_i32 s20, s20, s25
	s_add_i32 s20, s20, s14
	s_mul_i32 s26, s0, s5
	s_mul_hi_u32 s14, s5, s20
	s_mul_i32 s25, s5, s20
	s_mul_hi_u32 s5, s5, s26
	s_add_u32 s5, s5, s25
	s_addc_u32 s14, 0, s14
	s_mul_hi_u32 s27, s24, s26
	s_mul_i32 s26, s24, s26
	s_add_u32 s5, s5, s26
	s_mul_hi_u32 s25, s24, s20
	s_addc_u32 s5, s14, s27
	s_addc_u32 s14, s25, 0
	s_mul_i32 s20, s24, s20
	s_add_u32 s5, s5, s20
	s_addc_u32 s14, 0, s14
	v_add_co_u32_e32 v0, vcc, s5, v9
	s_cmp_lg_u64 vcc, 0
	s_addc_u32 s5, s24, s14
	v_readfirstlane_b32 s20, v0
	s_mul_i32 s14, s0, s5
	s_mul_hi_u32 s24, s0, s20
	s_add_i32 s14, s24, s14
	s_mul_i32 s1, s1, s20
	s_add_i32 s14, s14, s1
	s_mul_i32 s0, s0, s20
	s_mul_hi_u32 s24, s5, s0
	s_mul_i32 s25, s5, s0
	s_mul_i32 s27, s20, s14
	s_mul_hi_u32 s0, s20, s0
	s_mul_hi_u32 s26, s20, s14
	s_add_u32 s0, s0, s27
	s_addc_u32 s20, 0, s26
	s_add_u32 s0, s0, s25
	s_mul_hi_u32 s1, s5, s14
	s_addc_u32 s0, s20, s24
	s_addc_u32 s1, s1, 0
	s_mul_i32 s14, s5, s14
	s_add_u32 s0, s0, s14
	s_addc_u32 s1, 0, s1
	v_add_co_u32_e32 v0, vcc, s0, v0
	s_cmp_lg_u64 vcc, 0
	s_addc_u32 s5, s5, s1
	s_ashr_i32 s0, s11, 31
	s_add_u32 s24, s4, s0
	s_mov_b32 s1, s0
	s_addc_u32 s25, s11, s0
	s_xor_b64 s[24:25], s[24:25], s[0:1]
	v_readfirstlane_b32 s14, v0
	s_mul_i32 s11, s24, s5
	s_mul_hi_u32 s20, s24, s14
	s_mul_hi_u32 s1, s24, s5
	s_add_u32 s11, s20, s11
	s_addc_u32 s1, 0, s1
	s_mul_hi_u32 s26, s25, s14
	s_mul_i32 s14, s25, s14
	s_add_u32 s11, s11, s14
	s_mul_hi_u32 s20, s25, s5
	s_addc_u32 s1, s1, s26
	s_addc_u32 s11, s20, 0
	s_mul_i32 s5, s25, s5
	s_add_u32 s1, s1, s5
	s_addc_u32 s5, 0, s11
	s_mul_i32 s5, s9, s5
	s_mul_hi_u32 s20, s9, s1
	s_add_i32 s20, s20, s5
	s_mul_i32 s5, s9, s1
	v_mov_b32_e32 v0, s5
	s_add_u32 s11, s1, 1
	s_add_u32 s14, s1, 2
	v_sub_co_u32_e32 v0, vcc, s24, v0
	s_cmp_lg_u64 vcc, 0
	s_subb_u32 s5, s25, s20
	v_subrev_co_u32_e32 v1, vcc, s9, v0
	s_cmp_lg_u64 vcc, 0
	s_subb_u32 s20, s5, 0
	v_cmp_le_u32_e32 vcc, s9, v1
	s_cmp_eq_u32 s20, 0
	v_cndmask_b32_e64 v1, 0, -1, vcc
	s_cselect_b64 vcc, -1, 0
	v_cndmask_b32_e32 v1, -1, v1, vcc
	v_mov_b32_e32 v13, s11
	v_mov_b32_e32 v14, s14
	v_cmp_ne_u32_e32 vcc, 0, v1
	v_cndmask_b32_e32 v1, v13, v14, vcc
	v_cmp_le_u32_e32 vcc, s9, v0
	s_cmp_eq_u32 s5, 0
	v_cndmask_b32_e64 v0, 0, -1, vcc
	s_cselect_b64 vcc, -1, 0
	v_cndmask_b32_e32 v0, -1, v0, vcc
	v_mov_b32_e32 v13, s1
	v_cmp_ne_u32_e32 vcc, 0, v0
	v_cndmask_b32_e32 v0, v13, v1, vcc
	v_xor_b32_e32 v0, s0, v0
	v_subrev_co_u32_e32 v0, vcc, s0, v0
	s_cbranch_execnz .LBB70_11
.LBB70_10:
	s_sub_i32 s0, 0, s9
	v_mul_lo_u32 v0, s0, v11
	v_mul_hi_u32 v0, v11, v0
	v_add_u32_e32 v0, v11, v0
	v_mul_hi_u32 v0, s4, v0
	v_mul_lo_u32 v13, v0, s9
	v_sub_u32_e32 v13, s4, v13
	v_add_u32_e32 v1, 1, v0
	v_subrev_u32_e32 v14, s9, v13
	v_cmp_le_u32_e32 vcc, s9, v13
	v_cndmask_b32_e32 v13, v13, v14, vcc
	v_cndmask_b32_e32 v0, v0, v1, vcc
	v_add_u32_e32 v1, 1, v0
	v_cmp_le_u32_e32 vcc, s9, v13
	v_cndmask_b32_e32 v0, v0, v1, vcc
.LBB70_11:
	v_cmp_ne_u32_e32 vcc, v8, v0
	s_cbranch_vccz .LBB70_14
; %bb.12:
	s_add_i32 s0, s8, s9
	s_lshl_b32 s0, s0, 1
	v_mul_hi_u32 v1, v0, s16
	s_add_i32 s0, s0, s21
	s_mov_b32 s1, s10
	v_add_u32_e32 v1, v1, v0
	s_lshl_b64 s[0:1], s[0:1], 3
	v_lshrrev_b32_e32 v1, s17, v1
	s_add_u32 s4, s2, s0
	v_mul_lo_u32 v13, v1, s18
	s_addc_u32 s5, s3, s1
	v_cmp_eq_u32_e32 vcc, v13, v0
	v_cmp_gt_u32_e64 s[0:1], s19, v1
	s_or_b64 s[0:1], s[0:1], vcc
	s_and_b64 vcc, exec, s[0:1]
	s_cbranch_vccnz .LBB70_16
; %bb.13:
	s_add_i32 s11, s8, -1
	s_mov_b64 s[0:1], 0
	s_branch .LBB70_17
.LBB70_14:
                                        ; implicit-def: $sgpr0_sgpr1
                                        ; implicit-def: $vgpr14
                                        ; implicit-def: $vgpr1
                                        ; implicit-def: $vgpr13
                                        ; implicit-def: $sgpr11
                                        ; implicit-def: $vgpr0
	s_branch .LBB70_18
.LBB70_15:
                                        ; implicit-def: $vgpr0_vgpr1
	s_branch .LBB70_10
.LBB70_16:
	s_mov_b64 s[0:1], -1
	s_mov_b32 s11, s8
	v_mov_b32_e32 v0, v8
.LBB70_17:
	v_lshl_add_u32 v14, s8, 8, v4
	v_ashrrev_i32_e32 v15, 31, v14
	v_lshlrev_b64 v[14:15], 2, v[14:15]
	v_mov_b32_e32 v1, s23
	v_add_co_u32_e32 v14, vcc, s22, v14
	v_addc_co_u32_e32 v15, vcc, v1, v15, vcc
	global_load_dword v14, v[14:15], off
	s_load_dwordx2 s[4:5], s[4:5], 0x0
	v_max_f32_e32 v1, v7, v7
	s_waitcnt lgkmcnt(0)
	v_max_f32_e64 v13, s4, s4
	v_max_f32_e32 v1, v1, v13
	v_sub_f32_e32 v13, v7, v1
	v_sub_f32_e32 v15, s4, v1
	v_mul_f32_e32 v16, 0x3fb8aa3b, v13
	v_mul_f32_e32 v17, 0x3fb8aa3b, v15
	v_fma_f32 v18, v13, s6, -v16
	v_rndne_f32_e32 v19, v16
	v_fma_f32 v20, v15, s6, -v17
	v_rndne_f32_e32 v21, v17
	v_fmac_f32_e32 v18, 0x32a5705f, v13
	v_sub_f32_e32 v16, v16, v19
	v_fmac_f32_e32 v20, 0x32a5705f, v15
	v_sub_f32_e32 v17, v17, v21
	v_add_f32_e32 v16, v16, v18
	v_cvt_i32_f32_e32 v19, v19
	v_add_f32_e32 v17, v17, v20
	v_exp_f32_e32 v16, v16
	v_cvt_i32_f32_e32 v21, v21
	v_exp_f32_e32 v17, v17
	v_cmp_ngt_f32_e32 vcc, s7, v13
	v_ldexp_f32 v16, v16, v19
	v_cndmask_b32_e32 v16, 0, v16, vcc
	v_ldexp_f32 v17, v17, v21
	v_cmp_ngt_f32_e32 vcc, s7, v15
	v_cndmask_b32_e32 v17, 0, v17, vcc
	v_cmp_nlt_f32_e32 vcc, s12, v13
	v_cndmask_b32_e32 v16, v12, v16, vcc
	v_cmp_nlt_f32_e32 vcc, s12, v15
	v_cndmask_b32_e32 v17, v12, v17, vcc
	v_cmp_le_f32_e32 vcc, s13, v13
	v_cndmask_b32_e32 v16, 0, v16, vcc
	v_cmp_le_f32_e32 vcc, s13, v15
	v_cndmask_b32_e32 v15, 0, v17, vcc
	v_mul_f32_e32 v13, s5, v15
	v_fmac_f32_e32 v13, v6, v16
	s_waitcnt vmcnt(0)
	v_mul_f32_e32 v14, v14, v15
	v_fmac_f32_e32 v14, v5, v16
	s_cbranch_execnz .LBB70_19
.LBB70_18:
	s_add_i32 s11, s8, -1
	s_mov_b64 s[0:1], 0
	v_mov_b32_e32 v0, v8
	v_mov_b32_e32 v13, v6
	;; [unrolled: 1-line block ×3, first 2 shown]
	s_waitcnt vmcnt(0)
	v_mov_b32_e32 v14, v5
.LBB70_19:
	s_andn2_b64 vcc, exec, s[0:1]
	s_cbranch_vccz .LBB70_23
; %bb.20:
	v_mov_b32_e32 v8, v0
	s_mov_b32 s8, s11
	v_mov_b32_e32 v6, v13
	v_mov_b32_e32 v7, v1
	s_waitcnt vmcnt(0)
	v_mov_b32_e32 v5, v14
	s_mul_hi_i32 s11, s8, s15
	s_cmp_lg_u64 s[10:11], 0
	s_mul_i32 s4, s8, s15
	s_cbranch_scc1 .LBB70_9
	s_branch .LBB70_15
.LBB70_21:
                                        ; implicit-def: $sgpr20_sgpr21
	s_load_dwordx4 s[16:19], s[4:5], 0x44
	s_branch .LBB70_2
.LBB70_22:
                                        ; implicit-def: $vgpr2_vgpr3
	s_branch .LBB70_5
.LBB70_23:
	v_div_scale_f32 v0, s[0:1], v13, v13, v14
	v_rcp_f32_e32 v1, v0
	v_div_scale_f32 v4, vcc, v14, v13, v14
	s_waitcnt vmcnt(0)
	v_fma_f32 v5, -v0, v1, 1.0
	v_fmac_f32_e32 v1, v5, v1
	v_mul_f32_e32 v5, v4, v1
	v_fma_f32 v6, -v0, v5, v4
	v_fmac_f32_e32 v5, v6, v1
	v_fma_f32 v0, -v0, v5, v4
	v_div_fmas_f32 v0, v0, v1, v5
	v_div_fixup_f32 v0, v0, v13, v14
	global_store_dword v[2:3], v0, off
.LBB70_24:
	s_endpgm
	.section	.rodata,"a",@progbits
	.p2align	6, 0x0
	.amdhsa_kernel _ZL33flash_attn_stream_k_fixup_generalILi128ELi2ELi1EEvPfPK15HIP_vector_typeIfLj2EEiiiiS1_IjLj3EES5_S5_S5_
		.amdhsa_group_segment_fixed_size 0
		.amdhsa_private_segment_fixed_size 0
		.amdhsa_kernarg_size 336
		.amdhsa_user_sgpr_count 6
		.amdhsa_user_sgpr_private_segment_buffer 1
		.amdhsa_user_sgpr_dispatch_ptr 0
		.amdhsa_user_sgpr_queue_ptr 0
		.amdhsa_user_sgpr_kernarg_segment_ptr 1
		.amdhsa_user_sgpr_dispatch_id 0
		.amdhsa_user_sgpr_flat_scratch_init 0
		.amdhsa_user_sgpr_kernarg_preload_length 0
		.amdhsa_user_sgpr_kernarg_preload_offset 0
		.amdhsa_user_sgpr_private_segment_size 0
		.amdhsa_uses_dynamic_stack 0
		.amdhsa_system_sgpr_private_segment_wavefront_offset 0
		.amdhsa_system_sgpr_workgroup_id_x 1
		.amdhsa_system_sgpr_workgroup_id_y 1
		.amdhsa_system_sgpr_workgroup_id_z 1
		.amdhsa_system_sgpr_workgroup_info 0
		.amdhsa_system_vgpr_workitem_id 0
		.amdhsa_next_free_vgpr 22
		.amdhsa_next_free_sgpr 32
		.amdhsa_accum_offset 24
		.amdhsa_reserve_vcc 1
		.amdhsa_reserve_flat_scratch 0
		.amdhsa_float_round_mode_32 0
		.amdhsa_float_round_mode_16_64 0
		.amdhsa_float_denorm_mode_32 3
		.amdhsa_float_denorm_mode_16_64 3
		.amdhsa_dx10_clamp 1
		.amdhsa_ieee_mode 1
		.amdhsa_fp16_overflow 0
		.amdhsa_tg_split 0
		.amdhsa_exception_fp_ieee_invalid_op 0
		.amdhsa_exception_fp_denorm_src 0
		.amdhsa_exception_fp_ieee_div_zero 0
		.amdhsa_exception_fp_ieee_overflow 0
		.amdhsa_exception_fp_ieee_underflow 0
		.amdhsa_exception_fp_ieee_inexact 0
		.amdhsa_exception_int_div_zero 0
	.end_amdhsa_kernel
	.section	.text._ZL33flash_attn_stream_k_fixup_generalILi128ELi2ELi1EEvPfPK15HIP_vector_typeIfLj2EEiiiiS1_IjLj3EES5_S5_S5_,"axG",@progbits,_ZL33flash_attn_stream_k_fixup_generalILi128ELi2ELi1EEvPfPK15HIP_vector_typeIfLj2EEiiiiS1_IjLj3EES5_S5_S5_,comdat
.Lfunc_end70:
	.size	_ZL33flash_attn_stream_k_fixup_generalILi128ELi2ELi1EEvPfPK15HIP_vector_typeIfLj2EEiiiiS1_IjLj3EES5_S5_S5_, .Lfunc_end70-_ZL33flash_attn_stream_k_fixup_generalILi128ELi2ELi1EEvPfPK15HIP_vector_typeIfLj2EEiiiiS1_IjLj3EES5_S5_S5_
                                        ; -- End function
	.section	.AMDGPU.csdata,"",@progbits
; Kernel info:
; codeLenInByte = 2816
; NumSgprs: 36
; NumVgprs: 22
; NumAgprs: 0
; TotalNumVgprs: 22
; ScratchSize: 0
; MemoryBound: 0
; FloatMode: 240
; IeeeMode: 1
; LDSByteSize: 0 bytes/workgroup (compile time only)
; SGPRBlocks: 4
; VGPRBlocks: 2
; NumSGPRsForWavesPerEU: 36
; NumVGPRsForWavesPerEU: 22
; AccumOffset: 24
; Occupancy: 8
; WaveLimiterHint : 0
; COMPUTE_PGM_RSRC2:SCRATCH_EN: 0
; COMPUTE_PGM_RSRC2:USER_SGPR: 6
; COMPUTE_PGM_RSRC2:TRAP_HANDLER: 0
; COMPUTE_PGM_RSRC2:TGID_X_EN: 1
; COMPUTE_PGM_RSRC2:TGID_Y_EN: 1
; COMPUTE_PGM_RSRC2:TGID_Z_EN: 1
; COMPUTE_PGM_RSRC2:TIDIG_COMP_CNT: 0
; COMPUTE_PGM_RSRC3_GFX90A:ACCUM_OFFSET: 5
; COMPUTE_PGM_RSRC3_GFX90A:TG_SPLIT: 0
	.section	.text._ZL15flash_attn_tileILi128ELi128ELi8ELi8ELb1EEvPKcS1_S1_S1_S1_PKiPfP15HIP_vector_typeIfLj2EEffffjfiS5_IjLj3EEiiiiiiiiiiiliiliiiiil,"axG",@progbits,_ZL15flash_attn_tileILi128ELi128ELi8ELi8ELb1EEvPKcS1_S1_S1_S1_PKiPfP15HIP_vector_typeIfLj2EEffffjfiS5_IjLj3EEiiiiiiiiiiiliiliiiiil,comdat
	.globl	_ZL15flash_attn_tileILi128ELi128ELi8ELi8ELb1EEvPKcS1_S1_S1_S1_PKiPfP15HIP_vector_typeIfLj2EEffffjfiS5_IjLj3EEiiiiiiiiiiiliiliiiiil ; -- Begin function _ZL15flash_attn_tileILi128ELi128ELi8ELi8ELb1EEvPKcS1_S1_S1_S1_PKiPfP15HIP_vector_typeIfLj2EEffffjfiS5_IjLj3EEiiiiiiiiiiiliiliiiiil
	.p2align	8
	.type	_ZL15flash_attn_tileILi128ELi128ELi8ELi8ELb1EEvPKcS1_S1_S1_S1_PKiPfP15HIP_vector_typeIfLj2EEffffjfiS5_IjLj3EEiiiiiiiiiiiliiliiiiil,@function
_ZL15flash_attn_tileILi128ELi128ELi8ELi8ELb1EEvPKcS1_S1_S1_S1_PKiPfP15HIP_vector_typeIfLj2EEffffjfiS5_IjLj3EEiiiiiiiiiiiliiliiiiil: ; @_ZL15flash_attn_tileILi128ELi128ELi8ELi8ELb1EEvPKcS1_S1_S1_S1_PKiPfP15HIP_vector_typeIfLj2EEffffjfiS5_IjLj3EEiiiiiiiiiiiliiliiiiil
; %bb.0:
	s_load_dwordx4 s[0:3], s[4:5], 0x5c
	s_load_dwordx2 s[30:31], s[4:5], 0x80
	s_load_dwordx2 s[36:37], s[4:5], 0xb8
	s_mov_b64 s[34:35], 0
	s_waitcnt lgkmcnt(0)
	s_ashr_i32 s9, s3, 31
	s_lshr_b32 s9, s9, 29
	s_add_i32 s9, s3, s9
	s_ashr_i32 s9, s9, 3
	v_cvt_f32_u32_e32 v1, s9
	s_sub_i32 s10, 0, s9
	v_rcp_iflag_f32_e32 v1, v1
	v_mul_f32_e32 v1, 0x4f7ffffe, v1
	v_cvt_u32_f32_e32 v1, v1
	v_readfirstlane_b32 s11, v1
	s_mul_i32 s10, s10, s11
	s_mul_hi_u32 s10, s11, s10
	s_add_i32 s11, s11, s10
	s_mul_hi_u32 s10, s8, s11
	s_mul_i32 s11, s10, s9
	s_sub_i32 s11, s8, s11
	s_add_i32 s12, s10, 1
	s_sub_i32 s13, s11, s9
	s_cmp_ge_u32 s11, s9
	s_cselect_b32 s10, s12, s10
	s_cselect_b32 s11, s13, s11
	s_add_i32 s12, s10, 1
	s_cmp_ge_u32 s11, s9
	s_cselect_b32 s33, s12, s10
	s_abs_i32 s9, s31
	v_cvt_f32_u32_e32 v1, s9
	s_lshl_b32 s8, s8, 3
	s_mul_i32 s12, s33, s3
	s_sub_i32 s13, 0, s9
	v_rcp_iflag_f32_e32 v1, v1
	s_sub_i32 s28, s8, s12
	s_abs_i32 s11, s3
	s_xor_b32 s10, s3, s31
	v_mul_f32_e32 v1, 0x4f7ffffe, v1
	v_cvt_u32_f32_e32 v1, v1
	s_ashr_i32 s10, s10, 31
	v_readfirstlane_b32 s8, v1
	s_mul_i32 s13, s13, s8
	s_mul_hi_u32 s12, s8, s13
	s_add_i32 s8, s8, s12
	s_mul_hi_u32 s8, s11, s8
	s_mul_i32 s12, s8, s9
	s_sub_i32 s11, s11, s12
	s_add_i32 s13, s8, 1
	s_sub_i32 s12, s11, s9
	s_cmp_ge_u32 s11, s9
	s_cselect_b32 s8, s13, s8
	s_cselect_b32 s11, s12, s11
	s_add_i32 s12, s8, 1
	s_cmp_ge_u32 s11, s9
	s_cselect_b32 s8, s12, s8
	s_xor_b32 s8, s8, s10
	s_sub_i32 s31, s8, s10
	s_abs_i32 s29, s31
	v_cvt_f32_u32_e32 v1, s29
	s_load_dwordx16 s[8:23], s[4:5], 0x0
	v_rcp_iflag_f32_e32 v1, v1
	s_waitcnt lgkmcnt(0)
	s_cmp_eq_u64 s[14:15], 0
	v_mul_f32_e32 v1, 0x4f7ffffe, v1
	v_cvt_u32_f32_e32 v1, v1
	v_readfirstlane_b32 s38, v1
	s_cbranch_scc1 .LBB71_2
; %bb.1:
	s_abs_i32 s26, s36
	v_cvt_f32_u32_e32 v1, s26
	s_sub_i32 s35, 0, s26
	s_abs_i32 s34, s33
	s_ashr_i32 s27, s33, 31
	v_rcp_iflag_f32_e32 v1, v1
	s_load_dwordx2 s[24:25], s[4:5], 0xc8
	v_mul_f32_e32 v1, 0x4f7ffffe, v1
	v_cvt_u32_f32_e32 v1, v1
	v_readfirstlane_b32 s36, v1
	s_mul_i32 s35, s35, s36
	s_mul_hi_u32 s35, s36, s35
	s_add_i32 s36, s36, s35
	s_mul_hi_u32 s35, s34, s36
	s_mul_i32 s35, s35, s26
	s_sub_i32 s34, s34, s35
	s_sub_i32 s35, s34, s26
	s_cmp_ge_u32 s34, s26
	s_cselect_b32 s34, s35, s34
	s_sub_i32 s35, s34, s26
	s_cmp_ge_u32 s34, s26
	s_cselect_b32 s26, s35, s34
	s_xor_b32 s26, s26, s27
	s_sub_i32 s26, s26, s27
	s_ashr_i32 s27, s26, 31
	s_waitcnt lgkmcnt(0)
	s_mul_i32 s25, s26, s25
	s_mul_hi_u32 s34, s26, s24
	s_add_i32 s25, s34, s25
	s_mul_i32 s27, s27, s24
	s_add_i32 s25, s25, s27
	s_mul_i32 s26, s26, s24
	s_add_u32 s34, s14, s26
	s_addc_u32 s35, s15, s25
.LBB71_2:
	s_load_dwordx4 s[24:27], s[4:5], 0x70
	v_bfe_u32 v35, v0, 10, 10
	v_lshl_add_u32 v21, s6, 3, v35
	v_mul_hi_u32 v1, s0, v21
	v_add_u32_e32 v1, v21, v1
	s_waitcnt lgkmcnt(0)
	s_mul_i32 s14, s33, s26
	s_ashr_i32 s26, s14, 31
	s_mul_i32 s15, s28, s25
	s_add_u32 s8, s8, s14
	s_addc_u32 s9, s9, s26
	s_ashr_i32 s14, s15, 31
	v_lshrrev_b32_e32 v1, s1, v1
	s_add_u32 s15, s8, s15
	v_mul_lo_u32 v1, v1, s2
	s_addc_u32 s14, s9, s14
	v_sub_u32_e32 v16, v21, v1
	s_ashr_i32 s26, s24, 31
	v_mov_b32_e32 v1, s24
	v_alignbit_b32 v1, s26, v1, 2
	v_mad_u64_u32 v[2:3], s[0:1], v1, v16, 0
	v_mov_b32_e32 v4, v3
	s_lshr_b32 s0, s26, 2
	v_mad_u64_u32 v[4:5], s[0:1], s0, v16, v[4:5]
	v_mov_b32_e32 v3, v4
	v_and_b32_e32 v18, 0x3ff, v0
	v_lshlrev_b64 v[0:1], 2, v[2:3]
	v_mov_b32_e32 v2, s14
	v_add_co_u32_e32 v0, vcc, s15, v0
	v_addc_co_u32_e32 v1, vcc, v2, v1, vcc
	v_lshlrev_b32_e32 v34, 4, v18
	s_ashr_i32 s9, s25, 31
	s_mov_b32 s8, s25
	v_add_co_u32_e32 v22, vcc, v0, v34
	v_addc_co_u32_e32 v23, vcc, 0, v1, vcc
	s_lshr_b64 s[0:1], s[8:9], 2
	s_and_b32 s8, s25, -4
	v_mov_b32_e32 v5, s9
	v_add_co_u32_e32 v4, vcc, s8, v22
	global_load_dwordx4 v[0:3], v[22:23], off
	v_addc_co_u32_e32 v5, vcc, v23, v5, vcc
	global_load_dwordx4 v[4:7], v[4:5], off
	v_mov_b32_e32 v12, s25
	s_lshl_b64 s[0:1], s[0:1], 3
	v_alignbit_b32 v17, s9, v12, 2
	v_mov_b32_e32 v9, s1
	v_add_co_u32_e32 v8, vcc, s0, v22
	v_mad_u64_u32 v[12:13], s[0:1], v17, 12, v[22:23]
	v_addc_co_u32_e32 v9, vcc, v23, v9, vcc
	global_load_dwordx4 v[8:11], v[8:9], off
	v_mov_b32_e32 v14, v13
	s_lshr_b32 s14, s9, 2
	v_mad_u64_u32 v[14:15], s[0:1], s14, 12, v[14:15]
	v_mov_b32_e32 v13, v14
	global_load_dwordx4 v[12:15], v[12:13], off
	s_andn2_b32 s9, s9, -2.0
	s_lshl_b64 s[0:1], s[8:9], 2
	v_mov_b32_e32 v19, s1
	v_add_co_u32_e32 v24, vcc, s0, v22
	v_mad_u64_u32 v[28:29], s[0:1], v17, 20, v[22:23]
	v_addc_co_u32_e32 v25, vcc, v23, v19, vcc
	v_mov_b32_e32 v20, v29
	global_load_dwordx4 v[24:27], v[24:25], off
	v_mad_u64_u32 v[30:31], s[0:1], s14, 20, v[20:21]
	v_mov_b32_e32 v29, v30
	global_load_dwordx4 v[28:31], v[28:29], off
	v_mad_u64_u32 v[32:33], s[0:1], v17, 24, v[22:23]
	v_mov_b32_e32 v20, v33
	v_mad_u64_u32 v[36:37], s[0:1], s14, 24, v[20:21]
	v_mad_u64_u32 v[22:23], s[0:1], v17, 28, v[22:23]
	v_mov_b32_e32 v33, v36
	global_load_dwordx4 v[36:39], v[32:33], off
	v_mov_b32_e32 v20, v23
	v_mad_u64_u32 v[32:33], s[0:1], s14, 28, v[20:21]
	v_mov_b32_e32 v23, v32
	global_load_dwordx4 v[40:43], v[22:23], off
	s_load_dword s0, s[4:5], 0x40
	v_lshlrev_b32_e32 v23, 11, v35
	v_lshl_or_b32 v32, v18, 3, v23
	s_cmp_eq_u64 s[18:19], 0
	s_waitcnt vmcnt(7) lgkmcnt(0)
	v_pk_mul_f32 v[0:1], v[0:1], s[0:1] op_sel_hi:[1,0]
	v_pk_mul_f32 v[2:3], v[2:3], s[0:1] op_sel_hi:[1,0]
	v_cvt_f16_f32_e32 v17, v1
	v_cvt_f16_f32_e32 v19, v0
	;; [unrolled: 1-line block ×4, first 2 shown]
	s_waitcnt vmcnt(6)
	v_pk_mul_f32 v[0:1], v[4:5], s[0:1] op_sel_hi:[1,0]
	v_pk_mul_f32 v[2:3], v[6:7], s[0:1] op_sel_hi:[1,0]
	v_cvt_f16_f32_e32 v4, v1
	v_cvt_f16_f32_e32 v3, v3
	;; [unrolled: 1-line block ×4, first 2 shown]
	v_pack_b32_f16 v1, v22, v20
	v_pack_b32_f16 v0, v19, v17
	;; [unrolled: 1-line block ×4, first 2 shown]
	ds_write2_b64 v32, v[0:1], v[2:3] offset1:32
	s_waitcnt vmcnt(5)
	v_pk_mul_f32 v[0:1], v[8:9], s[0:1] op_sel_hi:[1,0]
	v_cvt_f16_f32_e32 v4, v1
	v_cvt_f16_f32_e32 v5, v0
	v_pk_mul_f32 v[0:1], v[10:11], s[0:1] op_sel_hi:[1,0]
	v_cvt_f16_f32_e32 v6, v1
	v_cvt_f16_f32_e32 v7, v0
	s_waitcnt vmcnt(4)
	v_pk_mul_f32 v[0:1], v[12:13], s[0:1] op_sel_hi:[1,0]
	v_pk_mul_f32 v[2:3], v[14:15], s[0:1] op_sel_hi:[1,0]
	v_cvt_f16_f32_e32 v8, v1
	v_cvt_f16_f32_e32 v3, v3
	v_cvt_f16_f32_e32 v2, v2
	v_cvt_f16_f32_e32 v9, v0
	v_pack_b32_f16 v1, v7, v6
	v_pack_b32_f16 v0, v5, v4
	v_pack_b32_f16 v3, v2, v3
	v_pack_b32_f16 v2, v9, v8
	ds_write2_b64 v32, v[0:1], v[2:3] offset0:64 offset1:96
	s_waitcnt vmcnt(3)
	v_pk_mul_f32 v[0:1], v[24:25], s[0:1] op_sel_hi:[1,0]
	v_cvt_f16_f32_e32 v4, v1
	v_cvt_f16_f32_e32 v5, v0
	v_pk_mul_f32 v[0:1], v[26:27], s[0:1] op_sel_hi:[1,0]
	v_cvt_f16_f32_e32 v6, v1
	v_cvt_f16_f32_e32 v7, v0
	s_waitcnt vmcnt(2)
	v_pk_mul_f32 v[0:1], v[28:29], s[0:1] op_sel_hi:[1,0]
	v_pk_mul_f32 v[2:3], v[30:31], s[0:1] op_sel_hi:[1,0]
	v_cvt_f16_f32_e32 v8, v1
	v_cvt_f16_f32_e32 v3, v3
	v_cvt_f16_f32_e32 v2, v2
	v_cvt_f16_f32_e32 v9, v0
	v_pack_b32_f16 v1, v7, v6
	v_pack_b32_f16 v0, v5, v4
	v_pack_b32_f16 v3, v2, v3
	v_pack_b32_f16 v2, v9, v8
	ds_write2_b64 v32, v[0:1], v[2:3] offset0:128 offset1:160
	;; [unrolled: 19-line block ×3, first 2 shown]
	s_waitcnt lgkmcnt(0)
	s_barrier
	s_cbranch_scc1 .LBB71_4
; %bb.3:
	s_load_dword s0, s[4:5], 0xd0
	s_mov_b32 s1, 0
	s_waitcnt lgkmcnt(0)
	s_mul_i32 s0, s0, s33
	s_add_i32 s0, s0, s6
	s_lshl_b64 s[0:1], s[0:1], 2
	s_add_u32 s0, s18, s0
	s_addc_u32 s1, s19, s1
	s_load_dword s30, s[0:1], 0x0
.LBB71_4:
	s_lshl_b32 s6, s7, 6
	s_waitcnt lgkmcnt(0)
	s_cmp_lt_i32 s6, s30
	v_mbcnt_lo_u32_b32 v36, -1, 0
	s_cbranch_scc1 .LBB71_6
; %bb.5:
	v_mbcnt_hi_u32_b32 v17, -1, v36
	v_and_b32_e32 v0, 0x60, v17
	s_mov_b32 s8, 0
	v_add_u32_e32 v69, 32, v0
	v_xor_b32_e32 v71, 16, v17
	v_xor_b32_e32 v74, 8, v17
	;; [unrolled: 1-line block ×5, first 2 shown]
	s_mov_b64 s[0:1], 0
	s_mov_b32 s9, 0xfeffffff
	s_branch .LBB71_7
.LBB71_6:
	s_mov_b64 s[0:1], -1
                                        ; implicit-def: $sgpr9
                                        ; implicit-def: $sgpr8
                                        ; implicit-def: $vgpr17
                                        ; implicit-def: $vgpr69
                                        ; implicit-def: $vgpr71
                                        ; implicit-def: $vgpr74
                                        ; implicit-def: $vgpr73
                                        ; implicit-def: $vgpr72
                                        ; implicit-def: $vgpr70
.LBB71_7:
	v_lshlrev_b32_e32 v19, 2, v18
	s_andn2_b64 vcc, exec, s[0:1]
	v_mov_b32_e32 v7, s9
	v_mov_b32_e32 v9, s8
	;; [unrolled: 1-line block ×32, first 2 shown]
	s_cbranch_vccnz .LBB71_75
; %bb.8:
	s_sub_i32 s0, 0, s29
	s_mul_i32 s0, s0, s38
	s_mul_hi_u32 s0, s38, s0
	s_add_i32 s38, s38, s0
	s_load_dwordx4 s[24:27], s[4:5], 0x98
	s_load_dword s0, s[4:5], 0x54
	s_load_dwordx2 s[8:9], s[4:5], 0x8c
	s_abs_i32 s1, s28
	s_mul_hi_u32 s36, s1, s38
	s_waitcnt lgkmcnt(0)
	s_ashr_i32 s14, s26, 2
	s_ashr_i32 s26, s37, 1
	;; [unrolled: 1-line block ×4, first 2 shown]
	s_mul_i32 s25, s33, s25
	s_mul_hi_u32 s37, s33, s24
	s_add_i32 s25, s37, s25
	s_mul_i32 s37, s8, s24
	s_ashr_i32 s38, s28, 31
	s_ashr_i32 s31, s31, 31
	s_add_i32 s25, s25, s37
	s_mul_i32 s24, s33, s24
	s_add_u32 s10, s10, s24
	s_addc_u32 s11, s11, s25
	s_mul_i32 s25, s36, s29
	s_sub_i32 s1, s1, s25
	s_xor_b32 s24, s38, s31
	s_add_i32 s25, s36, 1
	s_sub_i32 s31, s1, s29
	s_cmp_ge_u32 s1, s29
	s_cselect_b32 s25, s25, s36
	s_cselect_b32 s1, s31, s1
	s_add_i32 s31, s25, 1
	s_cmp_ge_u32 s1, s29
	s_cselect_b32 s1, s31, s25
	s_load_dwordx2 s[18:19], s[4:5], 0xa8
	s_xor_b32 s1, s1, s24
	s_sub_i32 s1, s1, s24
	s_mul_i32 s9, s1, s9
	s_ashr_i32 s24, s9, 31
	s_add_u32 s9, s10, s9
	s_addc_u32 s10, s11, s24
	s_waitcnt lgkmcnt(0)
	s_mul_i32 s11, s33, s19
	s_mul_hi_u32 s19, s33, s18
	s_add_i32 s11, s19, s11
	s_mul_i32 s8, s8, s18
	v_lshrrev_b32_e32 v0, 2, v18
	s_add_i32 s11, s11, s8
	s_mul_i32 s8, s33, s18
	v_lshl_add_u32 v0, v35, 3, v0
	s_add_u32 s8, s12, s8
	s_mul_i32 s1, s1, s27
	v_and_b32_e32 v1, 12, v19
	v_mul_u32_u24_e32 v2, 0x50, v0
	v_mul_lo_u32 v0, s15, v0
	s_addc_u32 s11, s13, s11
	s_ashr_i32 s12, s1, 31
	v_lshlrev_b32_e32 v3, 2, v1
	v_ashrrev_i32_e32 v1, 31, v0
	s_add_u32 s1, s8, s1
	s_movk_i32 s8, 0x6000
	v_lshlrev_b64 v[0:1], 2, v[0:1]
	v_add3_u32 v25, v2, v3, s8
	v_mov_b32_e32 v2, s10
	v_add_co_u32_e32 v0, vcc, s9, v0
	v_addc_co_u32_e32 v1, vcc, v2, v1, vcc
	v_add_co_u32_e32 v27, vcc, v0, v3
	v_mov_b32_e32 v0, 0x4000
	v_addc_co_u32_e32 v29, vcc, 0, v1, vcc
	v_lshl_add_u32 v33, v35, 10, v0
	v_lshrrev_b32_e32 v0, 4, v18
	v_and_b32_e32 v1, 60, v19
	v_lshl_add_u32 v0, v35, 1, v0
	v_lshlrev_b32_e32 v2, 2, v1
	v_lshl_or_b32 v1, v0, 8, v2
	v_mul_lo_u32 v0, s14, v0
	v_add_u32_e32 v46, 0x6000, v1
	v_ashrrev_i32_e32 v1, 31, v0
	s_addc_u32 s11, s11, s12
	v_lshlrev_b64 v[0:1], 2, v[0:1]
	v_mov_b32_e32 v3, s11
	v_add_co_u32_e32 v0, vcc, s1, v0
	v_mad_u64_u32 v[16:17], s[8:9], v16, s26, v[18:19]
	v_addc_co_u32_e32 v1, vcc, v3, v1, vcc
	v_add_co_u32_e32 v47, vcc, v0, v2
	v_mov_b32_e32 v0, 0x6000
	s_add_u32 s8, s4, 0xd0
	v_mov_b32_e32 v38, 0xfeffffff
	v_mov_b32_e32 v12, 0
	v_mul_u32_u24_e32 v31, 0x50, v18
	v_addc_co_u32_e32 v48, vcc, 0, v1, vcc
	v_lshl_or_b32 v49, v18, 3, v0
	s_addc_u32 s9, s5, 0
	s_mov_b32 s1, s0
	v_mov_b32_e32 v57, 0
	v_mov_b32_e32 v26, 0
	s_mov_b32 s12, 0x3f200000
	s_mov_b32 s13, 0x3fb8aa3b
	s_mov_b32 s18, 0xc2ce8ed0
	s_mov_b32 s19, 0x42b17218
	v_mov_b32_e32 v50, 0xbd5c1c4e
	v_mov_b32_e32 v51, 0x3e088382
	;; [unrolled: 1-line block ×3, first 2 shown]
	s_brev_b32 s24, -2
	v_mbcnt_hi_u32_b32 v17, -1, v36
	v_add_u32_e32 v53, v33, v34
	v_mov_b32_e32 v54, 0x7f800000
	v_mov_b32_e32 v63, 0
	;; [unrolled: 1-line block ×29, first 2 shown]
.LBB71_9:                               ; =>This Inner Loop Header: Depth=1
	s_mul_hi_i32 s11, s6, s15
	s_mul_i32 s10, s6, s15
	s_lshl_b64 s[10:11], s[10:11], 2
	v_mov_b32_e32 v3, s11
	v_add_co_u32_e32 v2, vcc, s10, v27
	v_addc_co_u32_e32 v3, vcc, v29, v3, vcc
	global_load_dwordx4 v[72:75], v[2:3], off
	v_mov_b32_e32 v4, 0
	v_mov_b32_e32 v5, 0
	;; [unrolled: 1-line block ×16, first 2 shown]
                                        ; implicit-def: $vgpr69
	s_waitcnt vmcnt(0)
	ds_write_b128 v25, v[72:75]
	s_waitcnt lgkmcnt(0)
	s_barrier
	ds_read_b128 v[72:75], v31 offset:24576
	ds_read_b128 v[76:79], v31 offset:27136
	ds_read_b128 v[80:83], v23
	ds_read_b128 v[84:87], v23 offset:256
	ds_read_b128 v[88:91], v23 offset:512
	;; [unrolled: 1-line block ×7, first 2 shown]
	s_waitcnt lgkmcnt(7)
	;;#ASMSTART
	v_dot2_f32_f16 v4, v72, v80, v4
	;;#ASMEND
	;;#ASMSTART
	v_dot2_f32_f16 v4, v73, v81, v4
	;;#ASMEND
	;;#ASMSTART
	v_dot2_f32_f16 v4, v74, v82, v4
	;;#ASMEND
	;;#ASMSTART
	v_dot2_f32_f16 v4, v75, v83, v4
	;;#ASMEND
	s_waitcnt lgkmcnt(6)
	;;#ASMSTART
	v_dot2_f32_f16 v5, v72, v84, v5
	;;#ASMEND
	;;#ASMSTART
	v_dot2_f32_f16 v5, v73, v85, v5
	;;#ASMEND
	;;#ASMSTART
	v_dot2_f32_f16 v5, v74, v86, v5
	;;#ASMEND
	;;#ASMSTART
	v_dot2_f32_f16 v5, v75, v87, v5
	;;#ASMEND
	;; [unrolled: 13-line block ×8, first 2 shown]
	;;#ASMSTART
	v_dot2_f32_f16 v70, v76, v80, v70
	;;#ASMEND
	;;#ASMSTART
	v_dot2_f32_f16 v70, v77, v81, v70
	;;#ASMEND
	;; [unrolled: 3-line block ×32, first 2 shown]
	ds_read_b128 v[72:75], v31 offset:24592
	ds_read_b128 v[76:79], v31 offset:27152
	;; [unrolled: 1-line block ×10, first 2 shown]
	s_waitcnt lgkmcnt(7)
	;;#ASMSTART
	v_dot2_f32_f16 v4, v72, v80, v4
	;;#ASMEND
	;;#ASMSTART
	v_dot2_f32_f16 v4, v73, v81, v4
	;;#ASMEND
	;;#ASMSTART
	v_dot2_f32_f16 v4, v74, v82, v4
	;;#ASMEND
	;;#ASMSTART
	v_dot2_f32_f16 v4, v75, v83, v4
	;;#ASMEND
	s_waitcnt lgkmcnt(6)
	;;#ASMSTART
	v_dot2_f32_f16 v5, v72, v84, v5
	;;#ASMEND
	;;#ASMSTART
	v_dot2_f32_f16 v5, v73, v85, v5
	;;#ASMEND
	;;#ASMSTART
	v_dot2_f32_f16 v5, v74, v86, v5
	;;#ASMEND
	;;#ASMSTART
	v_dot2_f32_f16 v5, v75, v87, v5
	;;#ASMEND
	;; [unrolled: 13-line block ×8, first 2 shown]
	;;#ASMSTART
	v_dot2_f32_f16 v70, v76, v80, v70
	;;#ASMEND
	;;#ASMSTART
	v_dot2_f32_f16 v70, v77, v81, v70
	;;#ASMEND
	;; [unrolled: 3-line block ×32, first 2 shown]
	ds_read_b128 v[72:75], v31 offset:24608
	ds_read_b128 v[76:79], v31 offset:27168
	;; [unrolled: 1-line block ×10, first 2 shown]
	s_waitcnt lgkmcnt(7)
	;;#ASMSTART
	v_dot2_f32_f16 v4, v72, v80, v4
	;;#ASMEND
	;;#ASMSTART
	v_dot2_f32_f16 v4, v73, v81, v4
	;;#ASMEND
	;;#ASMSTART
	v_dot2_f32_f16 v4, v74, v82, v4
	;;#ASMEND
	;;#ASMSTART
	v_dot2_f32_f16 v4, v75, v83, v4
	;;#ASMEND
	s_waitcnt lgkmcnt(6)
	;;#ASMSTART
	v_dot2_f32_f16 v5, v72, v84, v5
	;;#ASMEND
	;;#ASMSTART
	v_dot2_f32_f16 v5, v73, v85, v5
	;;#ASMEND
	;;#ASMSTART
	v_dot2_f32_f16 v5, v74, v86, v5
	;;#ASMEND
	;;#ASMSTART
	v_dot2_f32_f16 v5, v75, v87, v5
	;;#ASMEND
	;; [unrolled: 13-line block ×8, first 2 shown]
	;;#ASMSTART
	v_dot2_f32_f16 v70, v76, v80, v70
	;;#ASMEND
	;;#ASMSTART
	v_dot2_f32_f16 v70, v77, v81, v70
	;;#ASMEND
	;; [unrolled: 3-line block ×32, first 2 shown]
	ds_read_b128 v[72:75], v31 offset:24624
	ds_read_b128 v[76:79], v31 offset:27184
	;; [unrolled: 1-line block ×10, first 2 shown]
	s_waitcnt lgkmcnt(7)
	;;#ASMSTART
	v_dot2_f32_f16 v4, v72, v80, v4
	;;#ASMEND
	;;#ASMSTART
	v_dot2_f32_f16 v4, v73, v81, v4
	;;#ASMEND
	;;#ASMSTART
	v_dot2_f32_f16 v4, v74, v82, v4
	;;#ASMEND
	;;#ASMSTART
	v_dot2_f32_f16 v4, v75, v83, v4
	;;#ASMEND
	s_waitcnt lgkmcnt(6)
	;;#ASMSTART
	v_dot2_f32_f16 v5, v72, v84, v5
	;;#ASMEND
	;;#ASMSTART
	v_dot2_f32_f16 v5, v73, v85, v5
	;;#ASMEND
	;;#ASMSTART
	v_dot2_f32_f16 v5, v74, v86, v5
	;;#ASMEND
	;;#ASMSTART
	v_dot2_f32_f16 v5, v75, v87, v5
	;;#ASMEND
	;; [unrolled: 13-line block ×8, first 2 shown]
	;;#ASMSTART
	v_dot2_f32_f16 v70, v76, v80, v70
	;;#ASMEND
	;;#ASMSTART
	v_dot2_f32_f16 v70, v77, v81, v70
	;;#ASMEND
	;; [unrolled: 3-line block ×32, first 2 shown]
	s_barrier
	global_load_dwordx4 v[72:75], v[2:3], off offset:64
	s_waitcnt vmcnt(0)
	ds_write_b128 v25, v[72:75]
	s_waitcnt lgkmcnt(0)
	s_barrier
	ds_read_b128 v[72:75], v31 offset:24576
	ds_read_b128 v[76:79], v31 offset:27136
	;; [unrolled: 1-line block ×10, first 2 shown]
	s_waitcnt lgkmcnt(7)
	;;#ASMSTART
	v_dot2_f32_f16 v4, v72, v80, v4
	;;#ASMEND
	;;#ASMSTART
	v_dot2_f32_f16 v4, v73, v81, v4
	;;#ASMEND
	;;#ASMSTART
	v_dot2_f32_f16 v4, v74, v82, v4
	;;#ASMEND
	;;#ASMSTART
	v_dot2_f32_f16 v4, v75, v83, v4
	;;#ASMEND
	s_waitcnt lgkmcnt(6)
	;;#ASMSTART
	v_dot2_f32_f16 v5, v72, v84, v5
	;;#ASMEND
	;;#ASMSTART
	v_dot2_f32_f16 v5, v73, v85, v5
	;;#ASMEND
	;;#ASMSTART
	v_dot2_f32_f16 v5, v74, v86, v5
	;;#ASMEND
	;;#ASMSTART
	v_dot2_f32_f16 v5, v75, v87, v5
	;;#ASMEND
	;; [unrolled: 13-line block ×8, first 2 shown]
	;;#ASMSTART
	v_dot2_f32_f16 v70, v76, v80, v70
	;;#ASMEND
	;;#ASMSTART
	v_dot2_f32_f16 v70, v77, v81, v70
	;;#ASMEND
	;; [unrolled: 3-line block ×32, first 2 shown]
	ds_read_b128 v[72:75], v31 offset:24592
	ds_read_b128 v[76:79], v31 offset:27152
	;; [unrolled: 1-line block ×10, first 2 shown]
	s_waitcnt lgkmcnt(7)
	;;#ASMSTART
	v_dot2_f32_f16 v4, v72, v80, v4
	;;#ASMEND
	;;#ASMSTART
	v_dot2_f32_f16 v4, v73, v81, v4
	;;#ASMEND
	;;#ASMSTART
	v_dot2_f32_f16 v4, v74, v82, v4
	;;#ASMEND
	;;#ASMSTART
	v_dot2_f32_f16 v4, v75, v83, v4
	;;#ASMEND
	s_waitcnt lgkmcnt(6)
	;;#ASMSTART
	v_dot2_f32_f16 v5, v72, v84, v5
	;;#ASMEND
	;;#ASMSTART
	v_dot2_f32_f16 v5, v73, v85, v5
	;;#ASMEND
	;;#ASMSTART
	v_dot2_f32_f16 v5, v74, v86, v5
	;;#ASMEND
	;;#ASMSTART
	v_dot2_f32_f16 v5, v75, v87, v5
	;;#ASMEND
	;; [unrolled: 13-line block ×8, first 2 shown]
	;;#ASMSTART
	v_dot2_f32_f16 v70, v76, v80, v70
	;;#ASMEND
	;;#ASMSTART
	v_dot2_f32_f16 v70, v77, v81, v70
	;;#ASMEND
	;; [unrolled: 3-line block ×32, first 2 shown]
	ds_read_b128 v[72:75], v31 offset:24608
	ds_read_b128 v[76:79], v31 offset:27168
	;; [unrolled: 1-line block ×10, first 2 shown]
	s_waitcnt lgkmcnt(7)
	;;#ASMSTART
	v_dot2_f32_f16 v4, v72, v80, v4
	;;#ASMEND
	;;#ASMSTART
	v_dot2_f32_f16 v4, v73, v81, v4
	;;#ASMEND
	;;#ASMSTART
	v_dot2_f32_f16 v4, v74, v82, v4
	;;#ASMEND
	;;#ASMSTART
	v_dot2_f32_f16 v4, v75, v83, v4
	;;#ASMEND
	s_waitcnt lgkmcnt(6)
	;;#ASMSTART
	v_dot2_f32_f16 v5, v72, v84, v5
	;;#ASMEND
	;;#ASMSTART
	v_dot2_f32_f16 v5, v73, v85, v5
	;;#ASMEND
	;;#ASMSTART
	v_dot2_f32_f16 v5, v74, v86, v5
	;;#ASMEND
	;;#ASMSTART
	v_dot2_f32_f16 v5, v75, v87, v5
	;;#ASMEND
	s_waitcnt lgkmcnt(5)
	;;#ASMSTART
	v_dot2_f32_f16 v42, v72, v88, v42
	;;#ASMEND
	;;#ASMSTART
	v_dot2_f32_f16 v42, v73, v89, v42
	;;#ASMEND
	;;#ASMSTART
	v_dot2_f32_f16 v42, v74, v90, v42
	;;#ASMEND
	;;#ASMSTART
	v_dot2_f32_f16 v42, v75, v91, v42
	;;#ASMEND
	s_waitcnt lgkmcnt(4)
	;;#ASMSTART
	v_dot2_f32_f16 v43, v72, v92, v43
	;;#ASMEND
	;;#ASMSTART
	v_dot2_f32_f16 v43, v73, v93, v43
	;;#ASMEND
	;;#ASMSTART
	v_dot2_f32_f16 v43, v74, v94, v43
	;;#ASMEND
	;;#ASMSTART
	v_dot2_f32_f16 v43, v75, v95, v43
	;;#ASMEND
	s_waitcnt lgkmcnt(3)
	;;#ASMSTART
	v_dot2_f32_f16 v40, v72, v96, v40
	;;#ASMEND
	;;#ASMSTART
	v_dot2_f32_f16 v40, v73, v97, v40
	;;#ASMEND
	;;#ASMSTART
	v_dot2_f32_f16 v40, v74, v98, v40
	;;#ASMEND
	;;#ASMSTART
	v_dot2_f32_f16 v40, v75, v99, v40
	;;#ASMEND
	s_waitcnt lgkmcnt(2)
	;;#ASMSTART
	v_dot2_f32_f16 v41, v72, v100, v41
	;;#ASMEND
	;;#ASMSTART
	v_dot2_f32_f16 v41, v73, v101, v41
	;;#ASMEND
	;;#ASMSTART
	v_dot2_f32_f16 v41, v74, v102, v41
	;;#ASMEND
	;;#ASMSTART
	v_dot2_f32_f16 v41, v75, v103, v41
	;;#ASMEND
	s_waitcnt lgkmcnt(1)
	;;#ASMSTART
	v_dot2_f32_f16 v64, v72, v104, v64
	;;#ASMEND
	;;#ASMSTART
	v_dot2_f32_f16 v64, v73, v105, v64
	;;#ASMEND
	;;#ASMSTART
	v_dot2_f32_f16 v64, v74, v106, v64
	;;#ASMEND
	;;#ASMSTART
	v_dot2_f32_f16 v64, v75, v107, v64
	;;#ASMEND
	s_waitcnt lgkmcnt(0)
	;;#ASMSTART
	v_dot2_f32_f16 v6, v72, v108, v6
	;;#ASMEND
	;;#ASMSTART
	v_dot2_f32_f16 v6, v73, v109, v6
	;;#ASMEND
	;;#ASMSTART
	v_dot2_f32_f16 v6, v74, v110, v6
	;;#ASMEND
	;;#ASMSTART
	v_dot2_f32_f16 v6, v75, v111, v6
	;;#ASMEND
	;;#ASMSTART
	v_dot2_f32_f16 v70, v76, v80, v70
	;;#ASMEND
	;;#ASMSTART
	v_dot2_f32_f16 v70, v77, v81, v70
	;;#ASMEND
	;; [unrolled: 3-line block ×32, first 2 shown]
	ds_read_b128 v[72:75], v31 offset:24624
	ds_read_b128 v[76:79], v31 offset:27184
	ds_read_b128 v[80:83], v23 offset:112
	ds_read_b128 v[84:87], v23 offset:368
	ds_read_b128 v[88:91], v23 offset:624
	ds_read_b128 v[92:95], v23 offset:880
	ds_read_b128 v[96:99], v23 offset:1136
	ds_read_b128 v[100:103], v23 offset:1392
	ds_read_b128 v[104:107], v23 offset:1648
	ds_read_b128 v[108:111], v23 offset:1904
	s_waitcnt lgkmcnt(7)
	;;#ASMSTART
	v_dot2_f32_f16 v4, v72, v80, v4
	;;#ASMEND
	;;#ASMSTART
	v_dot2_f32_f16 v4, v73, v81, v4
	;;#ASMEND
	;;#ASMSTART
	v_dot2_f32_f16 v4, v74, v82, v4
	;;#ASMEND
	;;#ASMSTART
	v_dot2_f32_f16 v4, v75, v83, v4
	;;#ASMEND
	s_waitcnt lgkmcnt(6)
	;;#ASMSTART
	v_dot2_f32_f16 v5, v72, v84, v5
	;;#ASMEND
	;;#ASMSTART
	v_dot2_f32_f16 v5, v73, v85, v5
	;;#ASMEND
	;;#ASMSTART
	v_dot2_f32_f16 v5, v74, v86, v5
	;;#ASMEND
	;;#ASMSTART
	v_dot2_f32_f16 v5, v75, v87, v5
	;;#ASMEND
	;; [unrolled: 13-line block ×8, first 2 shown]
	;;#ASMSTART
	v_dot2_f32_f16 v70, v76, v80, v70
	;;#ASMEND
	;;#ASMSTART
	v_dot2_f32_f16 v70, v77, v81, v70
	;;#ASMEND
	;; [unrolled: 3-line block ×32, first 2 shown]
	s_barrier
	global_load_dwordx4 v[72:75], v[2:3], off offset:128
	s_waitcnt vmcnt(0)
	ds_write_b128 v25, v[72:75]
	s_waitcnt lgkmcnt(0)
	s_barrier
	ds_read_b128 v[72:75], v31 offset:24576
	ds_read_b128 v[76:79], v31 offset:27136
	ds_read_b128 v[80:83], v23 offset:128
	ds_read_b128 v[84:87], v23 offset:384
	ds_read_b128 v[88:91], v23 offset:640
	ds_read_b128 v[92:95], v23 offset:896
	ds_read_b128 v[96:99], v23 offset:1152
	ds_read_b128 v[100:103], v23 offset:1408
	ds_read_b128 v[104:107], v23 offset:1664
	ds_read_b128 v[108:111], v23 offset:1920
	s_waitcnt lgkmcnt(7)
	;;#ASMSTART
	v_dot2_f32_f16 v4, v72, v80, v4
	;;#ASMEND
	;;#ASMSTART
	v_dot2_f32_f16 v4, v73, v81, v4
	;;#ASMEND
	;;#ASMSTART
	v_dot2_f32_f16 v4, v74, v82, v4
	;;#ASMEND
	;;#ASMSTART
	v_dot2_f32_f16 v4, v75, v83, v4
	;;#ASMEND
	s_waitcnt lgkmcnt(6)
	;;#ASMSTART
	v_dot2_f32_f16 v5, v72, v84, v5
	;;#ASMEND
	;;#ASMSTART
	v_dot2_f32_f16 v5, v73, v85, v5
	;;#ASMEND
	;;#ASMSTART
	v_dot2_f32_f16 v5, v74, v86, v5
	;;#ASMEND
	;;#ASMSTART
	v_dot2_f32_f16 v5, v75, v87, v5
	;;#ASMEND
	;; [unrolled: 13-line block ×8, first 2 shown]
	;;#ASMSTART
	v_dot2_f32_f16 v70, v76, v80, v70
	;;#ASMEND
	;;#ASMSTART
	v_dot2_f32_f16 v70, v77, v81, v70
	;;#ASMEND
	;; [unrolled: 3-line block ×32, first 2 shown]
	ds_read_b128 v[72:75], v31 offset:24592
	ds_read_b128 v[76:79], v31 offset:27152
	;; [unrolled: 1-line block ×10, first 2 shown]
	s_waitcnt lgkmcnt(7)
	;;#ASMSTART
	v_dot2_f32_f16 v4, v72, v80, v4
	;;#ASMEND
	;;#ASMSTART
	v_dot2_f32_f16 v4, v73, v81, v4
	;;#ASMEND
	;;#ASMSTART
	v_dot2_f32_f16 v4, v74, v82, v4
	;;#ASMEND
	;;#ASMSTART
	v_dot2_f32_f16 v4, v75, v83, v4
	;;#ASMEND
	s_waitcnt lgkmcnt(6)
	;;#ASMSTART
	v_dot2_f32_f16 v5, v72, v84, v5
	;;#ASMEND
	;;#ASMSTART
	v_dot2_f32_f16 v5, v73, v85, v5
	;;#ASMEND
	;;#ASMSTART
	v_dot2_f32_f16 v5, v74, v86, v5
	;;#ASMEND
	;;#ASMSTART
	v_dot2_f32_f16 v5, v75, v87, v5
	;;#ASMEND
	;; [unrolled: 13-line block ×8, first 2 shown]
	;;#ASMSTART
	v_dot2_f32_f16 v70, v76, v80, v70
	;;#ASMEND
	;;#ASMSTART
	v_dot2_f32_f16 v70, v77, v81, v70
	;;#ASMEND
	;; [unrolled: 3-line block ×32, first 2 shown]
	ds_read_b128 v[72:75], v31 offset:24608
	ds_read_b128 v[76:79], v31 offset:27168
	;; [unrolled: 1-line block ×10, first 2 shown]
	s_waitcnt lgkmcnt(7)
	;;#ASMSTART
	v_dot2_f32_f16 v4, v72, v80, v4
	;;#ASMEND
	;;#ASMSTART
	v_dot2_f32_f16 v4, v73, v81, v4
	;;#ASMEND
	;;#ASMSTART
	v_dot2_f32_f16 v4, v74, v82, v4
	;;#ASMEND
	;;#ASMSTART
	v_dot2_f32_f16 v4, v75, v83, v4
	;;#ASMEND
	s_waitcnt lgkmcnt(6)
	;;#ASMSTART
	v_dot2_f32_f16 v5, v72, v84, v5
	;;#ASMEND
	;;#ASMSTART
	v_dot2_f32_f16 v5, v73, v85, v5
	;;#ASMEND
	;;#ASMSTART
	v_dot2_f32_f16 v5, v74, v86, v5
	;;#ASMEND
	;;#ASMSTART
	v_dot2_f32_f16 v5, v75, v87, v5
	;;#ASMEND
	;; [unrolled: 13-line block ×8, first 2 shown]
	;;#ASMSTART
	v_dot2_f32_f16 v70, v76, v80, v70
	;;#ASMEND
	;;#ASMSTART
	v_dot2_f32_f16 v70, v77, v81, v70
	;;#ASMEND
	;; [unrolled: 3-line block ×32, first 2 shown]
	ds_read_b128 v[72:75], v31 offset:24624
	ds_read_b128 v[76:79], v31 offset:27184
	;; [unrolled: 1-line block ×10, first 2 shown]
	s_waitcnt lgkmcnt(7)
	;;#ASMSTART
	v_dot2_f32_f16 v4, v72, v80, v4
	;;#ASMEND
	;;#ASMSTART
	v_dot2_f32_f16 v4, v73, v81, v4
	;;#ASMEND
	;;#ASMSTART
	v_dot2_f32_f16 v4, v74, v82, v4
	;;#ASMEND
	;;#ASMSTART
	v_dot2_f32_f16 v4, v75, v83, v4
	;;#ASMEND
	s_waitcnt lgkmcnt(6)
	;;#ASMSTART
	v_dot2_f32_f16 v5, v72, v84, v5
	;;#ASMEND
	;;#ASMSTART
	v_dot2_f32_f16 v5, v73, v85, v5
	;;#ASMEND
	;;#ASMSTART
	v_dot2_f32_f16 v5, v74, v86, v5
	;;#ASMEND
	;;#ASMSTART
	v_dot2_f32_f16 v5, v75, v87, v5
	;;#ASMEND
	;; [unrolled: 13-line block ×8, first 2 shown]
	;;#ASMSTART
	v_dot2_f32_f16 v70, v76, v80, v70
	;;#ASMEND
	;;#ASMSTART
	v_dot2_f32_f16 v70, v77, v81, v70
	;;#ASMEND
	;; [unrolled: 3-line block ×32, first 2 shown]
	s_barrier
	global_load_dwordx4 v[72:75], v[2:3], off offset:192
	s_waitcnt vmcnt(0)
	ds_write_b128 v25, v[72:75]
	s_waitcnt lgkmcnt(0)
	s_barrier
	ds_read_b128 v[72:75], v31 offset:24576
	ds_read_b128 v[76:79], v31 offset:27136
	;; [unrolled: 1-line block ×10, first 2 shown]
	s_waitcnt lgkmcnt(7)
	;;#ASMSTART
	v_dot2_f32_f16 v4, v72, v80, v4
	;;#ASMEND
	;;#ASMSTART
	v_dot2_f32_f16 v4, v73, v81, v4
	;;#ASMEND
	;;#ASMSTART
	v_dot2_f32_f16 v4, v74, v82, v4
	;;#ASMEND
	;;#ASMSTART
	v_dot2_f32_f16 v4, v75, v83, v4
	;;#ASMEND
	s_waitcnt lgkmcnt(6)
	;;#ASMSTART
	v_dot2_f32_f16 v5, v72, v84, v5
	;;#ASMEND
	;;#ASMSTART
	v_dot2_f32_f16 v5, v73, v85, v5
	;;#ASMEND
	;;#ASMSTART
	v_dot2_f32_f16 v5, v74, v86, v5
	;;#ASMEND
	;;#ASMSTART
	v_dot2_f32_f16 v5, v75, v87, v5
	;;#ASMEND
	;; [unrolled: 13-line block ×8, first 2 shown]
	;;#ASMSTART
	v_dot2_f32_f16 v70, v76, v80, v70
	;;#ASMEND
	;;#ASMSTART
	v_dot2_f32_f16 v70, v77, v81, v70
	;;#ASMEND
	;; [unrolled: 3-line block ×32, first 2 shown]
	ds_read_b128 v[72:75], v31 offset:24592
	ds_read_b128 v[76:79], v31 offset:27152
	;; [unrolled: 1-line block ×10, first 2 shown]
	s_waitcnt lgkmcnt(7)
	;;#ASMSTART
	v_dot2_f32_f16 v4, v72, v80, v4
	;;#ASMEND
	;;#ASMSTART
	v_dot2_f32_f16 v4, v73, v81, v4
	;;#ASMEND
	;;#ASMSTART
	v_dot2_f32_f16 v4, v74, v82, v4
	;;#ASMEND
	;;#ASMSTART
	v_dot2_f32_f16 v4, v75, v83, v4
	;;#ASMEND
	s_waitcnt lgkmcnt(6)
	;;#ASMSTART
	v_dot2_f32_f16 v5, v72, v84, v5
	;;#ASMEND
	;;#ASMSTART
	v_dot2_f32_f16 v5, v73, v85, v5
	;;#ASMEND
	;;#ASMSTART
	v_dot2_f32_f16 v5, v74, v86, v5
	;;#ASMEND
	;;#ASMSTART
	v_dot2_f32_f16 v5, v75, v87, v5
	;;#ASMEND
	;; [unrolled: 13-line block ×8, first 2 shown]
	;;#ASMSTART
	v_dot2_f32_f16 v70, v76, v80, v70
	;;#ASMEND
	;;#ASMSTART
	v_dot2_f32_f16 v70, v77, v81, v70
	;;#ASMEND
	;; [unrolled: 3-line block ×32, first 2 shown]
	ds_read_b128 v[72:75], v31 offset:24608
	ds_read_b128 v[76:79], v31 offset:27168
	;; [unrolled: 1-line block ×10, first 2 shown]
	s_waitcnt lgkmcnt(7)
	;;#ASMSTART
	v_dot2_f32_f16 v4, v72, v80, v4
	;;#ASMEND
	;;#ASMSTART
	v_dot2_f32_f16 v4, v73, v81, v4
	;;#ASMEND
	;;#ASMSTART
	v_dot2_f32_f16 v4, v74, v82, v4
	;;#ASMEND
	;;#ASMSTART
	v_dot2_f32_f16 v4, v75, v83, v4
	;;#ASMEND
	s_waitcnt lgkmcnt(6)
	;;#ASMSTART
	v_dot2_f32_f16 v5, v72, v84, v5
	;;#ASMEND
	;;#ASMSTART
	v_dot2_f32_f16 v5, v73, v85, v5
	;;#ASMEND
	;;#ASMSTART
	v_dot2_f32_f16 v5, v74, v86, v5
	;;#ASMEND
	;;#ASMSTART
	v_dot2_f32_f16 v5, v75, v87, v5
	;;#ASMEND
	;; [unrolled: 13-line block ×8, first 2 shown]
	;;#ASMSTART
	v_dot2_f32_f16 v70, v76, v80, v70
	;;#ASMEND
	;;#ASMSTART
	v_dot2_f32_f16 v70, v77, v81, v70
	;;#ASMEND
	;; [unrolled: 3-line block ×32, first 2 shown]
	ds_read_b128 v[72:75], v31 offset:24624
	ds_read_b128 v[76:79], v31 offset:27184
	;; [unrolled: 1-line block ×10, first 2 shown]
	s_waitcnt lgkmcnt(7)
	;;#ASMSTART
	v_dot2_f32_f16 v4, v72, v80, v4
	;;#ASMEND
	;;#ASMSTART
	v_dot2_f32_f16 v4, v73, v81, v4
	;;#ASMEND
	;;#ASMSTART
	v_dot2_f32_f16 v4, v74, v82, v4
	;;#ASMEND
	;;#ASMSTART
	v_dot2_f32_f16 v4, v75, v83, v4
	;;#ASMEND
	s_waitcnt lgkmcnt(6)
	;;#ASMSTART
	v_dot2_f32_f16 v5, v72, v84, v5
	;;#ASMEND
	;;#ASMSTART
	v_dot2_f32_f16 v5, v73, v85, v5
	;;#ASMEND
	;;#ASMSTART
	v_dot2_f32_f16 v5, v74, v86, v5
	;;#ASMEND
	;;#ASMSTART
	v_dot2_f32_f16 v5, v75, v87, v5
	;;#ASMEND
	;; [unrolled: 13-line block ×8, first 2 shown]
	;;#ASMSTART
	v_dot2_f32_f16 v70, v76, v80, v70
	;;#ASMEND
	;;#ASMSTART
	v_dot2_f32_f16 v70, v77, v81, v70
	;;#ASMEND
	;; [unrolled: 3-line block ×31, first 2 shown]
	v_cmp_nlt_f32_e64 s[10:11], |v4|, s12
	;;#ASMSTART
	v_dot2_f32_f16 v7, v79, v111, v7
	;;#ASMEND
	s_and_saveexec_b64 s[26:27], s[10:11]
	s_xor_b64 s[10:11], exec, s[26:27]
	s_cbranch_execz .LBB71_11
; %bb.10:                               ;   in Loop: Header=BB71_9 Depth=1
	v_add_f32_e64 v2, |v4|, |v4|
	v_mul_f32_e32 v3, 0x3fb8aa3b, v2
	v_rndne_f32_e32 v69, v3
	v_sub_f32_e32 v71, v3, v69
	v_fma_f32 v3, v2, s13, -v3
	v_fmac_f32_e32 v3, 0x32a5705f, v2
	v_add_f32_e32 v3, v71, v3
	v_cvt_i32_f32_e32 v69, v69
	v_exp_f32_e32 v3, v3
	v_cmp_ngt_f32_e32 vcc, s18, v2
	v_ldexp_f32 v3, v3, v69
	v_cndmask_b32_e32 v3, 0, v3, vcc
	v_cmp_nlt_f32_e32 vcc, s19, v2
	v_cndmask_b32_e32 v2, v54, v3, vcc
	v_add_f32_e32 v2, 1.0, v2
	v_rcp_f32_e32 v2, v2
	v_fma_f32 v69, v2, -2.0, 1.0
.LBB71_11:                              ;   in Loop: Header=BB71_9 Depth=1
	s_andn2_saveexec_b64 s[10:11], s[10:11]
; %bb.12:                               ;   in Loop: Header=BB71_9 Depth=1
	v_mul_f32_e32 v2, v4, v4
	v_mov_b32_e32 v3, 0x3ca908c9
	v_fmac_f32_e32 v3, 0xbbbac73d, v2
	v_fma_f32 v3, v2, v3, v50
	v_fma_f32 v3, v2, v3, v51
	;; [unrolled: 1-line block ×3, first 2 shown]
	v_mul_f32_e64 v3, |v4|, v3
	v_fma_f32 v69, v2, v3, |v4|
; %bb.13:                               ;   in Loop: Header=BB71_9 Depth=1
	s_or_b64 exec, exec, s[10:11]
	v_add_u32_e32 v2, s6, v16
	v_ashrrev_i32_e32 v3, 31, v2
	v_lshlrev_b64 v[2:3], 1, v[2:3]
	v_mov_b32_e32 v71, s35
	v_add_co_u32_e32 v2, vcc, s34, v2
	v_addc_co_u32_e32 v3, vcc, v71, v3, vcc
	flat_load_ushort v78, v[2:3]
	v_cmp_nlt_f32_e64 s[10:11], |v70|, s12
                                        ; implicit-def: $vgpr72
	s_and_saveexec_b64 s[26:27], s[10:11]
	s_xor_b64 s[10:11], exec, s[26:27]
	s_cbranch_execz .LBB71_15
; %bb.14:                               ;   in Loop: Header=BB71_9 Depth=1
	v_add_f32_e64 v71, |v70|, |v70|
	v_mul_f32_e32 v72, 0x3fb8aa3b, v71
	v_rndne_f32_e32 v73, v72
	v_sub_f32_e32 v74, v72, v73
	v_fma_f32 v72, v71, s13, -v72
	v_fmac_f32_e32 v72, 0x32a5705f, v71
	v_add_f32_e32 v72, v74, v72
	v_cvt_i32_f32_e32 v73, v73
	v_exp_f32_e32 v72, v72
	v_cmp_ngt_f32_e32 vcc, s18, v71
	v_ldexp_f32 v72, v72, v73
	v_cndmask_b32_e32 v72, 0, v72, vcc
	v_cmp_nlt_f32_e32 vcc, s19, v71
	v_cndmask_b32_e32 v71, v54, v72, vcc
	v_add_f32_e32 v71, 1.0, v71
	v_rcp_f32_e32 v71, v71
	v_fma_f32 v72, v71, -2.0, 1.0
.LBB71_15:                              ;   in Loop: Header=BB71_9 Depth=1
	s_andn2_saveexec_b64 s[10:11], s[10:11]
; %bb.16:                               ;   in Loop: Header=BB71_9 Depth=1
	v_mul_f32_e32 v71, v70, v70
	v_mov_b32_e32 v72, 0x3ca908c9
	v_fmac_f32_e32 v72, 0xbbbac73d, v71
	v_fma_f32 v72, v71, v72, v50
	v_fma_f32 v72, v71, v72, v51
	v_fma_f32 v72, v71, v72, v52
	v_mul_f32_e64 v72, |v70|, v72
	v_fma_f32 v72, v71, v72, |v70|
; %bb.17:                               ;   in Loop: Header=BB71_9 Depth=1
	s_or_b64 exec, exec, s[10:11]
	flat_load_ushort v3, v[2:3] offset:64
	v_bfi_b32 v2, s24, v69, v4
	v_and_b32_e32 v4, 0x60, v17
	v_add_u32_e32 v69, 32, v4
	v_xor_b32_e32 v71, 16, v17
	v_cmp_lt_i32_e32 vcc, v71, v69
	v_cndmask_b32_e32 v4, v17, v71, vcc
	v_lshlrev_b32_e32 v83, 2, v4
	v_bfi_b32 v4, s24, v72, v70
	s_waitcnt vmcnt(0) lgkmcnt(0)
	v_fma_mix_f32 v75, v2, s0, v78 op_sel_hi:[0,0,1]
	v_add_f32_e32 v2, 0x40051340, v75
	v_xor_b32_e32 v74, 8, v17
	v_cmp_lt_i32_e32 vcc, v74, v69
	v_cndmask_b32_e32 v72, v17, v74, vcc
	v_lshlrev_b32_e32 v84, 2, v72
	v_xor_b32_e32 v73, 4, v17
	v_cmp_lt_i32_e32 vcc, v73, v69
	v_cndmask_b32_e32 v72, v17, v73, vcc
	v_lshlrev_b32_e32 v82, 2, v72
	;; [unrolled: 4-line block ×3, first 2 shown]
	v_cmp_nlt_f32_e64 s[10:11], |v5|, s12
                                        ; implicit-def: $vgpr79
	v_fma_mix_f32 v4, v4, s0, v3 op_sel_hi:[0,0,1]
	v_add_f32_e32 v70, 0x40051340, v4
	v_max3_f32 v2, v38, v2, v70
	ds_bpermute_b32 v70, v83, v2
	s_waitcnt lgkmcnt(0)
	v_max_f32_e32 v70, v70, v70
	v_max_f32_e32 v2, v2, v70
	ds_bpermute_b32 v70, v84, v2
	s_waitcnt lgkmcnt(0)
	v_max_f32_e32 v70, v70, v70
	v_max_f32_e32 v2, v2, v70
	;; [unrolled: 4-line block ×3, first 2 shown]
	ds_bpermute_b32 v76, v81, v2
	v_xor_b32_e32 v70, 1, v17
	v_cmp_lt_i32_e32 vcc, v70, v69
	v_cndmask_b32_e32 v77, v17, v70, vcc
	v_lshlrev_b32_e32 v80, 2, v77
	s_waitcnt lgkmcnt(0)
	v_max_f32_e32 v76, v76, v76
	v_max_f32_e32 v76, v2, v76
	ds_bpermute_b32 v77, v80, v76
	s_and_saveexec_b64 s[26:27], s[10:11]
	s_xor_b64 s[10:11], exec, s[26:27]
	s_cbranch_execz .LBB71_19
; %bb.18:                               ;   in Loop: Header=BB71_9 Depth=1
	v_add_f32_e64 v2, |v5|, |v5|
	v_mul_f32_e32 v79, 0x3fb8aa3b, v2
	v_rndne_f32_e32 v85, v79
	v_sub_f32_e32 v86, v79, v85
	v_fma_f32 v79, v2, s13, -v79
	v_fmac_f32_e32 v79, 0x32a5705f, v2
	v_add_f32_e32 v79, v86, v79
	v_cvt_i32_f32_e32 v85, v85
	v_exp_f32_e32 v79, v79
	v_cmp_ngt_f32_e32 vcc, s18, v2
	v_ldexp_f32 v79, v79, v85
	v_cndmask_b32_e32 v79, 0, v79, vcc
	v_cmp_nlt_f32_e32 vcc, s19, v2
	v_cndmask_b32_e32 v2, v54, v79, vcc
	v_add_f32_e32 v2, 1.0, v2
	v_rcp_f32_e32 v2, v2
	v_fma_f32 v79, v2, -2.0, 1.0
.LBB71_19:                              ;   in Loop: Header=BB71_9 Depth=1
	s_andn2_saveexec_b64 s[10:11], s[10:11]
; %bb.20:                               ;   in Loop: Header=BB71_9 Depth=1
	v_mul_f32_e32 v2, v5, v5
	v_mov_b32_e32 v79, 0x3ca908c9
	v_fmac_f32_e32 v79, 0xbbbac73d, v2
	v_fma_f32 v79, v2, v79, v50
	v_fma_f32 v79, v2, v79, v51
	;; [unrolled: 1-line block ×3, first 2 shown]
	v_mul_f32_e64 v79, |v5|, v79
	v_fma_f32 v79, v2, v79, |v5|
; %bb.21:                               ;   in Loop: Header=BB71_9 Depth=1
	s_or_b64 exec, exec, s[10:11]
	v_cmp_nlt_f32_e64 s[10:11], |v68|, s12
                                        ; implicit-def: $vgpr85
	s_and_saveexec_b64 s[26:27], s[10:11]
	s_xor_b64 s[10:11], exec, s[26:27]
	s_cbranch_execz .LBB71_23
; %bb.22:                               ;   in Loop: Header=BB71_9 Depth=1
	v_add_f32_e64 v2, |v68|, |v68|
	v_mul_f32_e32 v85, 0x3fb8aa3b, v2
	v_rndne_f32_e32 v86, v85
	v_sub_f32_e32 v87, v85, v86
	v_fma_f32 v85, v2, s13, -v85
	v_fmac_f32_e32 v85, 0x32a5705f, v2
	v_add_f32_e32 v85, v87, v85
	v_cvt_i32_f32_e32 v86, v86
	v_exp_f32_e32 v85, v85
	v_cmp_ngt_f32_e32 vcc, s18, v2
	v_ldexp_f32 v85, v85, v86
	v_cndmask_b32_e32 v85, 0, v85, vcc
	v_cmp_nlt_f32_e32 vcc, s19, v2
	v_cndmask_b32_e32 v2, v54, v85, vcc
	v_add_f32_e32 v2, 1.0, v2
	v_rcp_f32_e32 v2, v2
	v_fma_f32 v85, v2, -2.0, 1.0
.LBB71_23:                              ;   in Loop: Header=BB71_9 Depth=1
	s_andn2_saveexec_b64 s[10:11], s[10:11]
; %bb.24:                               ;   in Loop: Header=BB71_9 Depth=1
	v_mul_f32_e32 v2, v68, v68
	v_mov_b32_e32 v85, 0x3ca908c9
	v_fmac_f32_e32 v85, 0xbbbac73d, v2
	v_fma_f32 v85, v2, v85, v50
	v_fma_f32 v85, v2, v85, v51
	;; [unrolled: 1-line block ×3, first 2 shown]
	v_mul_f32_e64 v85, |v68|, v85
	v_fma_f32 v85, v2, v85, |v68|
; %bb.25:                               ;   in Loop: Header=BB71_9 Depth=1
	s_or_b64 exec, exec, s[10:11]
	v_cvt_f32_f16_e32 v2, v78
	v_cvt_f32_f16_e32 v3, v3
	v_bfi_b32 v5, s24, v79, v5
	v_bfi_b32 v78, s24, v85, v68
	v_fma_f32 v68, s0, v5, v2
	v_fma_f32 v5, s0, v78, v3
	v_add_f32_e32 v79, 0x40051340, v68
	v_add_f32_e32 v78, 0x40051340, v5
	v_max3_f32 v78, v39, v79, v78
	ds_bpermute_b32 v79, v83, v78
	v_cmp_nlt_f32_e64 s[10:11], |v42|, s12
                                        ; implicit-def: $vgpr85
	s_waitcnt lgkmcnt(0)
	v_max_f32_e32 v79, v79, v79
	v_max_f32_e32 v78, v78, v79
	ds_bpermute_b32 v79, v84, v78
	s_waitcnt lgkmcnt(0)
	v_max_f32_e32 v79, v79, v79
	v_max_f32_e32 v78, v78, v79
	ds_bpermute_b32 v79, v82, v78
	;; [unrolled: 4-line block ×4, first 2 shown]
	s_and_saveexec_b64 s[26:27], s[10:11]
	s_xor_b64 s[10:11], exec, s[26:27]
	s_cbranch_execz .LBB71_27
; %bb.26:                               ;   in Loop: Header=BB71_9 Depth=1
	v_add_f32_e64 v85, |v42|, |v42|
	v_mul_f32_e32 v86, 0x3fb8aa3b, v85
	v_rndne_f32_e32 v87, v86
	v_sub_f32_e32 v88, v86, v87
	v_fma_f32 v86, v85, s13, -v86
	v_fmac_f32_e32 v86, 0x32a5705f, v85
	v_add_f32_e32 v86, v88, v86
	v_cvt_i32_f32_e32 v87, v87
	v_exp_f32_e32 v86, v86
	v_cmp_ngt_f32_e32 vcc, s18, v85
	v_ldexp_f32 v86, v86, v87
	v_cndmask_b32_e32 v86, 0, v86, vcc
	v_cmp_nlt_f32_e32 vcc, s19, v85
	v_cndmask_b32_e32 v85, v54, v86, vcc
	v_add_f32_e32 v85, 1.0, v85
	v_rcp_f32_e32 v85, v85
	v_fma_f32 v85, v85, -2.0, 1.0
.LBB71_27:                              ;   in Loop: Header=BB71_9 Depth=1
	s_andn2_saveexec_b64 s[10:11], s[10:11]
; %bb.28:                               ;   in Loop: Header=BB71_9 Depth=1
	v_mul_f32_e32 v85, v42, v42
	v_mov_b32_e32 v86, 0x3ca908c9
	v_fmac_f32_e32 v86, 0xbbbac73d, v85
	v_fma_f32 v86, v85, v86, v50
	v_fma_f32 v86, v85, v86, v51
	;; [unrolled: 1-line block ×3, first 2 shown]
	v_mul_f32_e64 v86, |v42|, v86
	v_fma_f32 v85, v85, v86, |v42|
; %bb.29:                               ;   in Loop: Header=BB71_9 Depth=1
	s_or_b64 exec, exec, s[10:11]
	v_cmp_nlt_f32_e64 s[10:11], |v67|, s12
                                        ; implicit-def: $vgpr87
	s_and_saveexec_b64 s[26:27], s[10:11]
	s_xor_b64 s[10:11], exec, s[26:27]
	s_cbranch_execz .LBB71_31
; %bb.30:                               ;   in Loop: Header=BB71_9 Depth=1
	v_add_f32_e64 v86, |v67|, |v67|
	v_mul_f32_e32 v87, 0x3fb8aa3b, v86
	v_rndne_f32_e32 v88, v87
	v_sub_f32_e32 v89, v87, v88
	v_fma_f32 v87, v86, s13, -v87
	v_fmac_f32_e32 v87, 0x32a5705f, v86
	v_add_f32_e32 v87, v89, v87
	v_cvt_i32_f32_e32 v88, v88
	v_exp_f32_e32 v87, v87
	v_cmp_ngt_f32_e32 vcc, s18, v86
	v_ldexp_f32 v87, v87, v88
	v_cndmask_b32_e32 v87, 0, v87, vcc
	v_cmp_nlt_f32_e32 vcc, s19, v86
	v_cndmask_b32_e32 v86, v54, v87, vcc
	v_add_f32_e32 v86, 1.0, v86
	v_rcp_f32_e32 v86, v86
	v_fma_f32 v87, v86, -2.0, 1.0
.LBB71_31:                              ;   in Loop: Header=BB71_9 Depth=1
	s_andn2_saveexec_b64 s[10:11], s[10:11]
; %bb.32:                               ;   in Loop: Header=BB71_9 Depth=1
	v_mul_f32_e32 v86, v67, v67
	v_mov_b32_e32 v87, 0x3ca908c9
	v_fmac_f32_e32 v87, 0xbbbac73d, v86
	v_fma_f32 v87, v86, v87, v50
	v_fma_f32 v87, v86, v87, v51
	;; [unrolled: 1-line block ×3, first 2 shown]
	v_mul_f32_e64 v87, |v67|, v87
	v_fma_f32 v87, v86, v87, |v67|
; %bb.33:                               ;   in Loop: Header=BB71_9 Depth=1
	s_or_b64 exec, exec, s[10:11]
	v_bfi_b32 v42, s24, v85, v42
	v_fma_f32 v86, s0, v42, v2
	v_bfi_b32 v42, s24, v87, v67
	v_fma_f32 v42, s0, v42, v3
	v_add_f32_e32 v85, 0x40051340, v86
	v_add_f32_e32 v67, 0x40051340, v42
	v_max3_f32 v67, v36, v85, v67
	ds_bpermute_b32 v85, v83, v67
	v_cmp_nlt_f32_e64 s[10:11], |v43|, s12
	s_waitcnt lgkmcnt(0)
	v_max_f32_e32 v85, v85, v85
	v_max_f32_e32 v67, v67, v85
	ds_bpermute_b32 v85, v84, v67
	s_waitcnt lgkmcnt(0)
	v_max_f32_e32 v85, v85, v85
	v_max_f32_e32 v67, v67, v85
	ds_bpermute_b32 v85, v82, v67
	;; [unrolled: 4-line block ×4, first 2 shown]
                                        ; implicit-def: $vgpr67
	s_and_saveexec_b64 s[26:27], s[10:11]
	s_xor_b64 s[10:11], exec, s[26:27]
	s_cbranch_execz .LBB71_35
; %bb.34:                               ;   in Loop: Header=BB71_9 Depth=1
	v_add_f32_e64 v67, |v43|, |v43|
	v_mul_f32_e32 v85, 0x3fb8aa3b, v67
	v_rndne_f32_e32 v89, v85
	v_sub_f32_e32 v90, v85, v89
	v_fma_f32 v85, v67, s13, -v85
	v_fmac_f32_e32 v85, 0x32a5705f, v67
	v_add_f32_e32 v85, v90, v85
	v_cvt_i32_f32_e32 v89, v89
	v_exp_f32_e32 v85, v85
	v_cmp_ngt_f32_e32 vcc, s18, v67
	v_ldexp_f32 v85, v85, v89
	v_cndmask_b32_e32 v85, 0, v85, vcc
	v_cmp_nlt_f32_e32 vcc, s19, v67
	v_cndmask_b32_e32 v67, v54, v85, vcc
	v_add_f32_e32 v67, 1.0, v67
	v_rcp_f32_e32 v67, v67
	v_fma_f32 v67, v67, -2.0, 1.0
.LBB71_35:                              ;   in Loop: Header=BB71_9 Depth=1
	s_andn2_saveexec_b64 s[10:11], s[10:11]
; %bb.36:                               ;   in Loop: Header=BB71_9 Depth=1
	v_mul_f32_e32 v67, v43, v43
	v_mov_b32_e32 v85, 0x3ca908c9
	v_fmac_f32_e32 v85, 0xbbbac73d, v67
	v_fma_f32 v85, v67, v85, v50
	v_fma_f32 v85, v67, v85, v51
	;; [unrolled: 1-line block ×3, first 2 shown]
	v_mul_f32_e64 v85, |v43|, v85
	v_fma_f32 v67, v67, v85, |v43|
; %bb.37:                               ;   in Loop: Header=BB71_9 Depth=1
	s_or_b64 exec, exec, s[10:11]
	v_cmp_nlt_f32_e64 s[10:11], |v44|, s12
                                        ; implicit-def: $vgpr85
	s_and_saveexec_b64 s[26:27], s[10:11]
	s_xor_b64 s[10:11], exec, s[26:27]
	s_cbranch_execz .LBB71_39
; %bb.38:                               ;   in Loop: Header=BB71_9 Depth=1
	v_add_f32_e64 v85, |v44|, |v44|
	v_mul_f32_e32 v89, 0x3fb8aa3b, v85
	v_rndne_f32_e32 v90, v89
	v_sub_f32_e32 v91, v89, v90
	v_fma_f32 v89, v85, s13, -v89
	v_fmac_f32_e32 v89, 0x32a5705f, v85
	v_add_f32_e32 v89, v91, v89
	v_cvt_i32_f32_e32 v90, v90
	v_exp_f32_e32 v89, v89
	v_cmp_ngt_f32_e32 vcc, s18, v85
	v_ldexp_f32 v89, v89, v90
	v_cndmask_b32_e32 v89, 0, v89, vcc
	v_cmp_nlt_f32_e32 vcc, s19, v85
	v_cndmask_b32_e32 v85, v54, v89, vcc
	v_add_f32_e32 v85, 1.0, v85
	v_rcp_f32_e32 v85, v85
	v_fma_f32 v85, v85, -2.0, 1.0
.LBB71_39:                              ;   in Loop: Header=BB71_9 Depth=1
	s_andn2_saveexec_b64 s[10:11], s[10:11]
; %bb.40:                               ;   in Loop: Header=BB71_9 Depth=1
	v_mul_f32_e32 v85, v44, v44
	v_mov_b32_e32 v89, 0x3ca908c9
	v_fmac_f32_e32 v89, 0xbbbac73d, v85
	v_fma_f32 v89, v85, v89, v50
	v_fma_f32 v89, v85, v89, v51
	;; [unrolled: 1-line block ×3, first 2 shown]
	v_mul_f32_e64 v89, |v44|, v89
	v_fma_f32 v85, v85, v89, |v44|
; %bb.41:                               ;   in Loop: Header=BB71_9 Depth=1
	s_or_b64 exec, exec, s[10:11]
	v_bfi_b32 v43, s24, v67, v43
	v_fma_f32 v89, s0, v43, v2
	v_bfi_b32 v43, s24, v85, v44
	v_fma_f32 v43, s0, v43, v3
	v_add_f32_e32 v67, 0x40051340, v89
	v_add_f32_e32 v44, 0x40051340, v43
	v_max3_f32 v44, v37, v67, v44
	ds_bpermute_b32 v67, v83, v44
	v_cmp_nlt_f32_e64 s[10:11], |v40|, s12
	s_waitcnt lgkmcnt(0)
	v_max_f32_e32 v67, v67, v67
	v_max_f32_e32 v44, v44, v67
	ds_bpermute_b32 v67, v84, v44
	s_waitcnt lgkmcnt(0)
	v_max_f32_e32 v67, v67, v67
	v_max_f32_e32 v44, v44, v67
	ds_bpermute_b32 v67, v82, v44
	;; [unrolled: 4-line block ×4, first 2 shown]
                                        ; implicit-def: $vgpr44
	s_and_saveexec_b64 s[26:27], s[10:11]
	s_xor_b64 s[10:11], exec, s[26:27]
	s_cbranch_execz .LBB71_43
; %bb.42:                               ;   in Loop: Header=BB71_9 Depth=1
	v_add_f32_e64 v44, |v40|, |v40|
	v_mul_f32_e32 v67, 0x3fb8aa3b, v44
	v_rndne_f32_e32 v85, v67
	v_sub_f32_e32 v90, v67, v85
	v_fma_f32 v67, v44, s13, -v67
	v_fmac_f32_e32 v67, 0x32a5705f, v44
	v_add_f32_e32 v67, v90, v67
	v_cvt_i32_f32_e32 v85, v85
	v_exp_f32_e32 v67, v67
	v_cmp_ngt_f32_e32 vcc, s18, v44
	v_ldexp_f32 v67, v67, v85
	v_cndmask_b32_e32 v67, 0, v67, vcc
	v_cmp_nlt_f32_e32 vcc, s19, v44
	v_cndmask_b32_e32 v44, v54, v67, vcc
	v_add_f32_e32 v44, 1.0, v44
	v_rcp_f32_e32 v44, v44
	v_fma_f32 v44, v44, -2.0, 1.0
.LBB71_43:                              ;   in Loop: Header=BB71_9 Depth=1
	s_andn2_saveexec_b64 s[10:11], s[10:11]
; %bb.44:                               ;   in Loop: Header=BB71_9 Depth=1
	v_mul_f32_e32 v44, v40, v40
	v_mov_b32_e32 v67, 0x3ca908c9
	v_fmac_f32_e32 v67, 0xbbbac73d, v44
	v_fma_f32 v67, v44, v67, v50
	v_fma_f32 v67, v44, v67, v51
	;; [unrolled: 1-line block ×3, first 2 shown]
	v_mul_f32_e64 v67, |v40|, v67
	v_fma_f32 v44, v44, v67, |v40|
; %bb.45:                               ;   in Loop: Header=BB71_9 Depth=1
	s_or_b64 exec, exec, s[10:11]
	v_cmp_nlt_f32_e64 s[10:11], |v45|, s12
                                        ; implicit-def: $vgpr67
	s_and_saveexec_b64 s[26:27], s[10:11]
	s_xor_b64 s[10:11], exec, s[26:27]
	s_cbranch_execz .LBB71_47
; %bb.46:                               ;   in Loop: Header=BB71_9 Depth=1
	v_add_f32_e64 v67, |v45|, |v45|
	v_mul_f32_e32 v85, 0x3fb8aa3b, v67
	v_rndne_f32_e32 v90, v85
	v_sub_f32_e32 v93, v85, v90
	v_fma_f32 v85, v67, s13, -v85
	v_fmac_f32_e32 v85, 0x32a5705f, v67
	v_add_f32_e32 v85, v93, v85
	v_cvt_i32_f32_e32 v90, v90
	v_exp_f32_e32 v85, v85
	v_cmp_ngt_f32_e32 vcc, s18, v67
	v_ldexp_f32 v85, v85, v90
	v_cndmask_b32_e32 v85, 0, v85, vcc
	v_cmp_nlt_f32_e32 vcc, s19, v67
	v_cndmask_b32_e32 v67, v54, v85, vcc
	v_add_f32_e32 v67, 1.0, v67
	v_rcp_f32_e32 v67, v67
	v_fma_f32 v67, v67, -2.0, 1.0
.LBB71_47:                              ;   in Loop: Header=BB71_9 Depth=1
	s_andn2_saveexec_b64 s[10:11], s[10:11]
; %bb.48:                               ;   in Loop: Header=BB71_9 Depth=1
	v_mul_f32_e32 v67, v45, v45
	v_mov_b32_e32 v85, 0x3ca908c9
	v_fmac_f32_e32 v85, 0xbbbac73d, v67
	v_fma_f32 v85, v67, v85, v50
	v_fma_f32 v85, v67, v85, v51
	;; [unrolled: 1-line block ×3, first 2 shown]
	v_mul_f32_e64 v85, |v45|, v85
	v_fma_f32 v67, v67, v85, |v45|
; %bb.49:                               ;   in Loop: Header=BB71_9 Depth=1
	s_or_b64 exec, exec, s[10:11]
	v_bfi_b32 v40, s24, v44, v40
	v_fma_f32 v44, s0, v40, v2
	v_bfi_b32 v40, s24, v67, v45
	v_fma_f32 v40, s0, v40, v3
	v_add_f32_e32 v85, 0x40051340, v44
	v_add_f32_e32 v45, 0x40051340, v40
	v_max3_f32 v45, v34, v85, v45
	ds_bpermute_b32 v67, v83, v45
	v_cmp_nlt_f32_e64 s[10:11], |v41|, s12
	s_waitcnt lgkmcnt(0)
	v_max_f32_e32 v67, v67, v67
	v_max_f32_e32 v45, v45, v67
	ds_bpermute_b32 v67, v84, v45
	s_waitcnt lgkmcnt(0)
	v_max_f32_e32 v67, v67, v67
	v_max_f32_e32 v45, v45, v67
	ds_bpermute_b32 v67, v82, v45
	;; [unrolled: 4-line block ×4, first 2 shown]
                                        ; implicit-def: $vgpr45
	s_and_saveexec_b64 s[26:27], s[10:11]
	s_xor_b64 s[10:11], exec, s[26:27]
	s_cbranch_execz .LBB71_51
; %bb.50:                               ;   in Loop: Header=BB71_9 Depth=1
	v_add_f32_e64 v45, |v41|, |v41|
	v_mul_f32_e32 v90, 0x3fb8aa3b, v45
	v_rndne_f32_e32 v93, v90
	v_sub_f32_e32 v94, v90, v93
	v_fma_f32 v90, v45, s13, -v90
	v_fmac_f32_e32 v90, 0x32a5705f, v45
	v_add_f32_e32 v90, v94, v90
	v_cvt_i32_f32_e32 v93, v93
	v_exp_f32_e32 v90, v90
	v_cmp_ngt_f32_e32 vcc, s18, v45
	v_ldexp_f32 v90, v90, v93
	v_cndmask_b32_e32 v90, 0, v90, vcc
	v_cmp_nlt_f32_e32 vcc, s19, v45
	v_cndmask_b32_e32 v45, v54, v90, vcc
	v_add_f32_e32 v45, 1.0, v45
	v_rcp_f32_e32 v45, v45
	v_fma_f32 v45, v45, -2.0, 1.0
.LBB71_51:                              ;   in Loop: Header=BB71_9 Depth=1
	s_andn2_saveexec_b64 s[10:11], s[10:11]
; %bb.52:                               ;   in Loop: Header=BB71_9 Depth=1
	v_mul_f32_e32 v45, v41, v41
	v_mov_b32_e32 v90, 0x3ca908c9
	v_fmac_f32_e32 v90, 0xbbbac73d, v45
	v_fma_f32 v90, v45, v90, v50
	v_fma_f32 v90, v45, v90, v51
	;; [unrolled: 1-line block ×3, first 2 shown]
	v_mul_f32_e64 v90, |v41|, v90
	v_fma_f32 v45, v45, v90, |v41|
; %bb.53:                               ;   in Loop: Header=BB71_9 Depth=1
	s_or_b64 exec, exec, s[10:11]
	v_cmp_nlt_f32_e64 s[10:11], |v66|, s12
                                        ; implicit-def: $vgpr90
	s_and_saveexec_b64 s[26:27], s[10:11]
	s_xor_b64 s[10:11], exec, s[26:27]
	s_cbranch_execz .LBB71_55
; %bb.54:                               ;   in Loop: Header=BB71_9 Depth=1
	v_add_f32_e64 v90, |v66|, |v66|
	v_mul_f32_e32 v93, 0x3fb8aa3b, v90
	v_rndne_f32_e32 v94, v93
	v_sub_f32_e32 v95, v93, v94
	v_fma_f32 v93, v90, s13, -v93
	v_fmac_f32_e32 v93, 0x32a5705f, v90
	v_add_f32_e32 v93, v95, v93
	v_cvt_i32_f32_e32 v94, v94
	v_exp_f32_e32 v93, v93
	v_cmp_ngt_f32_e32 vcc, s18, v90
	v_ldexp_f32 v93, v93, v94
	v_cndmask_b32_e32 v93, 0, v93, vcc
	v_cmp_nlt_f32_e32 vcc, s19, v90
	v_cndmask_b32_e32 v90, v54, v93, vcc
	v_add_f32_e32 v90, 1.0, v90
	v_rcp_f32_e32 v90, v90
	v_fma_f32 v90, v90, -2.0, 1.0
.LBB71_55:                              ;   in Loop: Header=BB71_9 Depth=1
	s_andn2_saveexec_b64 s[10:11], s[10:11]
; %bb.56:                               ;   in Loop: Header=BB71_9 Depth=1
	v_mul_f32_e32 v90, v66, v66
	v_mov_b32_e32 v93, 0x3ca908c9
	v_fmac_f32_e32 v93, 0xbbbac73d, v90
	v_fma_f32 v93, v90, v93, v50
	v_fma_f32 v93, v90, v93, v51
	;; [unrolled: 1-line block ×3, first 2 shown]
	v_mul_f32_e64 v93, |v66|, v93
	v_fma_f32 v90, v90, v93, |v66|
; %bb.57:                               ;   in Loop: Header=BB71_9 Depth=1
	s_or_b64 exec, exec, s[10:11]
	v_bfi_b32 v41, s24, v45, v41
	v_fma_f32 v45, s0, v41, v2
	v_bfi_b32 v41, s24, v90, v66
	v_fma_f32 v41, s0, v41, v3
	v_add_f32_e32 v93, 0x40051340, v45
	v_add_f32_e32 v66, 0x40051340, v41
	v_max3_f32 v66, v35, v93, v66
	ds_bpermute_b32 v90, v83, v66
	v_cmp_nlt_f32_e64 s[10:11], |v64|, s12
                                        ; implicit-def: $vgpr93
	s_waitcnt lgkmcnt(0)
	v_max_f32_e32 v90, v90, v90
	v_max_f32_e32 v66, v66, v90
	ds_bpermute_b32 v90, v84, v66
	s_waitcnt lgkmcnt(0)
	v_max_f32_e32 v90, v90, v90
	v_max_f32_e32 v66, v66, v90
	ds_bpermute_b32 v90, v82, v66
	s_waitcnt lgkmcnt(0)
	v_max_f32_e32 v90, v90, v90
	v_max_f32_e32 v66, v66, v90
	ds_bpermute_b32 v90, v81, v66
	s_waitcnt lgkmcnt(0)
	v_max_f32_e32 v90, v90, v90
	v_max_f32_e32 v66, v66, v90
	ds_bpermute_b32 v90, v80, v66
	s_and_saveexec_b64 s[26:27], s[10:11]
	s_xor_b64 s[10:11], exec, s[26:27]
	s_cbranch_execz .LBB71_59
; %bb.58:                               ;   in Loop: Header=BB71_9 Depth=1
	v_add_f32_e64 v93, |v64|, |v64|
	v_mul_f32_e32 v94, 0x3fb8aa3b, v93
	v_rndne_f32_e32 v95, v94
	v_sub_f32_e32 v96, v94, v95
	v_fma_f32 v94, v93, s13, -v94
	v_fmac_f32_e32 v94, 0x32a5705f, v93
	v_add_f32_e32 v94, v96, v94
	v_cvt_i32_f32_e32 v95, v95
	v_exp_f32_e32 v94, v94
	v_cmp_ngt_f32_e32 vcc, s18, v93
	v_ldexp_f32 v94, v94, v95
	v_cndmask_b32_e32 v94, 0, v94, vcc
	v_cmp_nlt_f32_e32 vcc, s19, v93
	v_cndmask_b32_e32 v93, v54, v94, vcc
	v_add_f32_e32 v93, 1.0, v93
	v_rcp_f32_e32 v93, v93
	v_fma_f32 v93, v93, -2.0, 1.0
.LBB71_59:                              ;   in Loop: Header=BB71_9 Depth=1
	s_andn2_saveexec_b64 s[10:11], s[10:11]
; %bb.60:                               ;   in Loop: Header=BB71_9 Depth=1
	v_mul_f32_e32 v93, v64, v64
	v_mov_b32_e32 v94, 0x3ca908c9
	v_fmac_f32_e32 v94, 0xbbbac73d, v93
	v_fma_f32 v94, v93, v94, v50
	v_fma_f32 v94, v93, v94, v51
	;; [unrolled: 1-line block ×3, first 2 shown]
	v_mul_f32_e64 v94, |v64|, v94
	v_fma_f32 v93, v93, v94, |v64|
; %bb.61:                               ;   in Loop: Header=BB71_9 Depth=1
	s_or_b64 exec, exec, s[10:11]
	v_cmp_nlt_f32_e64 s[10:11], |v65|, s12
                                        ; implicit-def: $vgpr94
	s_and_saveexec_b64 s[26:27], s[10:11]
	s_xor_b64 s[10:11], exec, s[26:27]
	s_cbranch_execz .LBB71_63
; %bb.62:                               ;   in Loop: Header=BB71_9 Depth=1
	v_add_f32_e64 v94, |v65|, |v65|
	v_mul_f32_e32 v95, 0x3fb8aa3b, v94
	v_rndne_f32_e32 v96, v95
	v_sub_f32_e32 v97, v95, v96
	v_fma_f32 v95, v94, s13, -v95
	v_fmac_f32_e32 v95, 0x32a5705f, v94
	v_add_f32_e32 v95, v97, v95
	v_cvt_i32_f32_e32 v96, v96
	v_exp_f32_e32 v95, v95
	v_cmp_ngt_f32_e32 vcc, s18, v94
	v_ldexp_f32 v95, v95, v96
	v_cndmask_b32_e32 v95, 0, v95, vcc
	v_cmp_nlt_f32_e32 vcc, s19, v94
	v_cndmask_b32_e32 v94, v54, v95, vcc
	v_add_f32_e32 v94, 1.0, v94
	v_rcp_f32_e32 v94, v94
	v_fma_f32 v94, v94, -2.0, 1.0
.LBB71_63:                              ;   in Loop: Header=BB71_9 Depth=1
	s_andn2_saveexec_b64 s[10:11], s[10:11]
; %bb.64:                               ;   in Loop: Header=BB71_9 Depth=1
	v_mul_f32_e32 v94, v65, v65
	v_mov_b32_e32 v95, 0x3ca908c9
	v_fmac_f32_e32 v95, 0xbbbac73d, v94
	v_fma_f32 v95, v94, v95, v50
	v_fma_f32 v95, v94, v95, v51
	;; [unrolled: 1-line block ×3, first 2 shown]
	v_mul_f32_e64 v95, |v65|, v95
	v_fma_f32 v94, v94, v95, |v65|
; %bb.65:                               ;   in Loop: Header=BB71_9 Depth=1
	s_or_b64 exec, exec, s[10:11]
	v_bfi_b32 v64, s24, v93, v64
	v_fma_f32 v93, s0, v64, v2
	v_bfi_b32 v64, s24, v94, v65
	v_fma_f32 v64, s0, v64, v3
	v_add_f32_e32 v95, 0x40051340, v93
	v_add_f32_e32 v65, 0x40051340, v64
	v_max3_f32 v65, v0, v95, v65
	ds_bpermute_b32 v94, v83, v65
	v_cmp_nlt_f32_e64 s[10:11], |v6|, s12
                                        ; implicit-def: $vgpr95
	s_waitcnt lgkmcnt(0)
	v_max_f32_e32 v94, v94, v94
	v_max_f32_e32 v65, v65, v94
	ds_bpermute_b32 v94, v84, v65
	s_waitcnt lgkmcnt(0)
	v_max_f32_e32 v94, v94, v94
	v_max_f32_e32 v65, v65, v94
	ds_bpermute_b32 v94, v82, v65
	;; [unrolled: 4-line block ×4, first 2 shown]
	s_and_saveexec_b64 s[26:27], s[10:11]
	s_xor_b64 s[10:11], exec, s[26:27]
	s_cbranch_execz .LBB71_67
; %bb.66:                               ;   in Loop: Header=BB71_9 Depth=1
	v_add_f32_e64 v95, |v6|, |v6|
	v_mul_f32_e32 v96, 0x3fb8aa3b, v95
	v_rndne_f32_e32 v97, v96
	v_sub_f32_e32 v98, v96, v97
	v_fma_f32 v96, v95, s13, -v96
	v_fmac_f32_e32 v96, 0x32a5705f, v95
	v_add_f32_e32 v96, v98, v96
	v_cvt_i32_f32_e32 v97, v97
	v_exp_f32_e32 v96, v96
	v_cmp_ngt_f32_e32 vcc, s18, v95
	v_ldexp_f32 v96, v96, v97
	v_cndmask_b32_e32 v96, 0, v96, vcc
	v_cmp_nlt_f32_e32 vcc, s19, v95
	v_cndmask_b32_e32 v95, v54, v96, vcc
	v_add_f32_e32 v95, 1.0, v95
	v_rcp_f32_e32 v95, v95
	v_fma_f32 v95, v95, -2.0, 1.0
.LBB71_67:                              ;   in Loop: Header=BB71_9 Depth=1
	s_andn2_saveexec_b64 s[10:11], s[10:11]
; %bb.68:                               ;   in Loop: Header=BB71_9 Depth=1
	v_mul_f32_e32 v95, v6, v6
	v_mov_b32_e32 v96, 0x3ca908c9
	v_fmac_f32_e32 v96, 0xbbbac73d, v95
	v_fma_f32 v96, v95, v96, v50
	v_fma_f32 v96, v95, v96, v51
	;; [unrolled: 1-line block ×3, first 2 shown]
	v_mul_f32_e64 v96, |v6|, v96
	v_fma_f32 v95, v95, v96, |v6|
; %bb.69:                               ;   in Loop: Header=BB71_9 Depth=1
	s_or_b64 exec, exec, s[10:11]
	v_cmp_nlt_f32_e64 s[10:11], |v7|, s12
                                        ; implicit-def: $vgpr96
	s_and_saveexec_b64 s[26:27], s[10:11]
	s_xor_b64 s[10:11], exec, s[26:27]
	s_cbranch_execz .LBB71_71
; %bb.70:                               ;   in Loop: Header=BB71_9 Depth=1
	v_add_f32_e64 v96, |v7|, |v7|
	v_mul_f32_e32 v97, 0x3fb8aa3b, v96
	v_rndne_f32_e32 v98, v97
	v_sub_f32_e32 v99, v97, v98
	v_fma_f32 v97, v96, s13, -v97
	v_fmac_f32_e32 v97, 0x32a5705f, v96
	v_add_f32_e32 v97, v99, v97
	v_cvt_i32_f32_e32 v98, v98
	v_exp_f32_e32 v97, v97
	v_cmp_ngt_f32_e32 vcc, s18, v96
	v_ldexp_f32 v97, v97, v98
	v_cndmask_b32_e32 v97, 0, v97, vcc
	v_cmp_nlt_f32_e32 vcc, s19, v96
	v_cndmask_b32_e32 v96, v54, v97, vcc
	v_add_f32_e32 v96, 1.0, v96
	v_rcp_f32_e32 v96, v96
	v_fma_f32 v96, v96, -2.0, 1.0
.LBB71_71:                              ;   in Loop: Header=BB71_9 Depth=1
	s_andn2_saveexec_b64 s[10:11], s[10:11]
; %bb.72:                               ;   in Loop: Header=BB71_9 Depth=1
	v_mul_f32_e32 v96, v7, v7
	v_mov_b32_e32 v97, 0x3ca908c9
	v_fmac_f32_e32 v97, 0xbbbac73d, v96
	v_fma_f32 v97, v96, v97, v50
	v_fma_f32 v97, v96, v97, v51
	;; [unrolled: 1-line block ×3, first 2 shown]
	v_mul_f32_e64 v97, |v7|, v97
	v_fma_f32 v96, v96, v97, |v7|
; %bb.73:                               ;   in Loop: Header=BB71_9 Depth=1
	s_or_b64 exec, exec, s[10:11]
	v_bfi_b32 v7, s24, v96, v7
	v_bfi_b32 v6, s24, v95, v6
	v_pk_fma_f32 v[2:3], v[6:7], s[0:1], v[2:3]
	v_add_f32_e32 v6, 0x40051340, v2
	v_add_f32_e32 v7, 0x40051340, v3
	v_max3_f32 v6, v1, v6, v7
	ds_bpermute_b32 v7, v83, v6
	v_max_f32_e32 v65, v65, v65
	v_max_f32_e32 v76, v76, v76
	s_mul_hi_i32 s11, s6, s14
	s_mul_i32 s10, s6, s14
	s_waitcnt lgkmcnt(0)
	v_max_f32_e32 v7, v7, v7
	v_max_f32_e32 v7, v6, v7
	ds_bpermute_b32 v83, v84, v7
	v_max_f32_e32 v6, v94, v94
	v_max_f32_e32 v6, v65, v6
	v_sub_f32_e32 v65, v93, v6
	v_cmp_ngt_f32_e32 vcc, s18, v65
	s_waitcnt lgkmcnt(0)
	v_max_f32_e32 v83, v83, v83
	v_max_f32_e32 v7, v7, v83
	ds_bpermute_b32 v82, v82, v7
	v_mul_f32_e32 v83, 0x3fb8aa3b, v65
	v_fma_f32 v84, v65, s13, -v83
	v_rndne_f32_e32 v93, v83
	v_fmac_f32_e32 v84, 0x32a5705f, v65
	s_waitcnt lgkmcnt(0)
	v_max_f32_e32 v82, v82, v82
	v_max_f32_e32 v7, v7, v82
	ds_bpermute_b32 v81, v81, v7
	v_sub_f32_e32 v82, v83, v93
	v_add_f32_e32 v82, v82, v84
	v_cvt_i32_f32_e32 v83, v93
	v_exp_f32_e32 v82, v82
	s_waitcnt lgkmcnt(0)
	v_max_f32_e32 v81, v81, v81
	v_max_f32_e32 v7, v7, v81
	ds_bpermute_b32 v80, v80, v7
	v_ldexp_f32 v81, v82, v83
	v_cndmask_b32_e32 v81, 0, v81, vcc
	v_cmp_nlt_f32_e32 vcc, s19, v65
	s_lshl_b64 s[10:11], s[10:11], 2
	s_waitcnt lgkmcnt(0)
	v_max_f32_e32 v80, v80, v80
	v_max_f32_e32 v7, v7, v80
	v_sub_f32_e32 v80, v64, v6
	v_mul_f32_e32 v64, 0x3fb8aa3b, v80
	v_fma_f32 v82, v80, s13, -v64
	v_rndne_f32_e32 v83, v64
	v_fmac_f32_e32 v82, 0x32a5705f, v80
	v_sub_f32_e32 v64, v64, v83
	v_add_f32_e32 v64, v64, v82
	v_exp_f32_e32 v84, v64
	v_cvt_i32_f32_e32 v83, v83
	v_cndmask_b32_e32 v82, v54, v81, vcc
	v_cmp_ngt_f32_e32 vcc, s18, v80
	v_pk_add_f32 v[0:1], v[0:1], v[6:7] neg_lo:[0,1] neg_hi:[0,1]
	v_ldexp_f32 v65, v84, v83
	v_cndmask_b32_e32 v65, 0, v65, vcc
	v_cmp_nlt_f32_e32 vcc, s19, v80
	v_mul_f32_e32 v80, 0x3fb8aa3b, v1
	v_fma_f32 v81, v1, s13, -v80
	v_rndne_f32_e32 v83, v80
	v_fmac_f32_e32 v81, 0x32a5705f, v1
	v_sub_f32_e32 v80, v80, v83
	v_add_f32_e32 v80, v80, v81
	v_cvt_i32_f32_e32 v81, v83
	v_mul_f32_e32 v83, 0x3fb8aa3b, v0
	v_fma_f32 v84, v0, s13, -v83
	v_rndne_f32_e32 v93, v83
	v_fmac_f32_e32 v84, 0x32a5705f, v0
	v_sub_f32_e32 v83, v83, v93
	v_exp_f32_e32 v80, v80
	v_add_f32_e32 v83, v83, v84
	v_exp_f32_e32 v83, v83
	v_cvt_i32_f32_e32 v84, v93
	v_cndmask_b32_e32 v94, v54, v65, vcc
	v_ldexp_f32 v80, v80, v81
	v_cmp_ngt_f32_e32 vcc, s18, v1
	v_cndmask_b32_e32 v81, 0, v80, vcc
	v_ldexp_f32 v80, v83, v84
	v_cmp_ngt_f32_e32 vcc, s18, v0
	v_cndmask_b32_e32 v80, 0, v80, vcc
	v_cmp_nlt_f32_e32 vcc, s19, v0
	v_cndmask_b32_e32 v0, v54, v80, vcc
	v_mov_b32_e32 v80, v7
	v_pk_add_f32 v[2:3], v[2:3], v[80:81] op_sel_hi:[1,0] neg_lo:[0,1] neg_hi:[0,1]
	v_mul_f32_e32 v80, 0x3fb8aa3b, v3
	v_fma_f32 v84, v3, s13, -v80
	v_rndne_f32_e32 v93, v80
	v_fmac_f32_e32 v84, 0x32a5705f, v3
	v_sub_f32_e32 v80, v80, v93
	v_add_f32_e32 v80, v80, v84
	v_cvt_f16_f32_e32 v83, v0
	v_exp_f32_e32 v80, v80
	v_cvt_i32_f32_e32 v84, v93
	v_cmp_nlt_f32_e32 vcc, s19, v1
	v_cndmask_b32_e32 v1, v54, v81, vcc
	v_mul_f32_e32 v81, 0x3fb8aa3b, v2
	v_pk_mul_f16 v61, v83, v61 op_sel_hi:[0,1]
	v_pk_mul_f16 v26, v83, v26 op_sel_hi:[0,1]
	v_ldexp_f32 v80, v80, v84
	v_fma_f32 v83, v2, s13, -v81
	v_rndne_f32_e32 v84, v81
	v_fmac_f32_e32 v83, 0x32a5705f, v2
	v_sub_f32_e32 v81, v81, v84
	v_add_f32_e32 v81, v81, v83
	v_exp_f32_e32 v81, v81
	v_cvt_i32_f32_e32 v83, v84
	v_cmp_ngt_f32_e32 vcc, s18, v3
	v_cndmask_b32_e32 v80, 0, v80, vcc
	v_cmp_nlt_f32_e32 vcc, s19, v3
	v_cndmask_b32_e32 v95, v54, v80, vcc
	v_ldexp_f32 v3, v81, v83
	v_cmp_ngt_f32_e32 vcc, s18, v2
	v_cndmask_b32_e32 v3, 0, v3, vcc
	v_cmp_nlt_f32_e32 vcc, s19, v2
	v_cndmask_b32_e32 v83, v54, v3, vcc
	v_pk_add_f32 v[2:3], v[82:83], v[94:95]
	v_cvt_f16_f32_e32 v84, v1
	v_pk_fma_f32 v[8:9], v[8:9], v[0:1], v[2:3]
	v_max_f32_e32 v0, v88, v88
	v_max_f32_e32 v1, v87, v87
	;; [unrolled: 1-line block ×11, first 2 shown]
	v_sub_f32_e32 v76, v86, v2
	v_mul_f32_e32 v77, 0x3fb8aa3b, v76
	v_fma_f32 v78, v76, s13, -v77
	v_rndne_f32_e32 v79, v77
	v_fmac_f32_e32 v78, 0x32a5705f, v76
	v_sub_f32_e32 v77, v77, v79
	v_add_f32_e32 v77, v77, v78
	v_exp_f32_e32 v77, v77
	v_cvt_i32_f32_e32 v78, v79
	v_sub_f32_e32 v79, v89, v3
	v_cvt_f16_f32_e32 v64, v82
	v_cvt_f16_f32_e32 v80, v83
	v_ldexp_f32 v77, v77, v78
	v_mul_f32_e32 v78, 0x3fb8aa3b, v79
	v_fma_f32 v82, v79, s13, -v78
	v_rndne_f32_e32 v83, v78
	v_fmac_f32_e32 v82, 0x32a5705f, v79
	v_sub_f32_e32 v78, v78, v83
	v_add_f32_e32 v78, v78, v82
	v_exp_f32_e32 v78, v78
	v_cvt_i32_f32_e32 v82, v83
	v_cmp_ngt_f32_e32 vcc, s18, v76
	v_sub_f32_e32 v68, v68, v1
	v_cndmask_b32_e32 v77, 0, v77, vcc
	v_cmp_nlt_f32_e32 vcc, s19, v76
	v_cndmask_b32_e32 v76, v54, v77, vcc
	v_ldexp_f32 v77, v78, v82
	v_mul_f32_e32 v78, 0x3fb8aa3b, v68
	v_fma_f32 v82, v68, s13, -v78
	v_rndne_f32_e32 v83, v78
	v_fmac_f32_e32 v82, 0x32a5705f, v68
	v_sub_f32_e32 v78, v78, v83
	v_add_f32_e32 v78, v78, v82
	v_exp_f32_e32 v78, v78
	v_cvt_i32_f32_e32 v82, v83
	v_sub_f32_e32 v75, v75, v0
	v_cmp_ngt_f32_e32 vcc, s18, v79
	v_cndmask_b32_e32 v77, 0, v77, vcc
	v_cmp_nlt_f32_e32 vcc, s19, v79
	v_mul_f32_e32 v79, 0x3fb8aa3b, v75
	v_ldexp_f32 v78, v78, v82
	v_fma_f32 v82, v75, s13, -v79
	v_rndne_f32_e32 v83, v79
	v_fmac_f32_e32 v82, 0x32a5705f, v75
	v_sub_f32_e32 v79, v79, v83
	v_add_f32_e32 v79, v79, v82
	v_exp_f32_e32 v82, v79
	v_cvt_i32_f32_e32 v83, v83
	v_cndmask_b32_e32 v77, v54, v77, vcc
	v_cmp_ngt_f32_e32 vcc, s18, v68
	v_cndmask_b32_e32 v78, 0, v78, vcc
	v_cmp_nlt_f32_e32 vcc, s19, v68
	v_pk_add_f32 v[4:5], v[4:5], v[0:1] neg_lo:[0,1] neg_hi:[0,1]
	v_cndmask_b32_e32 v79, v54, v78, vcc
	v_mul_f32_e32 v78, 0x3fb8aa3b, v5
	v_ldexp_f32 v68, v82, v83
	v_fma_f32 v82, v5, s13, -v78
	v_rndne_f32_e32 v83, v78
	v_fmac_f32_e32 v82, 0x32a5705f, v5
	v_sub_f32_e32 v78, v78, v83
	v_add_f32_e32 v78, v78, v82
	v_exp_f32_e32 v82, v78
	v_cvt_i32_f32_e32 v83, v83
	v_cmp_ngt_f32_e32 vcc, s18, v75
	v_cndmask_b32_e32 v68, 0, v68, vcc
	v_cmp_nlt_f32_e32 vcc, s19, v75
	v_mul_f32_e32 v75, 0x3fb8aa3b, v4
	v_cndmask_b32_e32 v78, v54, v68, vcc
	v_ldexp_f32 v68, v82, v83
	v_fma_f32 v82, v4, s13, -v75
	v_rndne_f32_e32 v83, v75
	v_fmac_f32_e32 v82, 0x32a5705f, v4
	v_sub_f32_e32 v75, v75, v83
	v_add_f32_e32 v75, v75, v82
	v_exp_f32_e32 v75, v75
	v_cvt_i32_f32_e32 v82, v83
	v_cmp_ngt_f32_e32 vcc, s18, v5
	v_cndmask_b32_e32 v68, 0, v68, vcc
	v_cmp_nlt_f32_e32 vcc, s19, v5
	v_cndmask_b32_e32 v5, v54, v68, vcc
	v_ldexp_f32 v68, v75, v82
	v_cmp_ngt_f32_e32 vcc, s18, v4
	v_cndmask_b32_e32 v68, 0, v68, vcc
	v_cmp_nlt_f32_e32 vcc, s19, v4
	v_cndmask_b32_e32 v4, v54, v68, vcc
	v_pk_add_f32 v[38:39], v[38:39], v[0:1] neg_lo:[0,1] neg_hi:[0,1]
	v_cvt_f16_f32_e32 v68, v4
	v_pk_add_f32 v[82:83], v[78:79], v[4:5]
	v_mul_f32_e32 v4, 0x3fb8aa3b, v39
	v_pk_mul_f16 v58, v84, v58 op_sel_hi:[0,1]
	v_pk_mul_f16 v57, v84, v57 op_sel_hi:[0,1]
	v_fma_f32 v75, v39, s13, -v4
	v_rndne_f32_e32 v84, v4
	v_fmac_f32_e32 v75, 0x32a5705f, v39
	v_sub_f32_e32 v4, v4, v84
	v_add_f32_e32 v4, v4, v75
	v_cvt_i32_f32_e32 v75, v84
	v_mul_f32_e32 v84, 0x3fb8aa3b, v38
	v_fma_f32 v86, v38, s13, -v84
	v_rndne_f32_e32 v87, v84
	v_fmac_f32_e32 v86, 0x32a5705f, v38
	v_sub_f32_e32 v84, v84, v87
	v_exp_f32_e32 v4, v4
	v_add_f32_e32 v84, v84, v86
	v_exp_f32_e32 v84, v84
	v_cvt_i32_f32_e32 v86, v87
	v_ldexp_f32 v4, v4, v75
	v_cmp_ngt_f32_e32 vcc, s18, v39
	v_cndmask_b32_e32 v4, 0, v4, vcc
	v_ldexp_f32 v75, v84, v86
	v_cmp_ngt_f32_e32 vcc, s18, v38
	v_cndmask_b32_e32 v75, 0, v75, vcc
	v_cmp_nlt_f32_e32 vcc, s19, v38
	v_cndmask_b32_e32 v38, v54, v75, vcc
	v_cmp_nlt_f32_e32 vcc, s19, v39
	v_cndmask_b32_e32 v39, v54, v4, vcc
	v_cvt_f16_f32_e32 v75, v38
	v_cvt_f16_f32_e32 v4, v39
	v_pk_fma_f32 v[12:13], v[12:13], v[38:39], v[82:83]
	v_cvt_f16_f32_e32 v83, v76
	v_pk_mul_f16 v82, v75, v63 op_sel_hi:[0,1]
	v_pk_mul_f16 v32, v75, v32 op_sel_hi:[0,1]
	v_cvt_f16_f32_e32 v63, v5
	v_pk_mul_f16 v75, v4, v62 op_sel_hi:[0,1]
	v_pk_mul_f16 v30, v4, v30 op_sel_hi:[0,1]
	v_pk_add_f32 v[4:5], v[42:43], v[2:3] neg_lo:[0,1] neg_hi:[0,1]
	v_mul_f32_e32 v38, 0x3fb8aa3b, v5
	v_fma_f32 v39, v5, s13, -v38
	v_rndne_f32_e32 v42, v38
	v_fmac_f32_e32 v39, 0x32a5705f, v5
	v_sub_f32_e32 v38, v38, v42
	v_add_f32_e32 v38, v38, v39
	v_exp_f32_e32 v38, v38
	v_cvt_i32_f32_e32 v39, v42
	v_cmp_ngt_f32_e32 vcc, s18, v5
	v_cvt_f16_f32_e32 v62, v79
	v_cvt_f16_f32_e32 v79, v77
	v_ldexp_f32 v38, v38, v39
	v_mul_f32_e32 v39, 0x3fb8aa3b, v4
	v_fma_f32 v42, v4, s13, -v39
	v_rndne_f32_e32 v43, v39
	v_fmac_f32_e32 v42, 0x32a5705f, v4
	v_sub_f32_e32 v39, v39, v43
	v_add_f32_e32 v39, v39, v42
	v_exp_f32_e32 v42, v39
	v_cvt_i32_f32_e32 v43, v43
	v_cndmask_b32_e32 v38, 0, v38, vcc
	v_cmp_nlt_f32_e32 vcc, s19, v5
	v_cndmask_b32_e32 v39, v54, v38, vcc
	v_ldexp_f32 v5, v42, v43
	v_cmp_ngt_f32_e32 vcc, s18, v4
	v_cndmask_b32_e32 v5, 0, v5, vcc
	v_cmp_nlt_f32_e32 vcc, s19, v4
	v_cndmask_b32_e32 v38, v54, v5, vcc
	v_pk_add_f32 v[4:5], v[36:37], v[2:3] neg_lo:[0,1] neg_hi:[0,1]
	v_cvt_f16_f32_e32 v84, v38
	v_pk_add_f32 v[36:37], v[76:77], v[38:39]
	v_mul_f32_e32 v38, 0x3fb8aa3b, v5
	v_fma_f32 v42, v5, s13, -v38
	v_rndne_f32_e32 v43, v38
	v_fmac_f32_e32 v42, 0x32a5705f, v5
	v_sub_f32_e32 v38, v38, v43
	v_add_f32_e32 v38, v38, v42
	v_cvt_i32_f32_e32 v42, v43
	v_mul_f32_e32 v43, 0x3fb8aa3b, v4
	v_fma_f32 v76, v4, s13, -v43
	v_rndne_f32_e32 v77, v43
	v_fmac_f32_e32 v76, 0x32a5705f, v4
	v_sub_f32_e32 v43, v43, v77
	v_exp_f32_e32 v38, v38
	v_add_f32_e32 v43, v43, v76
	v_exp_f32_e32 v43, v43
	v_cvt_i32_f32_e32 v76, v77
	v_ldexp_f32 v38, v38, v42
	v_cmp_ngt_f32_e32 vcc, s18, v5
	v_cndmask_b32_e32 v38, 0, v38, vcc
	v_ldexp_f32 v42, v43, v76
	v_cmp_ngt_f32_e32 vcc, s18, v4
	v_cndmask_b32_e32 v42, 0, v42, vcc
	v_cmp_nlt_f32_e32 vcc, s19, v4
	v_cndmask_b32_e32 v4, v54, v42, vcc
	v_cmp_nlt_f32_e32 vcc, s19, v5
	v_cvt_f16_f32_e32 v42, v4
	v_cndmask_b32_e32 v5, v54, v38, vcc
	v_pk_fma_f32 v[14:15], v[14:15], v[4:5], v[36:37]
	v_cvt_f16_f32_e32 v36, v5
	v_max_f32_e32 v4, v90, v90
	v_max_f32_e32 v5, v66, v66
	;; [unrolled: 1-line block ×6, first 2 shown]
	v_pk_mul_f16 v60, v42, v60 op_sel_hi:[0,1]
	v_pk_mul_f16 v28, v42, v28 op_sel_hi:[0,1]
	v_pk_add_f32 v[42:43], v[44:45], v[4:5] neg_lo:[0,1] neg_hi:[0,1]
	v_mul_f32_e32 v37, 0x3fb8aa3b, v43
	v_fma_f32 v38, v43, s13, -v37
	v_rndne_f32_e32 v44, v37
	v_fmac_f32_e32 v38, 0x32a5705f, v43
	v_sub_f32_e32 v37, v37, v44
	v_add_f32_e32 v37, v37, v38
	v_exp_f32_e32 v37, v37
	v_cvt_i32_f32_e32 v38, v44
	v_pk_mul_f16 v59, v36, v59 op_sel_hi:[0,1]
	v_pk_mul_f16 v24, v36, v24 op_sel_hi:[0,1]
	v_cvt_f16_f32_e32 v44, v39
	v_ldexp_f32 v36, v37, v38
	v_mul_f32_e32 v37, 0x3fb8aa3b, v42
	v_fma_f32 v38, v42, s13, -v37
	v_rndne_f32_e32 v39, v37
	v_fmac_f32_e32 v38, 0x32a5705f, v42
	v_sub_f32_e32 v37, v37, v39
	v_add_f32_e32 v37, v37, v38
	v_exp_f32_e32 v37, v37
	v_cvt_i32_f32_e32 v38, v39
	v_cmp_ngt_f32_e32 vcc, s18, v43
	v_cndmask_b32_e32 v36, 0, v36, vcc
	v_cmp_nlt_f32_e32 vcc, s19, v43
	v_cndmask_b32_e32 v43, v54, v36, vcc
	v_ldexp_f32 v45, v37, v38
	v_mov_b32_e32 v37, s11
	v_add_co_u32_e32 v36, vcc, s10, v47
	v_addc_co_u32_e32 v37, vcc, v48, v37, vcc
	s_barrier
	global_load_dwordx4 v[36:39], v[36:37], off
	v_pk_add_f32 v[40:41], v[40:41], v[4:5] neg_lo:[0,1] neg_hi:[0,1]
	v_mul_f32_e32 v66, 0x3fb8aa3b, v41
	v_fma_f32 v67, v41, s13, -v66
	v_rndne_f32_e32 v76, v66
	v_fmac_f32_e32 v67, 0x32a5705f, v41
	v_sub_f32_e32 v66, v66, v76
	v_add_f32_e32 v66, v66, v67
	v_exp_f32_e32 v66, v66
	v_cvt_i32_f32_e32 v67, v76
	v_cmp_ngt_f32_e32 vcc, s18, v42
	v_cndmask_b32_e32 v45, 0, v45, vcc
	v_cmp_nlt_f32_e32 vcc, s19, v42
	v_ldexp_f32 v66, v66, v67
	v_mul_f32_e32 v67, 0x3fb8aa3b, v40
	v_fma_f32 v77, v40, s13, -v67
	v_rndne_f32_e32 v85, v67
	v_fmac_f32_e32 v77, 0x32a5705f, v40
	v_sub_f32_e32 v67, v67, v85
	v_add_f32_e32 v67, v67, v77
	v_exp_f32_e32 v67, v67
	v_cvt_i32_f32_e32 v77, v85
	v_cndmask_b32_e32 v42, v54, v45, vcc
	v_cmp_ngt_f32_e32 vcc, s18, v41
	v_cndmask_b32_e32 v66, 0, v66, vcc
	v_cmp_nlt_f32_e32 vcc, s19, v41
	v_pk_add_f32 v[34:35], v[34:35], v[4:5] neg_lo:[0,1] neg_hi:[0,1]
	v_cndmask_b32_e32 v41, v54, v66, vcc
	v_ldexp_f32 v66, v67, v77
	v_mul_f32_e32 v67, 0x3fb8aa3b, v35
	v_fma_f32 v77, v35, s13, -v67
	v_rndne_f32_e32 v85, v67
	v_fmac_f32_e32 v77, 0x32a5705f, v35
	v_sub_f32_e32 v67, v67, v85
	v_add_f32_e32 v67, v67, v77
	v_cvt_i32_f32_e32 v77, v85
	v_mul_f32_e32 v85, 0x3fb8aa3b, v34
	v_fma_f32 v86, v34, s13, -v85
	v_rndne_f32_e32 v87, v85
	v_fmac_f32_e32 v86, 0x32a5705f, v34
	v_sub_f32_e32 v85, v85, v87
	v_add_f32_e32 v85, v85, v86
	v_exp_f32_e32 v67, v67
	v_exp_f32_e32 v85, v85
	v_cvt_i32_f32_e32 v86, v87
	v_cmp_ngt_f32_e32 vcc, s18, v40
	v_cndmask_b32_e32 v66, 0, v66, vcc
	v_cmp_nlt_f32_e32 vcc, s19, v40
	v_cndmask_b32_e32 v40, v54, v66, vcc
	v_ldexp_f32 v67, v67, v77
	v_ldexp_f32 v77, v85, v86
	v_cmp_ngt_f32_e32 vcc, s18, v34
	v_cndmask_b32_e32 v77, 0, v77, vcc
	v_cmp_nlt_f32_e32 vcc, s19, v34
	v_cndmask_b32_e32 v34, v54, v77, vcc
	v_cvt_f16_f32_e32 v77, v34
	v_cvt_f16_f32_e32 v78, v78
	;; [unrolled: 1-line block ×7, first 2 shown]
	v_cmp_ngt_f32_e32 vcc, s18, v35
	v_pk_mul_f16 v56, v77, v56 op_sel_hi:[0,1]
	v_pk_mul_f16 v22, v77, v22 op_sel_hi:[0,1]
	v_cvt_f16_f32_e32 v77, v41
	v_cndmask_b32_e32 v67, 0, v67, vcc
	v_cmp_nlt_f32_e32 vcc, s19, v35
	v_cndmask_b32_e32 v35, v54, v67, vcc
	v_pk_add_f32 v[42:43], v[42:43], v[40:41]
	v_pk_fma_f32 v[10:11], v[10:11], v[34:35], v[42:43]
	v_pack_b32_f16 v43, v64, v80
	v_pack_b32_f16 v42, v76, v45
	;; [unrolled: 1-line block ×4, first 2 shown]
	ds_write_b128 v53, v[40:43]
	v_pack_b32_f16 v43, v65, v81
	v_pack_b32_f16 v42, v66, v77
	;; [unrolled: 1-line block ×4, first 2 shown]
	v_cvt_f16_f32_e32 v67, v35
	ds_write_b128 v53, v[40:43] offset:512
	s_waitcnt vmcnt(0)
	ds_write_b128 v46, v[36:39]
	s_waitcnt lgkmcnt(0)
	s_barrier
	ds_read2_b64 v[34:37], v49 offset1:32
	ds_read_b128 v[38:41], v33
	v_pk_mul_f16 v55, v67, v55 op_sel_hi:[0,1]
	v_pk_mul_f16 v20, v67, v20 op_sel_hi:[0,1]
	ds_read_b128 v[42:45], v33 offset:16
	ds_read_b128 v[62:65], v33 offset:32
	;; [unrolled: 1-line block ×3, first 2 shown]
	s_or_b32 s10, s6, 16
	s_waitcnt lgkmcnt(3)
	v_pk_fma_f16 v66, v34, v38, v82 op_sel_hi:[1,0,1]
	v_pk_fma_f16 v67, v34, v38, v75 op_sel:[0,1,0]
	v_pk_fma_f16 v60, v34, v39, v60 op_sel_hi:[1,0,1]
	v_pk_fma_f16 v59, v34, v39, v59 op_sel:[0,1,0]
	;; [unrolled: 2-line block ×8, first 2 shown]
	ds_read2_b64 v[38:41], v49 offset0:64 offset1:96
	s_waitcnt lgkmcnt(3)
	v_pk_fma_f16 v57, v36, v42, v66 op_sel_hi:[1,0,1]
	v_pk_fma_f16 v58, v36, v42, v67 op_sel:[0,1,0]
	v_pk_fma_f16 v60, v36, v43, v60 op_sel_hi:[1,0,1]
	v_pk_fma_f16 v59, v36, v43, v59 op_sel:[0,1,0]
	;; [unrolled: 2-line block ×3, first 2 shown]
	v_pk_fma_f16 v34, v36, v45, v34 op_sel:[0,1,0]
	v_pk_fma_f16 v61, v36, v45, v61 op_sel_hi:[1,0,1]
	v_pk_fma_f16 v32, v37, v42, v32 op_sel_hi:[1,0,1]
	v_pk_fma_f16 v30, v37, v42, v30 op_sel:[0,1,0]
	v_pk_fma_f16 v28, v37, v43, v28 op_sel_hi:[1,0,1]
	v_pk_fma_f16 v24, v37, v43, v24 op_sel:[0,1,0]
	;; [unrolled: 2-line block ×4, first 2 shown]
	s_waitcnt lgkmcnt(0)
	v_pk_fma_f16 v36, v38, v62, v57 op_sel_hi:[1,0,1]
	v_pk_fma_f16 v37, v38, v62, v58 op_sel:[0,1,0]
	v_pk_fma_f16 v42, v38, v63, v60 op_sel_hi:[1,0,1]
	v_pk_fma_f16 v43, v38, v63, v59 op_sel:[0,1,0]
	;; [unrolled: 2-line block ×3, first 2 shown]
	v_pk_fma_f16 v34, v38, v65, v34 op_sel:[0,1,0]
	v_pk_fma_f16 v55, v38, v65, v61 op_sel_hi:[1,0,1]
	v_pk_fma_f16 v32, v39, v62, v32 op_sel_hi:[1,0,1]
	v_pk_fma_f16 v30, v39, v62, v30 op_sel:[0,1,0]
	v_pk_fma_f16 v28, v39, v63, v28 op_sel_hi:[1,0,1]
	v_pk_fma_f16 v24, v39, v63, v24 op_sel:[0,1,0]
	;; [unrolled: 2-line block ×7, first 2 shown]
	v_pk_fma_f16 v62, v40, v79, v34 op_sel:[0,1,0]
	ds_read2_b64 v[34:37], v49 offset0:128 offset1:160
	ds_read_b128 v[42:45], v33 offset:64
	v_pk_fma_f16 v55, v40, v79, v55 op_sel_hi:[1,0,1]
	v_pk_fma_f16 v32, v41, v76, v32 op_sel_hi:[1,0,1]
	v_pk_fma_f16 v30, v41, v76, v30 op_sel:[0,1,0]
	v_pk_fma_f16 v28, v41, v77, v28 op_sel_hi:[1,0,1]
	v_pk_fma_f16 v24, v41, v77, v24 op_sel:[0,1,0]
	;; [unrolled: 2-line block ×4, first 2 shown]
	ds_read_b128 v[38:41], v33 offset:80
	s_waitcnt lgkmcnt(1)
	v_pk_fma_f16 v56, v34, v42, v56 op_sel_hi:[1,0,1]
	v_pk_fma_f16 v57, v34, v42, v57 op_sel:[0,1,0]
	v_pk_fma_f16 v58, v34, v43, v58 op_sel_hi:[1,0,1]
	v_pk_fma_f16 v59, v34, v43, v59 op_sel:[0,1,0]
	;; [unrolled: 2-line block ×8, first 2 shown]
	s_waitcnt lgkmcnt(0)
	v_pk_fma_f16 v62, v36, v38, v56 op_sel_hi:[1,0,1]
	v_pk_fma_f16 v63, v36, v38, v57 op_sel:[0,1,0]
	v_pk_fma_f16 v64, v36, v39, v58 op_sel_hi:[1,0,1]
	v_pk_fma_f16 v65, v36, v39, v59 op_sel:[0,1,0]
	ds_read2_b64 v[42:45], v49 offset0:192 offset1:224
	ds_read_b128 v[56:59], v33 offset:96
	v_pk_fma_f16 v60, v36, v40, v60 op_sel_hi:[1,0,1]
	v_pk_fma_f16 v61, v36, v40, v61 op_sel:[0,1,0]
	v_pk_fma_f16 v55, v36, v41, v55 op_sel_hi:[1,0,1]
	v_pk_fma_f16 v66, v36, v41, v34 op_sel:[0,1,0]
	;; [unrolled: 2-line block ×6, first 2 shown]
	ds_read_b128 v[34:37], v33 offset:112
	s_waitcnt lgkmcnt(1)
	v_pk_fma_f16 v39, v42, v56, v62 op_sel_hi:[1,0,1]
	v_pk_fma_f16 v40, v42, v56, v63 op_sel:[0,1,0]
	v_pk_fma_f16 v41, v42, v57, v64 op_sel_hi:[1,0,1]
	v_pk_fma_f16 v63, v43, v58, v20 op_sel:[0,1,0]
	v_add_u32_e32 v20, 0x800, v49
	v_pk_fma_f16 v62, v42, v57, v65 op_sel:[0,1,0]
	v_pk_fma_f16 v60, v42, v58, v60 op_sel_hi:[1,0,1]
	v_pk_fma_f16 v61, v42, v58, v61 op_sel:[0,1,0]
	v_pk_fma_f16 v55, v42, v59, v55 op_sel_hi:[1,0,1]
	;; [unrolled: 2-line block ×5, first 2 shown]
	v_pk_fma_f16 v26, v43, v59, v26 op_sel_hi:[1,0,1]
	v_pk_fma_f16 v43, v43, v59, v38 op_sel:[0,1,0]
	s_waitcnt lgkmcnt(0)
	v_pk_fma_f16 v64, v44, v34, v39 op_sel_hi:[1,0,1]
	v_pk_fma_f16 v65, v44, v34, v40 op_sel:[0,1,0]
	v_pk_fma_f16 v66, v44, v35, v41 op_sel_hi:[1,0,1]
	ds_read2_b64 v[38:41], v20 offset1:32
	ds_read_b128 v[56:59], v33 offset:128
	v_pk_fma_f16 v62, v44, v35, v62 op_sel:[0,1,0]
	v_pk_fma_f16 v60, v44, v36, v60 op_sel_hi:[1,0,1]
	v_pk_fma_f16 v61, v44, v36, v61 op_sel:[0,1,0]
	v_pk_fma_f16 v55, v44, v37, v55 op_sel_hi:[1,0,1]
	v_pk_fma_f16 v42, v44, v37, v42 op_sel:[0,1,0]
	v_pk_fma_f16 v32, v45, v34, v32 op_sel_hi:[1,0,1]
	v_pk_fma_f16 v30, v45, v34, v30 op_sel:[0,1,0]
	v_pk_fma_f16 v28, v45, v35, v28 op_sel_hi:[1,0,1]
	v_pk_fma_f16 v24, v45, v35, v24 op_sel:[0,1,0]
	v_pk_fma_f16 v22, v45, v36, v22 op_sel_hi:[1,0,1]
	v_pk_fma_f16 v44, v45, v36, v63 op_sel:[0,1,0]
	v_pk_fma_f16 v26, v45, v37, v26 op_sel_hi:[1,0,1]
	v_pk_fma_f16 v43, v45, v37, v43 op_sel:[0,1,0]
	ds_read_b128 v[34:37], v33 offset:144
	s_waitcnt lgkmcnt(1)
	v_pk_fma_f16 v45, v38, v56, v64 op_sel_hi:[1,0,1]
	v_pk_fma_f16 v63, v38, v56, v65 op_sel:[0,1,0]
	v_pk_fma_f16 v64, v38, v57, v66 op_sel_hi:[1,0,1]
	v_pk_fma_f16 v62, v38, v57, v62 op_sel:[0,1,0]
	;; [unrolled: 2-line block ×8, first 2 shown]
	s_waitcnt lgkmcnt(0)
	v_pk_fma_f16 v66, v40, v34, v45 op_sel_hi:[1,0,1]
	ds_read2_b64 v[42:45], v20 offset0:64 offset1:96
	ds_read_b128 v[56:59], v33 offset:160
	s_mul_hi_i32 s11, s10, s14
	s_mul_i32 s10, s10, s14
	v_pk_fma_f16 v63, v40, v34, v63 op_sel:[0,1,0]
	v_pk_fma_f16 v64, v40, v35, v64 op_sel_hi:[1,0,1]
	v_pk_fma_f16 v62, v40, v35, v62 op_sel:[0,1,0]
	v_pk_fma_f16 v60, v40, v36, v60 op_sel_hi:[1,0,1]
	;; [unrolled: 2-line block ×7, first 2 shown]
	v_pk_fma_f16 v39, v41, v37, v39 op_sel:[0,1,0]
	s_lshl_b64 s[10:11], s[10:11], 2
	s_waitcnt lgkmcnt(0)
	v_pk_fma_f16 v68, v42, v56, v66 op_sel_hi:[1,0,1]
	v_pk_fma_f16 v75, v42, v56, v63 op_sel:[0,1,0]
	v_pk_fma_f16 v88, v42, v57, v64 op_sel_hi:[1,0,1]
	v_pk_fma_f16 v89, v42, v57, v62 op_sel:[0,1,0]
	;; [unrolled: 2-line block ×8, first 2 shown]
	v_mov_b32_e32 v43, s11
	v_add_co_u32_e32 v42, vcc, s10, v47
	v_addc_co_u32_e32 v43, vcc, v48, v43, vcc
	ds_read_b128 v[34:37], v33 offset:176
	ds_read2_b64 v[38:41], v20 offset0:128 offset1:160
	ds_read_b128 v[56:59], v33 offset:192
	ds_read_b128 v[60:63], v33 offset:208
	ds_read2_b64 v[64:67], v20 offset0:192 offset1:224
	ds_read_b128 v[76:79], v33 offset:224
	ds_read_b128 v[80:83], v33 offset:240
	s_waitcnt lgkmcnt(0)
	s_barrier
	global_load_dwordx4 v[84:87], v[42:43], off
	v_pk_fma_f16 v42, v44, v34, v68 op_sel_hi:[1,0,1]
	v_pk_fma_f16 v43, v44, v34, v75 op_sel:[0,1,0]
	v_pk_fma_f16 v68, v44, v35, v88 op_sel_hi:[1,0,1]
	v_pk_fma_f16 v75, v44, v35, v89 op_sel:[0,1,0]
	;; [unrolled: 2-line block ×5, first 2 shown]
	v_pk_fma_f16 v34, v45, v36, v93 op_sel:[0,1,0]
	v_pk_fma_f16 v28, v45, v35, v28 op_sel_hi:[1,0,1]
	v_pk_fma_f16 v24, v45, v35, v24 op_sel:[0,1,0]
	v_pk_fma_f16 v22, v45, v36, v22 op_sel_hi:[1,0,1]
	v_pk_fma_f16 v26, v45, v37, v26 op_sel_hi:[1,0,1]
	v_pk_fma_f16 v35, v45, v37, v94 op_sel:[0,1,0]
	v_pk_fma_f16 v36, v38, v56, v42 op_sel_hi:[1,0,1]
	v_pk_fma_f16 v37, v38, v56, v43 op_sel:[0,1,0]
	v_pk_fma_f16 v42, v38, v57, v68 op_sel_hi:[1,0,1]
	v_pk_fma_f16 v43, v38, v57, v75 op_sel:[0,1,0]
	v_pk_fma_f16 v45, v38, v58, v88 op_sel_hi:[1,0,1]
	v_pk_fma_f16 v68, v38, v58, v89 op_sel:[0,1,0]
	v_pk_fma_f16 v55, v38, v59, v55 op_sel_hi:[1,0,1]
	v_pk_fma_f16 v38, v38, v59, v44 op_sel:[0,1,0]
	v_pk_fma_f16 v34, v39, v58, v34 op_sel:[0,1,0]
	v_pk_fma_f16 v32, v39, v56, v32 op_sel_hi:[1,0,1]
	v_pk_fma_f16 v30, v39, v56, v30 op_sel:[0,1,0]
	v_pk_fma_f16 v28, v39, v57, v28 op_sel_hi:[1,0,1]
	v_pk_fma_f16 v24, v39, v57, v24 op_sel:[0,1,0]
	v_pk_fma_f16 v22, v39, v58, v22 op_sel_hi:[1,0,1]
	v_pk_fma_f16 v26, v39, v59, v26 op_sel_hi:[1,0,1]
	v_pk_fma_f16 v35, v39, v59, v35 op_sel:[0,1,0]
	v_pk_fma_f16 v36, v40, v60, v36 op_sel_hi:[1,0,1]
	v_pk_fma_f16 v37, v40, v60, v37 op_sel:[0,1,0]
	v_pk_fma_f16 v39, v40, v61, v42 op_sel_hi:[1,0,1]
	v_pk_fma_f16 v42, v40, v61, v43 op_sel:[0,1,0]
	v_pk_fma_f16 v43, v40, v62, v45 op_sel_hi:[1,0,1]
	v_pk_fma_f16 v44, v40, v62, v68 op_sel:[0,1,0]
	v_pk_fma_f16 v45, v40, v63, v55 op_sel_hi:[1,0,1]
	v_pk_fma_f16 v38, v40, v63, v38 op_sel:[0,1,0]
	v_pk_fma_f16 v34, v41, v62, v34 op_sel:[0,1,0]
	v_pk_fma_f16 v32, v41, v60, v32 op_sel_hi:[1,0,1]
	;; [unrolled: 16-line block ×4, first 2 shown]
	v_pk_fma_f16 v30, v67, v80, v30 op_sel:[0,1,0]
	v_pk_fma_f16 v28, v67, v81, v28 op_sel_hi:[1,0,1]
	v_pk_fma_f16 v24, v67, v81, v24 op_sel:[0,1,0]
	v_pk_fma_f16 v22, v67, v82, v22 op_sel_hi:[1,0,1]
	v_pk_fma_f16 v26, v67, v83, v26 op_sel_hi:[1,0,1]
	s_waitcnt vmcnt(0)
	ds_write_b128 v46, v[84:87]
	s_waitcnt lgkmcnt(0)
	s_barrier
	ds_read2_b64 v[34:37], v49 offset1:32
	ds_read_b128 v[38:41], v33 offset:256
	v_pk_fma_f16 v67, v67, v83, v44 op_sel:[0,1,0]
	ds_read_b128 v[42:45], v33 offset:272
	ds_read_b128 v[56:59], v33 offset:288
	;; [unrolled: 1-line block ×3, first 2 shown]
	s_or_b32 s10, s6, 32
	s_mul_hi_i32 s11, s10, s14
	s_waitcnt lgkmcnt(3)
	v_pk_fma_f16 v55, v34, v38, v55 op_sel_hi:[1,0,1]
	v_pk_fma_f16 v64, v34, v38, v64 op_sel:[0,1,0]
	v_pk_fma_f16 v65, v34, v39, v65 op_sel_hi:[1,0,1]
	v_pk_fma_f16 v68, v34, v39, v68 op_sel:[0,1,0]
	;; [unrolled: 2-line block ×8, first 2 shown]
	ds_read2_b64 v[38:41], v49 offset0:64 offset1:96
	s_waitcnt lgkmcnt(3)
	v_pk_fma_f16 v55, v36, v42, v55 op_sel_hi:[1,0,1]
	v_pk_fma_f16 v64, v36, v42, v64 op_sel:[0,1,0]
	v_pk_fma_f16 v65, v36, v43, v65 op_sel_hi:[1,0,1]
	v_pk_fma_f16 v67, v36, v43, v68 op_sel:[0,1,0]
	;; [unrolled: 2-line block ×3, first 2 shown]
	v_pk_fma_f16 v75, v36, v44, v76 op_sel:[0,1,0]
	v_pk_fma_f16 v76, v36, v45, v77 op_sel_hi:[1,0,1]
	v_pk_fma_f16 v32, v37, v42, v32 op_sel_hi:[1,0,1]
	v_pk_fma_f16 v30, v37, v42, v30 op_sel:[0,1,0]
	v_pk_fma_f16 v28, v37, v43, v28 op_sel_hi:[1,0,1]
	v_pk_fma_f16 v24, v37, v43, v24 op_sel:[0,1,0]
	;; [unrolled: 2-line block ×4, first 2 shown]
	s_waitcnt lgkmcnt(0)
	v_pk_fma_f16 v37, v38, v56, v55 op_sel_hi:[1,0,1]
	v_pk_fma_f16 v42, v38, v56, v64 op_sel:[0,1,0]
	v_pk_fma_f16 v43, v38, v57, v65 op_sel_hi:[1,0,1]
	v_pk_fma_f16 v44, v38, v57, v67 op_sel:[0,1,0]
	;; [unrolled: 2-line block ×3, first 2 shown]
	v_pk_fma_f16 v55, v38, v58, v75 op_sel:[0,1,0]
	v_pk_fma_f16 v64, v38, v59, v76 op_sel_hi:[1,0,1]
	v_pk_fma_f16 v32, v39, v56, v32 op_sel_hi:[1,0,1]
	v_pk_fma_f16 v30, v39, v56, v30 op_sel:[0,1,0]
	v_pk_fma_f16 v28, v39, v57, v28 op_sel_hi:[1,0,1]
	v_pk_fma_f16 v24, v39, v57, v24 op_sel:[0,1,0]
	;; [unrolled: 2-line block ×7, first 2 shown]
	ds_read2_b64 v[34:37], v49 offset0:128 offset1:160
	ds_read_b128 v[42:45], v33 offset:320
	v_pk_fma_f16 v55, v40, v62, v55 op_sel:[0,1,0]
	v_pk_fma_f16 v64, v40, v63, v64 op_sel_hi:[1,0,1]
	v_pk_fma_f16 v32, v41, v60, v32 op_sel_hi:[1,0,1]
	v_pk_fma_f16 v30, v41, v60, v30 op_sel:[0,1,0]
	v_pk_fma_f16 v28, v41, v61, v28 op_sel_hi:[1,0,1]
	v_pk_fma_f16 v24, v41, v61, v24 op_sel:[0,1,0]
	;; [unrolled: 2-line block ×4, first 2 shown]
	ds_read_b128 v[38:41], v33 offset:336
	s_waitcnt lgkmcnt(1)
	v_pk_fma_f16 v56, v34, v42, v56 op_sel_hi:[1,0,1]
	v_pk_fma_f16 v57, v34, v42, v57 op_sel:[0,1,0]
	v_pk_fma_f16 v58, v34, v43, v58 op_sel_hi:[1,0,1]
	v_pk_fma_f16 v59, v34, v43, v59 op_sel:[0,1,0]
	;; [unrolled: 2-line block ×8, first 2 shown]
	s_waitcnt lgkmcnt(0)
	v_pk_fma_f16 v61, v36, v38, v56 op_sel_hi:[1,0,1]
	v_pk_fma_f16 v64, v36, v38, v57 op_sel:[0,1,0]
	v_pk_fma_f16 v65, v36, v39, v58 op_sel_hi:[1,0,1]
	v_pk_fma_f16 v66, v36, v39, v59 op_sel:[0,1,0]
	ds_read2_b64 v[42:45], v49 offset0:192 offset1:224
	ds_read_b128 v[56:59], v33 offset:352
	v_pk_fma_f16 v62, v36, v40, v62 op_sel_hi:[1,0,1]
	v_pk_fma_f16 v55, v36, v40, v55 op_sel:[0,1,0]
	v_pk_fma_f16 v63, v36, v41, v63 op_sel_hi:[1,0,1]
	v_pk_fma_f16 v67, v36, v41, v34 op_sel:[0,1,0]
	;; [unrolled: 2-line block ×6, first 2 shown]
	ds_read_b128 v[34:37], v33 offset:368
	s_waitcnt lgkmcnt(1)
	v_pk_fma_f16 v40, v42, v56, v61 op_sel_hi:[1,0,1]
	v_pk_fma_f16 v41, v42, v56, v64 op_sel:[0,1,0]
	v_pk_fma_f16 v60, v42, v57, v65 op_sel_hi:[1,0,1]
	v_pk_fma_f16 v61, v42, v57, v66 op_sel:[0,1,0]
	;; [unrolled: 2-line block ×8, first 2 shown]
	s_waitcnt lgkmcnt(0)
	v_pk_fma_f16 v65, v44, v34, v40 op_sel_hi:[1,0,1]
	v_pk_fma_f16 v66, v44, v34, v41 op_sel:[0,1,0]
	ds_read2_b64 v[38:41], v20 offset1:32
	ds_read_b128 v[56:59], v33 offset:384
	v_pk_fma_f16 v60, v44, v35, v60 op_sel_hi:[1,0,1]
	v_pk_fma_f16 v61, v44, v35, v61 op_sel:[0,1,0]
	v_pk_fma_f16 v62, v44, v36, v62 op_sel_hi:[1,0,1]
	v_pk_fma_f16 v55, v44, v36, v55 op_sel:[0,1,0]
	;; [unrolled: 2-line block ×7, first 2 shown]
	ds_read_b128 v[34:37], v33 offset:400
	s_waitcnt lgkmcnt(1)
	v_pk_fma_f16 v45, v38, v56, v65 op_sel_hi:[1,0,1]
	v_pk_fma_f16 v64, v38, v56, v66 op_sel:[0,1,0]
	v_pk_fma_f16 v60, v38, v57, v60 op_sel_hi:[1,0,1]
	v_pk_fma_f16 v61, v38, v57, v61 op_sel:[0,1,0]
	;; [unrolled: 2-line block ×8, first 2 shown]
	s_waitcnt lgkmcnt(0)
	v_pk_fma_f16 v66, v40, v34, v45 op_sel_hi:[1,0,1]
	ds_read2_b64 v[42:45], v20 offset0:64 offset1:96
	ds_read_b128 v[56:59], v33 offset:416
	s_mul_i32 s10, s10, s14
	v_pk_fma_f16 v64, v40, v34, v64 op_sel:[0,1,0]
	v_pk_fma_f16 v60, v40, v35, v60 op_sel_hi:[1,0,1]
	v_pk_fma_f16 v61, v40, v35, v61 op_sel:[0,1,0]
	v_pk_fma_f16 v62, v40, v36, v62 op_sel_hi:[1,0,1]
	;; [unrolled: 2-line block ×7, first 2 shown]
	v_pk_fma_f16 v39, v41, v37, v39 op_sel:[0,1,0]
	s_lshl_b64 s[10:11], s[10:11], 2
	s_waitcnt lgkmcnt(0)
	v_pk_fma_f16 v68, v42, v56, v66 op_sel_hi:[1,0,1]
	v_pk_fma_f16 v75, v42, v56, v64 op_sel:[0,1,0]
	v_pk_fma_f16 v88, v42, v57, v60 op_sel_hi:[1,0,1]
	v_pk_fma_f16 v89, v42, v57, v61 op_sel:[0,1,0]
	;; [unrolled: 2-line block ×8, first 2 shown]
	v_mov_b32_e32 v43, s11
	v_add_co_u32_e32 v42, vcc, s10, v47
	v_addc_co_u32_e32 v43, vcc, v48, v43, vcc
	ds_read_b128 v[34:37], v33 offset:432
	ds_read2_b64 v[38:41], v20 offset0:128 offset1:160
	ds_read_b128 v[56:59], v33 offset:448
	ds_read_b128 v[60:63], v33 offset:464
	ds_read2_b64 v[64:67], v20 offset0:192 offset1:224
	ds_read_b128 v[76:79], v33 offset:480
	ds_read_b128 v[80:83], v33 offset:496
	s_waitcnt lgkmcnt(0)
	s_barrier
	global_load_dwordx4 v[84:87], v[42:43], off
	v_pk_fma_f16 v42, v44, v34, v68 op_sel_hi:[1,0,1]
	v_pk_fma_f16 v43, v44, v34, v75 op_sel:[0,1,0]
	v_pk_fma_f16 v68, v44, v35, v88 op_sel_hi:[1,0,1]
	v_pk_fma_f16 v75, v44, v35, v89 op_sel:[0,1,0]
	;; [unrolled: 2-line block ×5, first 2 shown]
	v_pk_fma_f16 v34, v45, v36, v93 op_sel:[0,1,0]
	v_pk_fma_f16 v28, v45, v35, v28 op_sel_hi:[1,0,1]
	v_pk_fma_f16 v24, v45, v35, v24 op_sel:[0,1,0]
	v_pk_fma_f16 v22, v45, v36, v22 op_sel_hi:[1,0,1]
	v_pk_fma_f16 v26, v45, v37, v26 op_sel_hi:[1,0,1]
	v_pk_fma_f16 v35, v45, v37, v94 op_sel:[0,1,0]
	v_pk_fma_f16 v36, v38, v56, v42 op_sel_hi:[1,0,1]
	v_pk_fma_f16 v37, v38, v56, v43 op_sel:[0,1,0]
	v_pk_fma_f16 v42, v38, v57, v68 op_sel_hi:[1,0,1]
	v_pk_fma_f16 v43, v38, v57, v75 op_sel:[0,1,0]
	v_pk_fma_f16 v45, v38, v58, v88 op_sel_hi:[1,0,1]
	v_pk_fma_f16 v55, v38, v58, v55 op_sel:[0,1,0]
	v_pk_fma_f16 v68, v38, v59, v89 op_sel_hi:[1,0,1]
	v_pk_fma_f16 v38, v38, v59, v44 op_sel:[0,1,0]
	v_pk_fma_f16 v34, v39, v58, v34 op_sel:[0,1,0]
	v_pk_fma_f16 v32, v39, v56, v32 op_sel_hi:[1,0,1]
	v_pk_fma_f16 v30, v39, v56, v30 op_sel:[0,1,0]
	v_pk_fma_f16 v28, v39, v57, v28 op_sel_hi:[1,0,1]
	v_pk_fma_f16 v24, v39, v57, v24 op_sel:[0,1,0]
	v_pk_fma_f16 v22, v39, v58, v22 op_sel_hi:[1,0,1]
	v_pk_fma_f16 v26, v39, v59, v26 op_sel_hi:[1,0,1]
	v_pk_fma_f16 v35, v39, v59, v35 op_sel:[0,1,0]
	v_pk_fma_f16 v36, v40, v60, v36 op_sel_hi:[1,0,1]
	v_pk_fma_f16 v37, v40, v60, v37 op_sel:[0,1,0]
	v_pk_fma_f16 v39, v40, v61, v42 op_sel_hi:[1,0,1]
	v_pk_fma_f16 v42, v40, v61, v43 op_sel:[0,1,0]
	v_pk_fma_f16 v43, v40, v62, v45 op_sel_hi:[1,0,1]
	v_pk_fma_f16 v44, v40, v62, v55 op_sel:[0,1,0]
	v_pk_fma_f16 v45, v40, v63, v68 op_sel_hi:[1,0,1]
	v_pk_fma_f16 v38, v40, v63, v38 op_sel:[0,1,0]
	v_pk_fma_f16 v34, v41, v62, v34 op_sel:[0,1,0]
	v_pk_fma_f16 v32, v41, v60, v32 op_sel_hi:[1,0,1]
	;; [unrolled: 16-line block ×4, first 2 shown]
	v_pk_fma_f16 v30, v67, v80, v30 op_sel:[0,1,0]
	v_pk_fma_f16 v28, v67, v81, v28 op_sel_hi:[1,0,1]
	v_pk_fma_f16 v24, v67, v81, v24 op_sel:[0,1,0]
	v_pk_fma_f16 v22, v67, v82, v22 op_sel_hi:[1,0,1]
	v_pk_fma_f16 v26, v67, v83, v26 op_sel_hi:[1,0,1]
	s_waitcnt vmcnt(0)
	ds_write_b128 v46, v[84:87]
	s_waitcnt lgkmcnt(0)
	s_barrier
	ds_read2_b64 v[34:37], v49 offset1:32
	ds_read_b128 v[38:41], v33 offset:512
	v_pk_fma_f16 v67, v67, v83, v44 op_sel:[0,1,0]
	ds_read_b128 v[42:45], v33 offset:528
	ds_read_b128 v[56:59], v33 offset:544
	;; [unrolled: 1-line block ×3, first 2 shown]
	s_or_b32 s10, s6, 48
	s_mul_hi_i32 s11, s10, s14
	s_waitcnt lgkmcnt(3)
	v_pk_fma_f16 v55, v34, v38, v55 op_sel_hi:[1,0,1]
	v_pk_fma_f16 v64, v34, v38, v64 op_sel:[0,1,0]
	v_pk_fma_f16 v65, v34, v39, v65 op_sel_hi:[1,0,1]
	v_pk_fma_f16 v68, v34, v39, v68 op_sel:[0,1,0]
	;; [unrolled: 2-line block ×8, first 2 shown]
	ds_read2_b64 v[38:41], v49 offset0:64 offset1:96
	s_waitcnt lgkmcnt(3)
	v_pk_fma_f16 v55, v36, v42, v55 op_sel_hi:[1,0,1]
	v_pk_fma_f16 v64, v36, v42, v64 op_sel:[0,1,0]
	v_pk_fma_f16 v65, v36, v43, v65 op_sel_hi:[1,0,1]
	v_pk_fma_f16 v67, v36, v43, v68 op_sel:[0,1,0]
	;; [unrolled: 2-line block ×3, first 2 shown]
	v_pk_fma_f16 v75, v36, v44, v76 op_sel:[0,1,0]
	v_pk_fma_f16 v76, v36, v45, v77 op_sel_hi:[1,0,1]
	v_pk_fma_f16 v32, v37, v42, v32 op_sel_hi:[1,0,1]
	v_pk_fma_f16 v30, v37, v42, v30 op_sel:[0,1,0]
	v_pk_fma_f16 v28, v37, v43, v28 op_sel_hi:[1,0,1]
	v_pk_fma_f16 v24, v37, v43, v24 op_sel:[0,1,0]
	;; [unrolled: 2-line block ×4, first 2 shown]
	s_waitcnt lgkmcnt(0)
	v_pk_fma_f16 v37, v38, v56, v55 op_sel_hi:[1,0,1]
	v_pk_fma_f16 v42, v38, v56, v64 op_sel:[0,1,0]
	v_pk_fma_f16 v43, v38, v57, v65 op_sel_hi:[1,0,1]
	v_pk_fma_f16 v44, v38, v57, v67 op_sel:[0,1,0]
	;; [unrolled: 2-line block ×3, first 2 shown]
	v_pk_fma_f16 v55, v38, v58, v75 op_sel:[0,1,0]
	v_pk_fma_f16 v64, v38, v59, v76 op_sel_hi:[1,0,1]
	v_pk_fma_f16 v32, v39, v56, v32 op_sel_hi:[1,0,1]
	v_pk_fma_f16 v30, v39, v56, v30 op_sel:[0,1,0]
	v_pk_fma_f16 v28, v39, v57, v28 op_sel_hi:[1,0,1]
	v_pk_fma_f16 v24, v39, v57, v24 op_sel:[0,1,0]
	;; [unrolled: 2-line block ×7, first 2 shown]
	ds_read2_b64 v[34:37], v49 offset0:128 offset1:160
	ds_read_b128 v[42:45], v33 offset:576
	v_pk_fma_f16 v55, v40, v62, v55 op_sel:[0,1,0]
	v_pk_fma_f16 v64, v40, v63, v64 op_sel_hi:[1,0,1]
	v_pk_fma_f16 v32, v41, v60, v32 op_sel_hi:[1,0,1]
	v_pk_fma_f16 v30, v41, v60, v30 op_sel:[0,1,0]
	v_pk_fma_f16 v28, v41, v61, v28 op_sel_hi:[1,0,1]
	v_pk_fma_f16 v24, v41, v61, v24 op_sel:[0,1,0]
	;; [unrolled: 2-line block ×4, first 2 shown]
	ds_read_b128 v[38:41], v33 offset:592
	s_waitcnt lgkmcnt(1)
	v_pk_fma_f16 v56, v34, v42, v56 op_sel_hi:[1,0,1]
	v_pk_fma_f16 v57, v34, v42, v57 op_sel:[0,1,0]
	v_pk_fma_f16 v58, v34, v43, v58 op_sel_hi:[1,0,1]
	v_pk_fma_f16 v59, v34, v43, v59 op_sel:[0,1,0]
	;; [unrolled: 2-line block ×8, first 2 shown]
	s_waitcnt lgkmcnt(0)
	v_pk_fma_f16 v61, v36, v38, v56 op_sel_hi:[1,0,1]
	v_pk_fma_f16 v64, v36, v38, v57 op_sel:[0,1,0]
	v_pk_fma_f16 v65, v36, v39, v58 op_sel_hi:[1,0,1]
	v_pk_fma_f16 v66, v36, v39, v59 op_sel:[0,1,0]
	ds_read2_b64 v[42:45], v49 offset0:192 offset1:224
	ds_read_b128 v[56:59], v33 offset:608
	v_pk_fma_f16 v62, v36, v40, v62 op_sel_hi:[1,0,1]
	v_pk_fma_f16 v55, v36, v40, v55 op_sel:[0,1,0]
	v_pk_fma_f16 v63, v36, v41, v63 op_sel_hi:[1,0,1]
	v_pk_fma_f16 v67, v36, v41, v34 op_sel:[0,1,0]
	;; [unrolled: 2-line block ×6, first 2 shown]
	ds_read_b128 v[34:37], v33 offset:624
	s_waitcnt lgkmcnt(1)
	v_pk_fma_f16 v40, v42, v56, v61 op_sel_hi:[1,0,1]
	v_pk_fma_f16 v41, v42, v56, v64 op_sel:[0,1,0]
	v_pk_fma_f16 v60, v42, v57, v65 op_sel_hi:[1,0,1]
	v_pk_fma_f16 v61, v42, v57, v66 op_sel:[0,1,0]
	;; [unrolled: 2-line block ×8, first 2 shown]
	s_waitcnt lgkmcnt(0)
	v_pk_fma_f16 v65, v44, v34, v40 op_sel_hi:[1,0,1]
	v_pk_fma_f16 v66, v44, v34, v41 op_sel:[0,1,0]
	ds_read2_b64 v[38:41], v20 offset1:32
	ds_read_b128 v[56:59], v33 offset:640
	v_pk_fma_f16 v60, v44, v35, v60 op_sel_hi:[1,0,1]
	v_pk_fma_f16 v61, v44, v35, v61 op_sel:[0,1,0]
	v_pk_fma_f16 v62, v44, v36, v62 op_sel_hi:[1,0,1]
	v_pk_fma_f16 v55, v44, v36, v55 op_sel:[0,1,0]
	v_pk_fma_f16 v63, v44, v37, v63 op_sel_hi:[1,0,1]
	v_pk_fma_f16 v42, v44, v37, v42 op_sel:[0,1,0]
	v_pk_fma_f16 v32, v45, v34, v32 op_sel_hi:[1,0,1]
	v_pk_fma_f16 v30, v45, v34, v30 op_sel:[0,1,0]
	v_pk_fma_f16 v28, v45, v35, v28 op_sel_hi:[1,0,1]
	v_pk_fma_f16 v24, v45, v35, v24 op_sel:[0,1,0]
	v_pk_fma_f16 v22, v45, v36, v22 op_sel_hi:[1,0,1]
	v_pk_fma_f16 v44, v45, v36, v64 op_sel:[0,1,0]
	v_pk_fma_f16 v26, v45, v37, v26 op_sel_hi:[1,0,1]
	v_pk_fma_f16 v43, v45, v37, v43 op_sel:[0,1,0]
	ds_read_b128 v[34:37], v33 offset:656
	s_waitcnt lgkmcnt(1)
	v_pk_fma_f16 v45, v38, v56, v65 op_sel_hi:[1,0,1]
	v_pk_fma_f16 v64, v38, v56, v66 op_sel:[0,1,0]
	v_pk_fma_f16 v60, v38, v57, v60 op_sel_hi:[1,0,1]
	v_pk_fma_f16 v61, v38, v57, v61 op_sel:[0,1,0]
	;; [unrolled: 2-line block ×8, first 2 shown]
	s_waitcnt lgkmcnt(0)
	v_pk_fma_f16 v66, v40, v34, v45 op_sel_hi:[1,0,1]
	ds_read2_b64 v[42:45], v20 offset0:64 offset1:96
	ds_read_b128 v[56:59], v33 offset:672
	s_mul_i32 s10, s10, s14
	v_pk_fma_f16 v64, v40, v34, v64 op_sel:[0,1,0]
	v_pk_fma_f16 v60, v40, v35, v60 op_sel_hi:[1,0,1]
	v_pk_fma_f16 v61, v40, v35, v61 op_sel:[0,1,0]
	v_pk_fma_f16 v62, v40, v36, v62 op_sel_hi:[1,0,1]
	;; [unrolled: 2-line block ×7, first 2 shown]
	v_pk_fma_f16 v39, v41, v37, v39 op_sel:[0,1,0]
	s_lshl_b64 s[10:11], s[10:11], 2
	s_waitcnt lgkmcnt(0)
	v_pk_fma_f16 v68, v42, v56, v66 op_sel_hi:[1,0,1]
	v_pk_fma_f16 v75, v42, v56, v64 op_sel:[0,1,0]
	v_pk_fma_f16 v88, v42, v57, v60 op_sel_hi:[1,0,1]
	v_pk_fma_f16 v89, v42, v57, v61 op_sel:[0,1,0]
	;; [unrolled: 2-line block ×8, first 2 shown]
	v_mov_b32_e32 v43, s11
	v_add_co_u32_e32 v42, vcc, s10, v47
	v_addc_co_u32_e32 v43, vcc, v48, v43, vcc
	ds_read_b128 v[34:37], v33 offset:688
	ds_read2_b64 v[38:41], v20 offset0:128 offset1:160
	ds_read_b128 v[56:59], v33 offset:704
	ds_read_b128 v[60:63], v33 offset:720
	ds_read2_b64 v[64:67], v20 offset0:192 offset1:224
	ds_read_b128 v[76:79], v33 offset:736
	ds_read_b128 v[80:83], v33 offset:752
	s_waitcnt lgkmcnt(0)
	s_barrier
	global_load_dwordx4 v[84:87], v[42:43], off
	v_pk_fma_f16 v42, v44, v34, v68 op_sel_hi:[1,0,1]
	v_pk_fma_f16 v43, v44, v34, v75 op_sel:[0,1,0]
	v_pk_fma_f16 v68, v44, v35, v88 op_sel_hi:[1,0,1]
	v_pk_fma_f16 v75, v44, v35, v89 op_sel:[0,1,0]
	;; [unrolled: 2-line block ×5, first 2 shown]
	v_pk_fma_f16 v34, v45, v36, v93 op_sel:[0,1,0]
	v_pk_fma_f16 v28, v45, v35, v28 op_sel_hi:[1,0,1]
	v_pk_fma_f16 v24, v45, v35, v24 op_sel:[0,1,0]
	v_pk_fma_f16 v22, v45, v36, v22 op_sel_hi:[1,0,1]
	v_pk_fma_f16 v26, v45, v37, v26 op_sel_hi:[1,0,1]
	v_pk_fma_f16 v35, v45, v37, v94 op_sel:[0,1,0]
	v_pk_fma_f16 v36, v38, v56, v42 op_sel_hi:[1,0,1]
	v_pk_fma_f16 v37, v38, v56, v43 op_sel:[0,1,0]
	v_pk_fma_f16 v42, v38, v57, v68 op_sel_hi:[1,0,1]
	v_pk_fma_f16 v43, v38, v57, v75 op_sel:[0,1,0]
	v_pk_fma_f16 v45, v38, v58, v88 op_sel_hi:[1,0,1]
	v_pk_fma_f16 v55, v38, v58, v55 op_sel:[0,1,0]
	v_pk_fma_f16 v68, v38, v59, v89 op_sel_hi:[1,0,1]
	v_pk_fma_f16 v38, v38, v59, v44 op_sel:[0,1,0]
	v_pk_fma_f16 v34, v39, v58, v34 op_sel:[0,1,0]
	v_pk_fma_f16 v32, v39, v56, v32 op_sel_hi:[1,0,1]
	v_pk_fma_f16 v30, v39, v56, v30 op_sel:[0,1,0]
	v_pk_fma_f16 v28, v39, v57, v28 op_sel_hi:[1,0,1]
	v_pk_fma_f16 v24, v39, v57, v24 op_sel:[0,1,0]
	v_pk_fma_f16 v22, v39, v58, v22 op_sel_hi:[1,0,1]
	v_pk_fma_f16 v26, v39, v59, v26 op_sel_hi:[1,0,1]
	v_pk_fma_f16 v35, v39, v59, v35 op_sel:[0,1,0]
	v_pk_fma_f16 v36, v40, v60, v36 op_sel_hi:[1,0,1]
	v_pk_fma_f16 v37, v40, v60, v37 op_sel:[0,1,0]
	v_pk_fma_f16 v39, v40, v61, v42 op_sel_hi:[1,0,1]
	v_pk_fma_f16 v42, v40, v61, v43 op_sel:[0,1,0]
	v_pk_fma_f16 v43, v40, v62, v45 op_sel_hi:[1,0,1]
	v_pk_fma_f16 v44, v40, v62, v55 op_sel:[0,1,0]
	v_pk_fma_f16 v45, v40, v63, v68 op_sel_hi:[1,0,1]
	v_pk_fma_f16 v38, v40, v63, v38 op_sel:[0,1,0]
	v_pk_fma_f16 v34, v41, v62, v34 op_sel:[0,1,0]
	v_pk_fma_f16 v32, v41, v60, v32 op_sel_hi:[1,0,1]
	v_pk_fma_f16 v30, v41, v60, v30 op_sel:[0,1,0]
	v_pk_fma_f16 v28, v41, v61, v28 op_sel_hi:[1,0,1]
	v_pk_fma_f16 v24, v41, v61, v24 op_sel:[0,1,0]
	v_pk_fma_f16 v22, v41, v62, v22 op_sel_hi:[1,0,1]
	v_pk_fma_f16 v26, v41, v63, v26 op_sel_hi:[1,0,1]
	v_pk_fma_f16 v35, v41, v63, v35 op_sel:[0,1,0]
	v_pk_fma_f16 v36, v64, v76, v36 op_sel_hi:[1,0,1]
	v_pk_fma_f16 v37, v64, v76, v37 op_sel:[0,1,0]
	v_pk_fma_f16 v39, v64, v77, v39 op_sel_hi:[1,0,1]
	v_pk_fma_f16 v40, v64, v77, v42 op_sel:[0,1,0]
	v_pk_fma_f16 v41, v64, v78, v43 op_sel_hi:[1,0,1]
	v_pk_fma_f16 v42, v64, v78, v44 op_sel:[0,1,0]
	v_pk_fma_f16 v43, v64, v79, v45 op_sel_hi:[1,0,1]
	v_pk_fma_f16 v38, v64, v79, v38 op_sel:[0,1,0]
	v_pk_fma_f16 v34, v65, v78, v34 op_sel:[0,1,0]
	v_pk_fma_f16 v32, v65, v76, v32 op_sel_hi:[1,0,1]
	v_pk_fma_f16 v30, v65, v76, v30 op_sel:[0,1,0]
	v_pk_fma_f16 v28, v65, v77, v28 op_sel_hi:[1,0,1]
	v_pk_fma_f16 v24, v65, v77, v24 op_sel:[0,1,0]
	v_pk_fma_f16 v22, v65, v78, v22 op_sel_hi:[1,0,1]
	v_pk_fma_f16 v26, v65, v79, v26 op_sel_hi:[1,0,1]
	v_pk_fma_f16 v44, v65, v79, v35 op_sel:[0,1,0]
	v_pk_fma_f16 v55, v66, v80, v36 op_sel_hi:[1,0,1]
	v_pk_fma_f16 v64, v66, v80, v37 op_sel:[0,1,0]
	v_pk_fma_f16 v65, v66, v81, v39 op_sel_hi:[1,0,1]
	v_pk_fma_f16 v68, v66, v81, v40 op_sel:[0,1,0]
	v_pk_fma_f16 v75, v66, v82, v41 op_sel_hi:[1,0,1]
	v_pk_fma_f16 v76, v66, v82, v42 op_sel:[0,1,0]
	v_pk_fma_f16 v77, v66, v83, v43 op_sel_hi:[1,0,1]
	v_pk_fma_f16 v66, v66, v83, v38 op_sel:[0,1,0]
	v_pk_fma_f16 v78, v67, v82, v34 op_sel:[0,1,0]
	v_pk_fma_f16 v32, v67, v80, v32 op_sel_hi:[1,0,1]
	v_pk_fma_f16 v30, v67, v80, v30 op_sel:[0,1,0]
	v_pk_fma_f16 v28, v67, v81, v28 op_sel_hi:[1,0,1]
	v_pk_fma_f16 v24, v67, v81, v24 op_sel:[0,1,0]
	v_pk_fma_f16 v22, v67, v82, v22 op_sel_hi:[1,0,1]
	v_pk_fma_f16 v26, v67, v83, v26 op_sel_hi:[1,0,1]
	s_waitcnt vmcnt(0)
	ds_write_b128 v46, v[84:87]
	s_waitcnt lgkmcnt(0)
	s_barrier
	ds_read2_b64 v[34:37], v49 offset1:32
	ds_read_b128 v[38:41], v33 offset:768
	v_pk_fma_f16 v67, v67, v83, v44 op_sel:[0,1,0]
	ds_read_b128 v[42:45], v33 offset:784
	ds_read_b128 v[56:59], v33 offset:800
	;; [unrolled: 1-line block ×3, first 2 shown]
	s_waitcnt lgkmcnt(3)
	v_pk_fma_f16 v55, v34, v38, v55 op_sel_hi:[1,0,1]
	v_pk_fma_f16 v64, v34, v38, v64 op_sel:[0,1,0]
	v_pk_fma_f16 v65, v34, v39, v65 op_sel_hi:[1,0,1]
	v_pk_fma_f16 v68, v34, v39, v68 op_sel:[0,1,0]
	;; [unrolled: 2-line block ×8, first 2 shown]
	ds_read2_b64 v[38:41], v49 offset0:64 offset1:96
	s_waitcnt lgkmcnt(3)
	v_pk_fma_f16 v55, v36, v42, v55 op_sel_hi:[1,0,1]
	v_pk_fma_f16 v64, v36, v42, v64 op_sel:[0,1,0]
	v_pk_fma_f16 v65, v36, v43, v65 op_sel_hi:[1,0,1]
	v_pk_fma_f16 v67, v36, v43, v68 op_sel:[0,1,0]
	;; [unrolled: 2-line block ×3, first 2 shown]
	v_pk_fma_f16 v75, v36, v44, v76 op_sel:[0,1,0]
	v_pk_fma_f16 v76, v36, v45, v77 op_sel_hi:[1,0,1]
	v_pk_fma_f16 v32, v37, v42, v32 op_sel_hi:[1,0,1]
	v_pk_fma_f16 v30, v37, v42, v30 op_sel:[0,1,0]
	v_pk_fma_f16 v28, v37, v43, v28 op_sel_hi:[1,0,1]
	v_pk_fma_f16 v24, v37, v43, v24 op_sel:[0,1,0]
	;; [unrolled: 2-line block ×4, first 2 shown]
	s_waitcnt lgkmcnt(0)
	v_pk_fma_f16 v37, v38, v56, v55 op_sel_hi:[1,0,1]
	v_pk_fma_f16 v42, v38, v56, v64 op_sel:[0,1,0]
	v_pk_fma_f16 v43, v38, v57, v65 op_sel_hi:[1,0,1]
	v_pk_fma_f16 v44, v38, v57, v67 op_sel:[0,1,0]
	;; [unrolled: 2-line block ×3, first 2 shown]
	v_pk_fma_f16 v55, v38, v58, v75 op_sel:[0,1,0]
	v_pk_fma_f16 v64, v38, v59, v76 op_sel_hi:[1,0,1]
	v_pk_fma_f16 v32, v39, v56, v32 op_sel_hi:[1,0,1]
	v_pk_fma_f16 v30, v39, v56, v30 op_sel:[0,1,0]
	v_pk_fma_f16 v28, v39, v57, v28 op_sel_hi:[1,0,1]
	v_pk_fma_f16 v24, v39, v57, v24 op_sel:[0,1,0]
	;; [unrolled: 2-line block ×7, first 2 shown]
	ds_read2_b64 v[34:37], v49 offset0:128 offset1:160
	ds_read_b128 v[42:45], v33 offset:832
	v_pk_fma_f16 v55, v40, v62, v55 op_sel:[0,1,0]
	v_pk_fma_f16 v64, v40, v63, v64 op_sel_hi:[1,0,1]
	v_pk_fma_f16 v32, v41, v60, v32 op_sel_hi:[1,0,1]
	v_pk_fma_f16 v30, v41, v60, v30 op_sel:[0,1,0]
	v_pk_fma_f16 v28, v41, v61, v28 op_sel_hi:[1,0,1]
	v_pk_fma_f16 v24, v41, v61, v24 op_sel:[0,1,0]
	;; [unrolled: 2-line block ×4, first 2 shown]
	ds_read_b128 v[38:41], v33 offset:848
	s_waitcnt lgkmcnt(1)
	v_pk_fma_f16 v56, v34, v42, v56 op_sel_hi:[1,0,1]
	v_pk_fma_f16 v57, v34, v42, v57 op_sel:[0,1,0]
	v_pk_fma_f16 v58, v34, v43, v58 op_sel_hi:[1,0,1]
	v_pk_fma_f16 v59, v34, v43, v59 op_sel:[0,1,0]
	;; [unrolled: 2-line block ×8, first 2 shown]
	s_waitcnt lgkmcnt(0)
	v_pk_fma_f16 v61, v36, v38, v56 op_sel_hi:[1,0,1]
	v_pk_fma_f16 v64, v36, v38, v57 op_sel:[0,1,0]
	v_pk_fma_f16 v65, v36, v39, v58 op_sel_hi:[1,0,1]
	v_pk_fma_f16 v66, v36, v39, v59 op_sel:[0,1,0]
	ds_read2_b64 v[42:45], v49 offset0:192 offset1:224
	ds_read_b128 v[56:59], v33 offset:864
	v_pk_fma_f16 v62, v36, v40, v62 op_sel_hi:[1,0,1]
	v_pk_fma_f16 v55, v36, v40, v55 op_sel:[0,1,0]
	v_pk_fma_f16 v63, v36, v41, v63 op_sel_hi:[1,0,1]
	v_pk_fma_f16 v67, v36, v41, v34 op_sel:[0,1,0]
	;; [unrolled: 2-line block ×6, first 2 shown]
	ds_read_b128 v[34:37], v33 offset:880
	s_waitcnt lgkmcnt(1)
	v_pk_fma_f16 v40, v42, v56, v61 op_sel_hi:[1,0,1]
	v_pk_fma_f16 v41, v42, v56, v64 op_sel:[0,1,0]
	v_pk_fma_f16 v60, v42, v57, v65 op_sel_hi:[1,0,1]
	v_pk_fma_f16 v61, v42, v57, v66 op_sel:[0,1,0]
	;; [unrolled: 2-line block ×8, first 2 shown]
	s_waitcnt lgkmcnt(0)
	v_pk_fma_f16 v65, v44, v34, v40 op_sel_hi:[1,0,1]
	v_pk_fma_f16 v66, v44, v34, v41 op_sel:[0,1,0]
	ds_read2_b64 v[38:41], v20 offset1:32
	ds_read_b128 v[56:59], v33 offset:896
	v_pk_fma_f16 v60, v44, v35, v60 op_sel_hi:[1,0,1]
	v_pk_fma_f16 v61, v44, v35, v61 op_sel:[0,1,0]
	v_pk_fma_f16 v62, v44, v36, v62 op_sel_hi:[1,0,1]
	v_pk_fma_f16 v55, v44, v36, v55 op_sel:[0,1,0]
	;; [unrolled: 2-line block ×7, first 2 shown]
	ds_read_b128 v[34:37], v33 offset:912
	s_waitcnt lgkmcnt(1)
	v_pk_fma_f16 v45, v38, v56, v65 op_sel_hi:[1,0,1]
	v_pk_fma_f16 v64, v38, v56, v66 op_sel:[0,1,0]
	v_pk_fma_f16 v60, v38, v57, v60 op_sel_hi:[1,0,1]
	v_pk_fma_f16 v61, v38, v57, v61 op_sel:[0,1,0]
	;; [unrolled: 2-line block ×8, first 2 shown]
	s_waitcnt lgkmcnt(0)
	v_pk_fma_f16 v66, v40, v34, v45 op_sel_hi:[1,0,1]
	ds_read2_b64 v[42:45], v20 offset0:64 offset1:96
	ds_read_b128 v[56:59], v33 offset:928
	v_pk_fma_f16 v64, v40, v34, v64 op_sel:[0,1,0]
	v_pk_fma_f16 v60, v40, v35, v60 op_sel_hi:[1,0,1]
	v_pk_fma_f16 v61, v40, v35, v61 op_sel:[0,1,0]
	v_pk_fma_f16 v62, v40, v36, v62 op_sel_hi:[1,0,1]
	;; [unrolled: 2-line block ×7, first 2 shown]
	v_pk_fma_f16 v39, v41, v37, v39 op_sel:[0,1,0]
	ds_read_b128 v[34:37], v33 offset:944
	s_waitcnt lgkmcnt(1)
	v_pk_fma_f16 v41, v42, v56, v66 op_sel_hi:[1,0,1]
	v_pk_fma_f16 v64, v42, v56, v64 op_sel:[0,1,0]
	v_pk_fma_f16 v60, v42, v57, v60 op_sel_hi:[1,0,1]
	v_pk_fma_f16 v61, v42, v57, v61 op_sel:[0,1,0]
	;; [unrolled: 2-line block ×8, first 2 shown]
	s_waitcnt lgkmcnt(0)
	v_pk_fma_f16 v65, v44, v34, v41 op_sel_hi:[1,0,1]
	v_pk_fma_f16 v64, v44, v34, v64 op_sel:[0,1,0]
	v_pk_fma_f16 v60, v44, v35, v60 op_sel_hi:[1,0,1]
	v_pk_fma_f16 v61, v44, v35, v61 op_sel:[0,1,0]
	;; [unrolled: 2-line block ×4, first 2 shown]
	ds_read2_b64 v[38:41], v20 offset0:128 offset1:160
	ds_read_b128 v[56:59], v33 offset:960
	v_pk_fma_f16 v32, v45, v34, v32 op_sel_hi:[1,0,1]
	v_pk_fma_f16 v30, v45, v34, v30 op_sel:[0,1,0]
	v_pk_fma_f16 v28, v45, v35, v28 op_sel_hi:[1,0,1]
	v_pk_fma_f16 v24, v45, v35, v24 op_sel:[0,1,0]
	;; [unrolled: 2-line block ×4, first 2 shown]
	ds_read_b128 v[34:37], v33 offset:976
	s_waitcnt lgkmcnt(1)
	v_pk_fma_f16 v45, v38, v56, v65 op_sel_hi:[1,0,1]
	v_pk_fma_f16 v64, v38, v56, v64 op_sel:[0,1,0]
	v_pk_fma_f16 v60, v38, v57, v60 op_sel_hi:[1,0,1]
	v_pk_fma_f16 v61, v38, v57, v61 op_sel:[0,1,0]
	;; [unrolled: 2-line block ×8, first 2 shown]
	s_waitcnt lgkmcnt(0)
	v_pk_fma_f16 v66, v40, v34, v45 op_sel_hi:[1,0,1]
	v_pk_fma_f16 v64, v40, v34, v64 op_sel:[0,1,0]
	v_pk_fma_f16 v60, v40, v35, v60 op_sel_hi:[1,0,1]
	v_pk_fma_f16 v61, v40, v35, v61 op_sel:[0,1,0]
	;; [unrolled: 2-line block ×6, first 2 shown]
	v_pk_fma_f16 v22, v41, v36, v22 op_sel_hi:[1,0,1]
	ds_read2_b64 v[42:45], v20 offset0:192 offset1:224
	ds_read_b128 v[56:59], v33 offset:992
	v_pk_fma_f16 v20, v41, v36, v65 op_sel:[0,1,0]
	v_pk_fma_f16 v26, v41, v37, v26 op_sel_hi:[1,0,1]
	v_pk_fma_f16 v39, v41, v37, v39 op_sel:[0,1,0]
	ds_read_b128 v[34:37], v33 offset:1008
	s_waitcnt lgkmcnt(0)
	s_barrier
	s_load_dword s10, s[8:9], 0x4
	v_pk_fma_f16 v40, v42, v56, v66 op_sel_hi:[1,0,1]
	v_pk_fma_f16 v41, v42, v56, v64 op_sel:[0,1,0]
	v_pk_fma_f16 v60, v42, v57, v60 op_sel_hi:[1,0,1]
	v_pk_fma_f16 v61, v42, v57, v61 op_sel:[0,1,0]
	s_waitcnt lgkmcnt(0)
	s_lshl_b32 s10, s10, 6
	v_pk_fma_f16 v64, v42, v58, v62 op_sel_hi:[1,0,1]
	v_pk_fma_f16 v55, v42, v58, v55 op_sel:[0,1,0]
	v_pk_fma_f16 v65, v42, v59, v63 op_sel_hi:[1,0,1]
	v_pk_fma_f16 v38, v42, v59, v38 op_sel:[0,1,0]
	;; [unrolled: 2-line block ×6, first 2 shown]
	s_add_i32 s6, s10, s6
	v_pk_fma_f16 v63, v44, v34, v40 op_sel_hi:[1,0,1]
	v_pk_fma_f16 v62, v44, v34, v41 op_sel:[0,1,0]
	v_pk_fma_f16 v60, v44, v35, v60 op_sel_hi:[1,0,1]
	v_pk_fma_f16 v59, v44, v35, v61 op_sel:[0,1,0]
	;; [unrolled: 2-line block ×7, first 2 shown]
	v_pk_fma_f16 v26, v45, v37, v26 op_sel_hi:[1,0,1]
	s_cmp_ge_i32 s6, s30
	v_pk_fma_f16 v57, v45, v37, v39 op_sel:[0,1,0]
	s_cbranch_scc1 .LBB71_75
; %bb.74:                               ;   in Loop: Header=BB71_9 Depth=1
	v_mov_b32_e32 v38, v0
	v_mov_b32_e32 v39, v1
	v_mov_b32_e32 v36, v2
	v_mov_b32_e32 v37, v3
	v_mov_b32_e32 v34, v4
	v_mov_b32_e32 v35, v5
	v_mov_b32_e32 v0, v6
	v_mov_b32_e32 v1, v7
	s_branch .LBB71_9
.LBB71_75:
	v_cmp_lt_i32_e32 vcc, v71, v69
	v_cndmask_b32_e32 v16, v17, v71, vcc
	v_lshlrev_b32_e32 v23, 2, v16
	ds_bpermute_b32 v34, v23, v12
	ds_bpermute_b32 v35, v23, v13
	v_cmp_lt_i32_e32 vcc, v74, v69
	v_cndmask_b32_e32 v16, v17, v74, vcc
	v_lshlrev_b32_e32 v25, 2, v16
	ds_bpermute_b32 v36, v23, v14
	s_waitcnt lgkmcnt(1)
	v_pk_add_f32 v[12:13], v[12:13], v[34:35]
	ds_bpermute_b32 v37, v23, v15
	ds_bpermute_b32 v34, v25, v12
	;; [unrolled: 1-line block ×3, first 2 shown]
	v_cmp_lt_i32_e32 vcc, v73, v69
	v_cndmask_b32_e32 v16, v17, v73, vcc
	s_waitcnt lgkmcnt(2)
	v_pk_add_f32 v[14:15], v[14:15], v[36:37]
	v_lshlrev_b32_e32 v27, 2, v16
	s_waitcnt lgkmcnt(0)
	v_pk_add_f32 v[12:13], v[12:13], v[34:35]
	ds_bpermute_b32 v36, v25, v14
	ds_bpermute_b32 v37, v25, v15
	;; [unrolled: 1-line block ×6, first 2 shown]
	s_waitcnt lgkmcnt(4)
	v_pk_add_f32 v[14:15], v[14:15], v[36:37]
	v_cmp_lt_i32_e32 vcc, v72, v69
	s_waitcnt lgkmcnt(2)
	v_pk_add_f32 v[12:13], v[12:13], v[34:35]
	ds_bpermute_b32 v34, v27, v14
	ds_bpermute_b32 v35, v27, v15
	v_cndmask_b32_e32 v16, v17, v72, vcc
	s_waitcnt lgkmcnt(2)
	v_pk_add_f32 v[8:9], v[8:9], v[38:39]
	v_lshlrev_b32_e32 v29, 2, v16
	ds_bpermute_b32 v38, v25, v8
	s_waitcnt lgkmcnt(1)
	v_pk_add_f32 v[14:15], v[14:15], v[34:35]
	ds_bpermute_b32 v34, v23, v10
	ds_bpermute_b32 v35, v23, v11
	;; [unrolled: 1-line block ×5, first 2 shown]
	v_cmp_lt_i32_e32 vcc, v70, v69
	s_waitcnt lgkmcnt(3)
	v_pk_add_f32 v[10:11], v[10:11], v[34:35]
	ds_bpermute_b32 v34, v25, v10
	ds_bpermute_b32 v35, v25, v11
	s_waitcnt lgkmcnt(4)
	v_pk_add_f32 v[8:9], v[8:9], v[38:39]
	s_waitcnt lgkmcnt(2)
	v_pk_add_f32 v[14:15], v[14:15], v[36:37]
	ds_bpermute_b32 v36, v27, v8
	ds_bpermute_b32 v37, v27, v9
	s_waitcnt lgkmcnt(2)
	v_pk_add_f32 v[10:11], v[10:11], v[34:35]
	ds_bpermute_b32 v34, v27, v10
	ds_bpermute_b32 v35, v27, v11
	v_cndmask_b32_e32 v31, v17, v70, vcc
	s_waitcnt lgkmcnt(2)
	v_pk_add_f32 v[8:9], v[8:9], v[36:37]
	ds_bpermute_b32 v16, v29, v12
	ds_bpermute_b32 v17, v29, v13
	s_waitcnt lgkmcnt(2)
	v_pk_add_f32 v[10:11], v[10:11], v[34:35]
	ds_bpermute_b32 v34, v29, v10
	ds_bpermute_b32 v35, v29, v11
	;; [unrolled: 1-line block ×4, first 2 shown]
	v_lshlrev_b32_e32 v31, 2, v31
	s_waitcnt lgkmcnt(4)
	v_pk_add_f32 v[12:13], v[12:13], v[16:17]
	s_waitcnt lgkmcnt(2)
	v_pk_add_f32 v[10:11], v[10:11], v[34:35]
	ds_bpermute_b32 v16, v31, v12
	s_waitcnt lgkmcnt(1)
	v_pk_add_f32 v[8:9], v[8:9], v[36:37]
	ds_bpermute_b32 v17, v31, v13
	ds_bpermute_b32 v38, v31, v14
	;; [unrolled: 1-line block ×7, first 2 shown]
	s_cmp_lg_u64 s[16:17], 0
	s_cselect_b64 s[0:1], -1, 0
	s_cmp_eq_u32 s7, 0
	s_cselect_b64 s[8:9], -1, 0
	s_and_b64 s[0:1], s[8:9], s[0:1]
	s_waitcnt lgkmcnt(6)
	v_pk_add_f32 v[40:41], v[12:13], v[16:17]
	s_waitcnt lgkmcnt(4)
	v_pk_add_f32 v[38:39], v[14:15], v[38:39]
	;; [unrolled: 2-line block ×4, first 2 shown]
	s_and_b64 vcc, exec, s[0:1]
	s_cbranch_vccz .LBB71_77
; %bb.76:
	s_ashr_i32 s29, s28, 31
	s_lshl_b64 s[0:1], s[28:29], 2
	s_add_u32 s0, s16, s0
	s_addc_u32 s1, s17, s1
	v_mov_b32_e32 v8, 0
	global_load_dwordx4 v[42:45], v8, s[0:1]
	global_load_dwordx4 v[14:17], v8, s[0:1] offset:16
	v_max_f32_e32 v8, v1, v1
	v_max_f32_e32 v10, v0, v0
	;; [unrolled: 1-line block ×3, first 2 shown]
	s_mov_b32 s6, 0x3fb8aa3b
	v_max_f32_e32 v12, v2, v2
	s_mov_b32 s1, 0xc2ce8ed0
	s_mov_b32 s0, 0x42b17218
	v_mov_b32_e32 v23, 0x7f800000
	s_waitcnt vmcnt(1)
	v_max_f32_e32 v9, v43, v43
	v_max_f32_e32 v13, v42, v42
	;; [unrolled: 1-line block ×5, first 2 shown]
	v_pk_add_f32 v[0:1], v[0:1], v[8:9] neg_lo:[0,1] neg_hi:[0,1]
	v_max_f32_e32 v27, v44, v44
	v_max_f32_e32 v11, v11, v25
	v_mul_f32_e32 v25, 0x3fb8aa3b, v1
	v_max_f32_e32 v10, v12, v27
	v_pk_add_f32 v[12:13], v[42:43], v[8:9] neg_lo:[0,1] neg_hi:[0,1]
	v_mul_f32_e32 v27, 0x3fb8aa3b, v0
	v_fma_f32 v43, v1, s6, -v25
	v_rndne_f32_e32 v46, v25
	v_mul_f32_e32 v29, 0x3fb8aa3b, v13
	v_fma_f32 v47, v0, s6, -v27
	v_rndne_f32_e32 v48, v27
	v_fmac_f32_e32 v43, 0x32a5705f, v1
	v_sub_f32_e32 v25, v25, v46
	v_mul_f32_e32 v31, 0x3fb8aa3b, v12
	v_fma_f32 v49, v13, s6, -v29
	v_rndne_f32_e32 v50, v29
	v_fmac_f32_e32 v47, 0x32a5705f, v0
	v_sub_f32_e32 v27, v27, v48
	v_add_f32_e32 v25, v25, v43
	v_fma_f32 v51, v12, s6, -v31
	v_rndne_f32_e32 v52, v31
	v_cvt_i32_f32_e32 v46, v46
	v_fmac_f32_e32 v49, 0x32a5705f, v13
	v_sub_f32_e32 v29, v29, v50
	v_add_f32_e32 v27, v27, v47
	v_exp_f32_e32 v25, v25
	v_cvt_i32_f32_e32 v48, v48
	v_fmac_f32_e32 v51, 0x32a5705f, v12
	v_sub_f32_e32 v31, v31, v52
	v_add_f32_e32 v29, v29, v49
	v_exp_f32_e32 v27, v27
	v_cvt_i32_f32_e32 v50, v50
	v_add_f32_e32 v31, v31, v51
	v_exp_f32_e32 v29, v29
	v_cvt_i32_f32_e32 v52, v52
	v_exp_f32_e32 v31, v31
	v_ldexp_f32 v25, v25, v46
	v_cmp_ngt_f32_e32 vcc, s1, v1
	v_ldexp_f32 v27, v27, v48
	v_cndmask_b32_e32 v25, 0, v25, vcc
	v_cmp_ngt_f32_e32 vcc, s1, v0
	v_pk_add_f32 v[2:3], v[2:3], v[10:11] neg_lo:[0,1] neg_hi:[0,1]
	v_ldexp_f32 v29, v29, v50
	v_cndmask_b32_e32 v27, 0, v27, vcc
	v_cmp_ngt_f32_e32 vcc, s1, v13
	v_mul_f32_e32 v33, 0x3fb8aa3b, v3
	v_ldexp_f32 v31, v31, v52
	v_cndmask_b32_e32 v29, 0, v29, vcc
	v_cmp_ngt_f32_e32 vcc, s1, v12
	v_mul_f32_e32 v42, 0x3fb8aa3b, v2
	v_fma_f32 v53, v3, s6, -v33
	v_rndne_f32_e32 v54, v33
	v_cndmask_b32_e32 v31, 0, v31, vcc
	v_cmp_nlt_f32_e32 vcc, s0, v1
	v_fma_f32 v64, v2, s6, -v42
	v_rndne_f32_e32 v65, v42
	v_fmac_f32_e32 v53, 0x32a5705f, v3
	v_sub_f32_e32 v33, v33, v54
	v_cndmask_b32_e32 v1, v23, v25, vcc
	v_cmp_nlt_f32_e32 vcc, s0, v0
	v_fmac_f32_e32 v64, 0x32a5705f, v2
	v_sub_f32_e32 v42, v42, v65
	v_add_f32_e32 v33, v33, v53
	v_cndmask_b32_e32 v0, v23, v27, vcc
	v_cvt_i32_f32_e32 v54, v54
	v_add_f32_e32 v42, v42, v64
	v_exp_f32_e32 v33, v33
	v_cmp_nlt_f32_e32 vcc, s0, v13
	v_cvt_f16_f32_e32 v25, v0
	v_cvt_i32_f32_e32 v65, v65
	v_exp_f32_e32 v42, v42
	v_cndmask_b32_e32 v13, v23, v29, vcc
	v_cmp_nlt_f32_e32 vcc, s0, v12
	v_cvt_f16_f32_e32 v27, v1
	v_cndmask_b32_e32 v12, v23, v31, vcc
	v_pk_fma_f32 v[40:41], v[40:41], v[0:1], v[12:13]
	v_pk_add_f32 v[12:13], v[44:45], v[10:11] neg_lo:[0,1] neg_hi:[0,1]
	v_ldexp_f32 v33, v33, v54
	v_pk_mul_f16 v63, v25, v63 op_sel_hi:[0,1]
	v_pk_mul_f16 v32, v25, v32 op_sel_hi:[0,1]
	v_cmp_ngt_f32_e32 vcc, s1, v3
	v_mul_f32_e32 v25, 0x3fb8aa3b, v13
	v_pk_mul_f16 v62, v27, v62 op_sel_hi:[0,1]
	v_pk_mul_f16 v30, v27, v30 op_sel_hi:[0,1]
	v_cndmask_b32_e32 v1, 0, v33, vcc
	v_ldexp_f32 v0, v42, v65
	v_cmp_ngt_f32_e32 vcc, s1, v2
	v_fma_f32 v27, v13, s6, -v25
	v_rndne_f32_e32 v29, v25
	v_cndmask_b32_e32 v0, 0, v0, vcc
	v_cmp_nlt_f32_e32 vcc, s0, v2
	v_fmac_f32_e32 v27, 0x32a5705f, v13
	v_sub_f32_e32 v25, v25, v29
	v_cndmask_b32_e32 v0, v23, v0, vcc
	v_add_f32_e32 v25, v25, v27
	v_cvt_f16_f32_e32 v2, v0
	v_exp_f32_e32 v25, v25
	v_cvt_i32_f32_e32 v27, v29
	v_cmp_nlt_f32_e32 vcc, s0, v3
	v_mul_f32_e32 v3, 0x3fb8aa3b, v12
	v_pk_mul_f16 v60, v2, v60 op_sel_hi:[0,1]
	v_pk_mul_f16 v28, v2, v28 op_sel_hi:[0,1]
	v_ldexp_f32 v2, v25, v27
	v_fma_f32 v25, v12, s6, -v3
	v_rndne_f32_e32 v27, v3
	v_fmac_f32_e32 v25, 0x32a5705f, v12
	v_sub_f32_e32 v3, v3, v27
	v_add_f32_e32 v3, v3, v25
	v_exp_f32_e32 v25, v3
	v_cvt_i32_f32_e32 v27, v27
	v_cndmask_b32_e32 v1, v23, v1, vcc
	v_cmp_ngt_f32_e32 vcc, s1, v13
	v_cndmask_b32_e32 v2, 0, v2, vcc
	v_cmp_nlt_f32_e32 vcc, s0, v13
	v_cndmask_b32_e32 v3, v23, v2, vcc
	v_ldexp_f32 v2, v25, v27
	v_cmp_ngt_f32_e32 vcc, s1, v12
	v_cvt_f16_f32_e32 v13, v1
	v_cndmask_b32_e32 v2, 0, v2, vcc
	v_cmp_nlt_f32_e32 vcc, s0, v12
	v_cndmask_b32_e32 v2, v23, v2, vcc
	v_pk_fma_f32 v[38:39], v[38:39], v[0:1], v[2:3]
	s_waitcnt vmcnt(0)
	v_max_f32_e32 v0, v15, v15
	v_max_f32_e32 v1, v5, v5
	v_pk_mul_f16 v59, v13, v59 op_sel_hi:[0,1]
	v_pk_mul_f16 v24, v13, v24 op_sel_hi:[0,1]
	v_max_f32_e32 v13, v1, v0
	v_max_f32_e32 v0, v14, v14
	;; [unrolled: 1-line block ×4, first 2 shown]
	v_pk_add_f32 v[0:1], v[4:5], v[12:13] neg_lo:[0,1] neg_hi:[0,1]
	v_mul_f32_e32 v2, 0x3fb8aa3b, v1
	v_fma_f32 v3, v1, s6, -v2
	v_rndne_f32_e32 v4, v2
	v_fmac_f32_e32 v3, 0x32a5705f, v1
	v_sub_f32_e32 v2, v2, v4
	v_add_f32_e32 v2, v2, v3
	v_cvt_i32_f32_e32 v3, v4
	v_mul_f32_e32 v4, 0x3fb8aa3b, v0
	v_fma_f32 v5, v0, s6, -v4
	v_rndne_f32_e32 v25, v4
	v_fmac_f32_e32 v5, 0x32a5705f, v0
	v_sub_f32_e32 v4, v4, v25
	v_exp_f32_e32 v2, v2
	v_add_f32_e32 v4, v4, v5
	v_exp_f32_e32 v4, v4
	v_cvt_i32_f32_e32 v5, v25
	v_ldexp_f32 v2, v2, v3
	v_cmp_ngt_f32_e32 vcc, s1, v1
	v_cndmask_b32_e32 v25, 0, v2, vcc
	v_ldexp_f32 v2, v4, v5
	v_cmp_ngt_f32_e32 vcc, s1, v0
	v_cndmask_b32_e32 v2, 0, v2, vcc
	v_cmp_nlt_f32_e32 vcc, s0, v0
	v_cndmask_b32_e32 v0, v23, v2, vcc
	v_pk_add_f32 v[2:3], v[14:15], v[12:13] neg_lo:[0,1] neg_hi:[0,1]
	v_mul_f32_e32 v5, 0x3fb8aa3b, v3
	v_fma_f32 v14, v3, s6, -v5
	v_rndne_f32_e32 v15, v5
	v_fmac_f32_e32 v14, 0x32a5705f, v3
	v_sub_f32_e32 v5, v5, v15
	v_add_f32_e32 v5, v5, v14
	v_cvt_f16_f32_e32 v4, v0
	v_exp_f32_e32 v5, v5
	v_cvt_i32_f32_e32 v14, v15
	v_cmp_nlt_f32_e32 vcc, s0, v1
	v_pk_mul_f16 v56, v4, v56 op_sel_hi:[0,1]
	v_pk_mul_f16 v22, v4, v22 op_sel_hi:[0,1]
	v_ldexp_f32 v4, v5, v14
	v_mul_f32_e32 v5, 0x3fb8aa3b, v2
	v_fma_f32 v14, v2, s6, -v5
	v_rndne_f32_e32 v15, v5
	v_fmac_f32_e32 v14, 0x32a5705f, v2
	v_sub_f32_e32 v5, v5, v15
	v_add_f32_e32 v5, v5, v14
	v_exp_f32_e32 v5, v5
	v_cvt_i32_f32_e32 v14, v15
	v_cndmask_b32_e32 v1, v23, v25, vcc
	v_cmp_ngt_f32_e32 vcc, s1, v3
	v_cndmask_b32_e32 v4, 0, v4, vcc
	v_cmp_nlt_f32_e32 vcc, s0, v3
	v_cndmask_b32_e32 v3, v23, v4, vcc
	v_ldexp_f32 v4, v5, v14
	v_cmp_ngt_f32_e32 vcc, s1, v2
	v_cndmask_b32_e32 v4, 0, v4, vcc
	v_cmp_nlt_f32_e32 vcc, s0, v2
	v_cndmask_b32_e32 v2, v23, v4, vcc
	v_cvt_f16_f32_e32 v5, v1
	v_pk_fma_f32 v[36:37], v[36:37], v[0:1], v[2:3]
	v_max_f32_e32 v0, v17, v17
	v_max_f32_e32 v1, v7, v7
	;; [unrolled: 1-line block ×6, first 2 shown]
	v_pk_add_f32 v[0:1], v[6:7], v[14:15] neg_lo:[0,1] neg_hi:[0,1]
	v_mul_f32_e32 v2, 0x3fb8aa3b, v1
	v_fma_f32 v3, v1, s6, -v2
	v_rndne_f32_e32 v4, v2
	v_fmac_f32_e32 v3, 0x32a5705f, v1
	v_sub_f32_e32 v2, v2, v4
	v_add_f32_e32 v2, v2, v3
	v_cvt_i32_f32_e32 v3, v4
	v_mul_f32_e32 v4, 0x3fb8aa3b, v0
	v_pk_mul_f16 v55, v5, v55 op_sel_hi:[0,1]
	v_pk_mul_f16 v20, v5, v20 op_sel_hi:[0,1]
	v_fma_f32 v5, v0, s6, -v4
	v_rndne_f32_e32 v6, v4
	v_fmac_f32_e32 v5, 0x32a5705f, v0
	v_sub_f32_e32 v4, v4, v6
	v_exp_f32_e32 v2, v2
	v_add_f32_e32 v4, v4, v5
	v_exp_f32_e32 v4, v4
	v_cvt_i32_f32_e32 v5, v6
	v_ldexp_f32 v2, v2, v3
	v_cmp_ngt_f32_e32 vcc, s1, v1
	v_cndmask_b32_e32 v6, 0, v2, vcc
	v_ldexp_f32 v2, v4, v5
	v_cmp_ngt_f32_e32 vcc, s1, v0
	v_cndmask_b32_e32 v2, 0, v2, vcc
	v_cmp_nlt_f32_e32 vcc, s0, v0
	v_cndmask_b32_e32 v0, v23, v2, vcc
	v_pk_add_f32 v[2:3], v[16:17], v[14:15] neg_lo:[0,1] neg_hi:[0,1]
	v_mul_f32_e32 v5, 0x3fb8aa3b, v3
	v_fma_f32 v7, v3, s6, -v5
	v_rndne_f32_e32 v16, v5
	v_fmac_f32_e32 v7, 0x32a5705f, v3
	v_sub_f32_e32 v5, v5, v16
	v_add_f32_e32 v5, v5, v7
	v_cvt_f16_f32_e32 v4, v0
	v_exp_f32_e32 v5, v5
	v_cvt_i32_f32_e32 v7, v16
	v_cmp_nlt_f32_e32 vcc, s0, v1
	v_pk_mul_f16 v61, v4, v61 op_sel_hi:[0,1]
	v_pk_mul_f16 v26, v4, v26 op_sel_hi:[0,1]
	v_ldexp_f32 v4, v5, v7
	v_mul_f32_e32 v5, 0x3fb8aa3b, v2
	v_cndmask_b32_e32 v1, v23, v6, vcc
	v_fma_f32 v6, v2, s6, -v5
	v_rndne_f32_e32 v7, v5
	v_fmac_f32_e32 v6, 0x32a5705f, v2
	v_sub_f32_e32 v5, v5, v7
	v_add_f32_e32 v5, v5, v6
	v_exp_f32_e32 v5, v5
	v_cvt_i32_f32_e32 v6, v7
	v_cmp_ngt_f32_e32 vcc, s1, v3
	v_cndmask_b32_e32 v4, 0, v4, vcc
	v_cmp_nlt_f32_e32 vcc, s0, v3
	v_cndmask_b32_e32 v3, v23, v4, vcc
	v_ldexp_f32 v4, v5, v6
	v_cvt_f16_f32_e32 v5, v1
	v_cmp_ngt_f32_e32 vcc, s1, v2
	v_cndmask_b32_e32 v4, 0, v4, vcc
	v_cmp_nlt_f32_e32 vcc, s0, v2
	v_cndmask_b32_e32 v2, v23, v4, vcc
	v_pk_fma_f32 v[34:35], v[34:35], v[0:1], v[2:3]
	v_pk_mul_f16 v58, v5, v58 op_sel_hi:[0,1]
	v_pk_mul_f16 v57, v5, v57 op_sel_hi:[0,1]
	v_pk_mov_b32 v[0:1], v[8:9], v[8:9] op_sel:[0,1]
	v_pk_mov_b32 v[2:3], v[10:11], v[10:11] op_sel:[0,1]
	;; [unrolled: 1-line block ×4, first 2 shown]
.LBB71_77:
	v_cmp_gt_i32_e32 vcc, s2, v21
	s_and_saveexec_b64 s[0:1], vcc
	s_cbranch_execz .LBB71_110
; %bb.78:
	s_load_dword s6, s[4:5], 0xd4
	v_mov_b32_e32 v10, 1.0
	s_waitcnt lgkmcnt(0)
	s_cmp_lg_u32 s6, 1
	s_cselect_b64 s[0:1], -1, 0
	s_cmp_eq_u32 s6, 1
	s_cselect_b64 s[4:5], -1, 0
	s_and_b64 vcc, exec, s[0:1]
	s_cbranch_vccnz .LBB71_80
; %bb.79:
	v_div_scale_f32 v8, s[8:9], v40, v40, 1.0
	v_rcp_f32_e32 v9, v8
	v_div_scale_f32 v10, vcc, 1.0, v40, 1.0
	v_fma_f32 v11, -v8, v9, 1.0
	v_fmac_f32_e32 v9, v11, v9
	v_mul_f32_e32 v11, v10, v9
	v_fma_f32 v12, -v8, v11, v10
	v_fmac_f32_e32 v11, v12, v9
	v_fma_f32 v8, -v8, v11, v10
	v_div_fmas_f32 v8, v8, v9, v11
	v_div_fixup_f32 v10, v8, v40, 1.0
.LBB71_80:
	s_mul_i32 s33, s33, s2
	v_add_u32_e32 v8, s33, v21
	v_mul_lo_u32 v8, v8, s3
	v_add_u32_e32 v8, s28, v8
	v_mul_lo_u32 v8, s6, v8
	v_add_u32_e32 v8, s7, v8
	v_cvt_f32_f16_sdwa v15, v63 dst_sel:DWORD dst_unused:UNUSED_PAD src0_sel:WORD_1
	v_cvt_f32_f16_e32 v14, v63
	v_cvt_f32_f16_sdwa v17, v32 dst_sel:DWORD dst_unused:UNUSED_PAD src0_sel:WORD_1
	v_cvt_f32_f16_e32 v16, v32
	v_lshl_add_u32 v12, v8, 7, v19
	v_mov_b32_e32 v13, 0
	v_cmp_eq_u32_e32 vcc, 0, v18
	v_lshlrev_b64 v[12:13], 2, v[12:13]
	s_and_b64 s[2:3], vcc, s[0:1]
	v_mov_b32_e32 v9, s21
	v_add_co_u32_e32 v32, vcc, s20, v12
	v_addc_co_u32_e32 v33, vcc, v9, v13, vcc
	v_pk_mul_f32 v[12:13], v[10:11], v[14:15] op_sel_hi:[0,1]
	v_pk_mul_f32 v[14:15], v[10:11], v[16:17] op_sel_hi:[0,1]
	global_store_dwordx4 v[32:33], v[12:15], off
	s_and_saveexec_b64 s[0:1], s[2:3]
	s_cbranch_execz .LBB71_82
; %bb.81:
	v_ashrrev_i32_e32 v9, 31, v8
	v_lshlrev_b64 v[10:11], 3, v[8:9]
	v_mov_b32_e32 v9, s23
	v_add_co_u32_e32 v10, vcc, s22, v10
	v_addc_co_u32_e32 v11, vcc, v9, v11, vcc
	v_mov_b32_e32 v12, v0
	v_mov_b32_e32 v13, v40
	global_store_dwordx2 v[10:11], v[12:13], off
.LBB71_82:
	s_or_b64 exec, exec, s[0:1]
	v_cndmask_b32_e64 v0, 0, 1, s[4:5]
	v_cmp_ne_u32_e64 s[0:1], 1, v0
	s_andn2_b64 vcc, exec, s[4:5]
	v_mov_b32_e32 v0, 1.0
	s_cbranch_vccnz .LBB71_84
; %bb.83:
	v_div_scale_f32 v0, s[4:5], v41, v41, 1.0
	v_rcp_f32_e32 v9, v0
	v_div_scale_f32 v10, vcc, 1.0, v41, 1.0
	v_fma_f32 v11, -v0, v9, 1.0
	v_fmac_f32_e32 v9, v11, v9
	v_mul_f32_e32 v11, v10, v9
	v_fma_f32 v12, -v0, v11, v10
	v_fmac_f32_e32 v11, v12, v9
	v_fma_f32 v0, -v0, v11, v10
	v_div_fmas_f32 v0, v0, v9, v11
	v_div_fixup_f32 v0, v0, v41, 1.0
.LBB71_84:
	v_add_u32_e32 v8, s6, v8
	v_cvt_f32_f16_sdwa v13, v62 dst_sel:DWORD dst_unused:UNUSED_PAD src0_sel:WORD_1
	v_cvt_f32_f16_e32 v12, v62
	v_cvt_f32_f16_sdwa v15, v30 dst_sel:DWORD dst_unused:UNUSED_PAD src0_sel:WORD_1
	v_cvt_f32_f16_e32 v14, v30
	v_lshl_add_u32 v10, v8, 7, v19
	v_mov_b32_e32 v11, 0
	v_lshlrev_b64 v[10:11], 2, v[10:11]
	v_mov_b32_e32 v9, s21
	v_add_co_u32_e32 v16, vcc, s20, v10
	v_addc_co_u32_e32 v17, vcc, v9, v11, vcc
	v_pk_mul_f32 v[10:11], v[0:1], v[12:13] op_sel_hi:[0,1]
	v_pk_mul_f32 v[12:13], v[0:1], v[14:15] op_sel_hi:[0,1]
	global_store_dwordx4 v[16:17], v[10:13], off
	s_and_saveexec_b64 s[4:5], s[2:3]
	s_cbranch_execz .LBB71_86
; %bb.85:
	v_ashrrev_i32_e32 v9, 31, v8
	v_lshlrev_b64 v[10:11], 3, v[8:9]
	v_mov_b32_e32 v0, s23
	v_add_co_u32_e32 v10, vcc, s22, v10
	v_addc_co_u32_e32 v11, vcc, v0, v11, vcc
	v_mov_b32_e32 v40, v1
	global_store_dwordx2 v[10:11], v[40:41], off
.LBB71_86:
	s_or_b64 exec, exec, s[4:5]
	s_and_b64 vcc, exec, s[0:1]
	v_mov_b32_e32 v10, 1.0
	s_cbranch_vccnz .LBB71_88
; %bb.87:
	v_div_scale_f32 v0, s[4:5], v38, v38, 1.0
	v_rcp_f32_e32 v1, v0
	v_div_scale_f32 v9, vcc, 1.0, v38, 1.0
	v_fma_f32 v10, -v0, v1, 1.0
	v_fmac_f32_e32 v1, v10, v1
	v_mul_f32_e32 v10, v9, v1
	v_fma_f32 v11, -v0, v10, v9
	v_fmac_f32_e32 v10, v11, v1
	v_fma_f32 v0, -v0, v10, v9
	v_div_fmas_f32 v0, v0, v1, v10
	v_div_fixup_f32 v10, v0, v38, 1.0
.LBB71_88:
	v_add_u32_e32 v0, s6, v8
	v_cvt_f32_f16_sdwa v13, v60 dst_sel:DWORD dst_unused:UNUSED_PAD src0_sel:WORD_1
	v_cvt_f32_f16_e32 v12, v60
	v_cvt_f32_f16_sdwa v15, v28 dst_sel:DWORD dst_unused:UNUSED_PAD src0_sel:WORD_1
	v_cvt_f32_f16_e32 v14, v28
	v_lshl_add_u32 v8, v0, 7, v19
	v_mov_b32_e32 v9, 0
	v_lshlrev_b64 v[8:9], 2, v[8:9]
	v_mov_b32_e32 v1, s21
	v_add_co_u32_e32 v16, vcc, s20, v8
	v_addc_co_u32_e32 v17, vcc, v1, v9, vcc
	v_pk_mul_f32 v[8:9], v[10:11], v[12:13] op_sel_hi:[0,1]
	v_pk_mul_f32 v[10:11], v[10:11], v[14:15] op_sel_hi:[0,1]
	global_store_dwordx4 v[16:17], v[8:11], off
	s_and_saveexec_b64 s[4:5], s[2:3]
	s_cbranch_execz .LBB71_90
; %bb.89:
	v_ashrrev_i32_e32 v1, 31, v0
	v_lshlrev_b64 v[8:9], 3, v[0:1]
	v_mov_b32_e32 v1, s23
	v_add_co_u32_e32 v8, vcc, s22, v8
	v_addc_co_u32_e32 v9, vcc, v1, v9, vcc
	v_mov_b32_e32 v10, v2
	v_mov_b32_e32 v11, v38
	global_store_dwordx2 v[8:9], v[10:11], off
.LBB71_90:
	s_or_b64 exec, exec, s[4:5]
	s_and_b64 vcc, exec, s[0:1]
	v_mov_b32_e32 v2, 1.0
	s_cbranch_vccnz .LBB71_92
; %bb.91:
	v_div_scale_f32 v1, s[4:5], v39, v39, 1.0
	v_rcp_f32_e32 v2, v1
	v_div_scale_f32 v8, vcc, 1.0, v39, 1.0
	v_fma_f32 v9, -v1, v2, 1.0
	v_fmac_f32_e32 v2, v9, v2
	v_mul_f32_e32 v9, v8, v2
	v_fma_f32 v10, -v1, v9, v8
	v_fmac_f32_e32 v9, v10, v2
	v_fma_f32 v1, -v1, v9, v8
	v_div_fmas_f32 v1, v1, v2, v9
	v_div_fixup_f32 v2, v1, v39, 1.0
.LBB71_92:
	v_add_u32_e32 v0, s6, v0
	v_cvt_f32_f16_sdwa v11, v59 dst_sel:DWORD dst_unused:UNUSED_PAD src0_sel:WORD_1
	v_cvt_f32_f16_e32 v10, v59
	v_cvt_f32_f16_sdwa v13, v24 dst_sel:DWORD dst_unused:UNUSED_PAD src0_sel:WORD_1
	v_cvt_f32_f16_e32 v12, v24
	v_lshl_add_u32 v8, v0, 7, v19
	v_mov_b32_e32 v9, 0
	v_lshlrev_b64 v[8:9], 2, v[8:9]
	v_mov_b32_e32 v1, s21
	v_add_co_u32_e32 v14, vcc, s20, v8
	v_addc_co_u32_e32 v15, vcc, v1, v9, vcc
	v_pk_mul_f32 v[8:9], v[2:3], v[10:11] op_sel_hi:[0,1]
	v_pk_mul_f32 v[10:11], v[2:3], v[12:13] op_sel_hi:[0,1]
	global_store_dwordx4 v[14:15], v[8:11], off
	s_and_saveexec_b64 s[4:5], s[2:3]
	s_cbranch_execz .LBB71_94
; %bb.93:
	v_ashrrev_i32_e32 v1, 31, v0
	v_lshlrev_b64 v[8:9], 3, v[0:1]
	v_mov_b32_e32 v1, s23
	v_add_co_u32_e32 v8, vcc, s22, v8
	v_addc_co_u32_e32 v9, vcc, v1, v9, vcc
	v_mov_b32_e32 v38, v3
	global_store_dwordx2 v[8:9], v[38:39], off
.LBB71_94:
	s_or_b64 exec, exec, s[4:5]
	s_and_b64 vcc, exec, s[0:1]
	v_mov_b32_e32 v2, 1.0
	s_cbranch_vccnz .LBB71_96
; %bb.95:
	v_div_scale_f32 v1, s[4:5], v36, v36, 1.0
	v_rcp_f32_e32 v2, v1
	v_div_scale_f32 v3, vcc, 1.0, v36, 1.0
	v_fma_f32 v8, -v1, v2, 1.0
	v_fmac_f32_e32 v2, v8, v2
	v_mul_f32_e32 v8, v3, v2
	v_fma_f32 v9, -v1, v8, v3
	v_fmac_f32_e32 v8, v9, v2
	v_fma_f32 v1, -v1, v8, v3
	v_div_fmas_f32 v1, v1, v2, v8
	v_div_fixup_f32 v2, v1, v36, 1.0
.LBB71_96:
	v_add_u32_e32 v0, s6, v0
	v_cvt_f32_f16_sdwa v11, v56 dst_sel:DWORD dst_unused:UNUSED_PAD src0_sel:WORD_1
	v_cvt_f32_f16_e32 v10, v56
	v_cvt_f32_f16_sdwa v13, v22 dst_sel:DWORD dst_unused:UNUSED_PAD src0_sel:WORD_1
	v_cvt_f32_f16_e32 v12, v22
	v_lshl_add_u32 v8, v0, 7, v19
	v_mov_b32_e32 v9, 0
	v_lshlrev_b64 v[8:9], 2, v[8:9]
	v_mov_b32_e32 v1, s21
	v_add_co_u32_e32 v14, vcc, s20, v8
	v_addc_co_u32_e32 v15, vcc, v1, v9, vcc
	v_pk_mul_f32 v[8:9], v[2:3], v[10:11] op_sel_hi:[0,1]
	v_pk_mul_f32 v[10:11], v[2:3], v[12:13] op_sel_hi:[0,1]
	global_store_dwordx4 v[14:15], v[8:11], off
	s_and_saveexec_b64 s[4:5], s[2:3]
	s_cbranch_execz .LBB71_98
; %bb.97:
	v_ashrrev_i32_e32 v1, 31, v0
	v_lshlrev_b64 v[2:3], 3, v[0:1]
	v_mov_b32_e32 v1, s23
	v_add_co_u32_e32 v2, vcc, s22, v2
	v_addc_co_u32_e32 v3, vcc, v1, v3, vcc
	v_mov_b32_e32 v8, v4
	v_mov_b32_e32 v9, v36
	global_store_dwordx2 v[2:3], v[8:9], off
.LBB71_98:
	s_or_b64 exec, exec, s[4:5]
	s_and_b64 vcc, exec, s[0:1]
	v_mov_b32_e32 v2, 1.0
	s_cbranch_vccnz .LBB71_100
; %bb.99:
	v_div_scale_f32 v1, s[4:5], v37, v37, 1.0
	v_rcp_f32_e32 v2, v1
	v_div_scale_f32 v3, vcc, 1.0, v37, 1.0
	v_fma_f32 v4, -v1, v2, 1.0
	v_fmac_f32_e32 v2, v4, v2
	v_mul_f32_e32 v4, v3, v2
	v_fma_f32 v8, -v1, v4, v3
	v_fmac_f32_e32 v4, v8, v2
	v_fma_f32 v1, -v1, v4, v3
	v_div_fmas_f32 v1, v1, v2, v4
	v_div_fixup_f32 v2, v1, v37, 1.0
.LBB71_100:
	v_add_u32_e32 v0, s6, v0
	v_cvt_f32_f16_sdwa v11, v55 dst_sel:DWORD dst_unused:UNUSED_PAD src0_sel:WORD_1
	v_cvt_f32_f16_e32 v10, v55
	v_cvt_f32_f16_sdwa v13, v20 dst_sel:DWORD dst_unused:UNUSED_PAD src0_sel:WORD_1
	v_cvt_f32_f16_e32 v12, v20
	v_lshl_add_u32 v8, v0, 7, v19
	v_mov_b32_e32 v9, 0
	v_lshlrev_b64 v[8:9], 2, v[8:9]
	v_mov_b32_e32 v1, s21
	v_add_co_u32_e32 v14, vcc, s20, v8
	v_addc_co_u32_e32 v15, vcc, v1, v9, vcc
	v_pk_mul_f32 v[8:9], v[2:3], v[10:11] op_sel_hi:[0,1]
	v_pk_mul_f32 v[10:11], v[2:3], v[12:13] op_sel_hi:[0,1]
	global_store_dwordx4 v[14:15], v[8:11], off
	s_and_saveexec_b64 s[4:5], s[2:3]
	s_cbranch_execz .LBB71_102
; %bb.101:
	v_ashrrev_i32_e32 v1, 31, v0
	v_lshlrev_b64 v[2:3], 3, v[0:1]
	v_mov_b32_e32 v1, s23
	v_add_co_u32_e32 v2, vcc, s22, v2
	v_addc_co_u32_e32 v3, vcc, v1, v3, vcc
	v_mov_b32_e32 v36, v5
	global_store_dwordx2 v[2:3], v[36:37], off
.LBB71_102:
	s_or_b64 exec, exec, s[4:5]
	s_and_b64 vcc, exec, s[0:1]
	v_mov_b32_e32 v2, 1.0
	s_cbranch_vccnz .LBB71_104
; %bb.103:
	v_div_scale_f32 v1, s[4:5], v34, v34, 1.0
	v_rcp_f32_e32 v2, v1
	v_div_scale_f32 v3, vcc, 1.0, v34, 1.0
	v_fma_f32 v4, -v1, v2, 1.0
	v_fmac_f32_e32 v2, v4, v2
	v_mul_f32_e32 v4, v3, v2
	v_fma_f32 v5, -v1, v4, v3
	v_fmac_f32_e32 v4, v5, v2
	v_fma_f32 v1, -v1, v4, v3
	v_div_fmas_f32 v1, v1, v2, v4
	v_div_fixup_f32 v2, v1, v34, 1.0
.LBB71_104:
	v_add_u32_e32 v0, s6, v0
	v_cvt_f32_f16_sdwa v9, v61 dst_sel:DWORD dst_unused:UNUSED_PAD src0_sel:WORD_1
	v_cvt_f32_f16_e32 v8, v61
	v_cvt_f32_f16_sdwa v11, v26 dst_sel:DWORD dst_unused:UNUSED_PAD src0_sel:WORD_1
	v_cvt_f32_f16_e32 v10, v26
	v_lshl_add_u32 v4, v0, 7, v19
	v_mov_b32_e32 v5, 0
	v_lshlrev_b64 v[4:5], 2, v[4:5]
	v_mov_b32_e32 v1, s21
	v_add_co_u32_e32 v4, vcc, s20, v4
	v_addc_co_u32_e32 v5, vcc, v1, v5, vcc
	v_pk_mul_f32 v[8:9], v[2:3], v[8:9] op_sel_hi:[0,1]
	v_pk_mul_f32 v[10:11], v[2:3], v[10:11] op_sel_hi:[0,1]
	global_store_dwordx4 v[4:5], v[8:11], off
	s_and_saveexec_b64 s[4:5], s[2:3]
	s_cbranch_execz .LBB71_106
; %bb.105:
	v_ashrrev_i32_e32 v1, 31, v0
	v_lshlrev_b64 v[2:3], 3, v[0:1]
	v_mov_b32_e32 v1, s23
	v_add_co_u32_e32 v2, vcc, s22, v2
	v_addc_co_u32_e32 v3, vcc, v1, v3, vcc
	v_mov_b32_e32 v4, v6
	v_mov_b32_e32 v5, v34
	global_store_dwordx2 v[2:3], v[4:5], off
.LBB71_106:
	s_or_b64 exec, exec, s[4:5]
	s_and_b64 vcc, exec, s[0:1]
	v_mov_b32_e32 v2, 1.0
	s_cbranch_vccnz .LBB71_108
; %bb.107:
	v_div_scale_f32 v1, s[0:1], v35, v35, 1.0
	v_rcp_f32_e32 v2, v1
	v_div_scale_f32 v3, vcc, 1.0, v35, 1.0
	v_fma_f32 v4, -v1, v2, 1.0
	v_fmac_f32_e32 v2, v4, v2
	v_mul_f32_e32 v4, v3, v2
	v_fma_f32 v5, -v1, v4, v3
	v_fmac_f32_e32 v4, v5, v2
	v_fma_f32 v1, -v1, v4, v3
	v_div_fmas_f32 v1, v1, v2, v4
	v_div_fixup_f32 v2, v1, v35, 1.0
.LBB71_108:
	v_add_u32_e32 v0, s6, v0
	v_cvt_f32_f16_sdwa v9, v58 dst_sel:DWORD dst_unused:UNUSED_PAD src0_sel:WORD_1
	v_cvt_f32_f16_e32 v8, v58
	v_cvt_f32_f16_sdwa v11, v57 dst_sel:DWORD dst_unused:UNUSED_PAD src0_sel:WORD_1
	v_cvt_f32_f16_e32 v10, v57
	v_lshl_add_u32 v4, v0, 7, v19
	v_mov_b32_e32 v5, 0
	v_lshlrev_b64 v[4:5], 2, v[4:5]
	v_mov_b32_e32 v1, s21
	v_add_co_u32_e32 v4, vcc, s20, v4
	v_addc_co_u32_e32 v5, vcc, v1, v5, vcc
	v_pk_mul_f32 v[8:9], v[2:3], v[8:9] op_sel_hi:[0,1]
	v_pk_mul_f32 v[10:11], v[2:3], v[10:11] op_sel_hi:[0,1]
	global_store_dwordx4 v[4:5], v[8:11], off
	s_and_b64 exec, exec, s[2:3]
	s_cbranch_execz .LBB71_110
; %bb.109:
	v_ashrrev_i32_e32 v1, 31, v0
	v_lshlrev_b64 v[0:1], 3, v[0:1]
	v_mov_b32_e32 v2, s23
	v_add_co_u32_e32 v0, vcc, s22, v0
	v_addc_co_u32_e32 v1, vcc, v2, v1, vcc
	v_mov_b32_e32 v34, v7
	global_store_dwordx2 v[0:1], v[34:35], off
.LBB71_110:
	s_endpgm
	.section	.rodata,"a",@progbits
	.p2align	6, 0x0
	.amdhsa_kernel _ZL15flash_attn_tileILi128ELi128ELi8ELi8ELb1EEvPKcS1_S1_S1_S1_PKiPfP15HIP_vector_typeIfLj2EEffffjfiS5_IjLj3EEiiiiiiiiiiiliiliiiiil
		.amdhsa_group_segment_fixed_size 29696
		.amdhsa_private_segment_fixed_size 0
		.amdhsa_kernarg_size 464
		.amdhsa_user_sgpr_count 6
		.amdhsa_user_sgpr_private_segment_buffer 1
		.amdhsa_user_sgpr_dispatch_ptr 0
		.amdhsa_user_sgpr_queue_ptr 0
		.amdhsa_user_sgpr_kernarg_segment_ptr 1
		.amdhsa_user_sgpr_dispatch_id 0
		.amdhsa_user_sgpr_flat_scratch_init 0
		.amdhsa_user_sgpr_kernarg_preload_length 0
		.amdhsa_user_sgpr_kernarg_preload_offset 0
		.amdhsa_user_sgpr_private_segment_size 0
		.amdhsa_uses_dynamic_stack 0
		.amdhsa_system_sgpr_private_segment_wavefront_offset 0
		.amdhsa_system_sgpr_workgroup_id_x 1
		.amdhsa_system_sgpr_workgroup_id_y 1
		.amdhsa_system_sgpr_workgroup_id_z 1
		.amdhsa_system_sgpr_workgroup_info 0
		.amdhsa_system_vgpr_workitem_id 1
		.amdhsa_next_free_vgpr 112
		.amdhsa_next_free_sgpr 39
		.amdhsa_accum_offset 112
		.amdhsa_reserve_vcc 1
		.amdhsa_reserve_flat_scratch 0
		.amdhsa_float_round_mode_32 0
		.amdhsa_float_round_mode_16_64 0
		.amdhsa_float_denorm_mode_32 3
		.amdhsa_float_denorm_mode_16_64 3
		.amdhsa_dx10_clamp 1
		.amdhsa_ieee_mode 1
		.amdhsa_fp16_overflow 0
		.amdhsa_tg_split 0
		.amdhsa_exception_fp_ieee_invalid_op 0
		.amdhsa_exception_fp_denorm_src 0
		.amdhsa_exception_fp_ieee_div_zero 0
		.amdhsa_exception_fp_ieee_overflow 0
		.amdhsa_exception_fp_ieee_underflow 0
		.amdhsa_exception_fp_ieee_inexact 0
		.amdhsa_exception_int_div_zero 0
	.end_amdhsa_kernel
	.section	.text._ZL15flash_attn_tileILi128ELi128ELi8ELi8ELb1EEvPKcS1_S1_S1_S1_PKiPfP15HIP_vector_typeIfLj2EEffffjfiS5_IjLj3EEiiiiiiiiiiiliiliiiiil,"axG",@progbits,_ZL15flash_attn_tileILi128ELi128ELi8ELi8ELb1EEvPKcS1_S1_S1_S1_PKiPfP15HIP_vector_typeIfLj2EEffffjfiS5_IjLj3EEiiiiiiiiiiiliiliiiiil,comdat
.Lfunc_end71:
	.size	_ZL15flash_attn_tileILi128ELi128ELi8ELi8ELb1EEvPKcS1_S1_S1_S1_PKiPfP15HIP_vector_typeIfLj2EEffffjfiS5_IjLj3EEiiiiiiiiiiiliiliiiiil, .Lfunc_end71-_ZL15flash_attn_tileILi128ELi128ELi8ELi8ELb1EEvPKcS1_S1_S1_S1_PKiPfP15HIP_vector_typeIfLj2EEffffjfiS5_IjLj3EEiiiiiiiiiiiliiliiiiil
                                        ; -- End function
	.section	.AMDGPU.csdata,"",@progbits
; Kernel info:
; codeLenInByte = 32336
; NumSgprs: 43
; NumVgprs: 112
; NumAgprs: 0
; TotalNumVgprs: 112
; ScratchSize: 0
; MemoryBound: 0
; FloatMode: 240
; IeeeMode: 1
; LDSByteSize: 29696 bytes/workgroup (compile time only)
; SGPRBlocks: 5
; VGPRBlocks: 13
; NumSGPRsForWavesPerEU: 43
; NumVGPRsForWavesPerEU: 112
; AccumOffset: 112
; Occupancy: 2
; WaveLimiterHint : 1
; COMPUTE_PGM_RSRC2:SCRATCH_EN: 0
; COMPUTE_PGM_RSRC2:USER_SGPR: 6
; COMPUTE_PGM_RSRC2:TRAP_HANDLER: 0
; COMPUTE_PGM_RSRC2:TGID_X_EN: 1
; COMPUTE_PGM_RSRC2:TGID_Y_EN: 1
; COMPUTE_PGM_RSRC2:TGID_Z_EN: 1
; COMPUTE_PGM_RSRC2:TIDIG_COMP_CNT: 1
; COMPUTE_PGM_RSRC3_GFX90A:ACCUM_OFFSET: 27
; COMPUTE_PGM_RSRC3_GFX90A:TG_SPLIT: 0
	.section	.text._ZL15flash_attn_tileILi128ELi128ELi4ELi8ELb1EEvPKcS1_S1_S1_S1_PKiPfP15HIP_vector_typeIfLj2EEffffjfiS5_IjLj3EEiiiiiiiiiiiliiliiiiil,"axG",@progbits,_ZL15flash_attn_tileILi128ELi128ELi4ELi8ELb1EEvPKcS1_S1_S1_S1_PKiPfP15HIP_vector_typeIfLj2EEffffjfiS5_IjLj3EEiiiiiiiiiiiliiliiiiil,comdat
	.globl	_ZL15flash_attn_tileILi128ELi128ELi4ELi8ELb1EEvPKcS1_S1_S1_S1_PKiPfP15HIP_vector_typeIfLj2EEffffjfiS5_IjLj3EEiiiiiiiiiiiliiliiiiil ; -- Begin function _ZL15flash_attn_tileILi128ELi128ELi4ELi8ELb1EEvPKcS1_S1_S1_S1_PKiPfP15HIP_vector_typeIfLj2EEffffjfiS5_IjLj3EEiiiiiiiiiiiliiliiiiil
	.p2align	8
	.type	_ZL15flash_attn_tileILi128ELi128ELi4ELi8ELb1EEvPKcS1_S1_S1_S1_PKiPfP15HIP_vector_typeIfLj2EEffffjfiS5_IjLj3EEiiiiiiiiiiiliiliiiiil,@function
_ZL15flash_attn_tileILi128ELi128ELi4ELi8ELb1EEvPKcS1_S1_S1_S1_PKiPfP15HIP_vector_typeIfLj2EEffffjfiS5_IjLj3EEiiiiiiiiiiiliiliiiiil: ; @_ZL15flash_attn_tileILi128ELi128ELi4ELi8ELb1EEvPKcS1_S1_S1_S1_PKiPfP15HIP_vector_typeIfLj2EEffffjfiS5_IjLj3EEiiiiiiiiiiiliiliiiiil
; %bb.0:
	s_load_dwordx4 s[0:3], s[4:5], 0x5c
	s_load_dwordx2 s[28:29], s[4:5], 0x80
	s_load_dwordx2 s[34:35], s[4:5], 0xb8
	s_mov_b64 s[30:31], 0
	s_waitcnt lgkmcnt(0)
	s_ashr_i32 s9, s3, 31
	s_lshr_b32 s9, s9, 29
	s_add_i32 s9, s3, s9
	s_ashr_i32 s9, s9, 3
	v_cvt_f32_u32_e32 v1, s9
	s_sub_i32 s10, 0, s9
	v_rcp_iflag_f32_e32 v1, v1
	v_mul_f32_e32 v1, 0x4f7ffffe, v1
	v_cvt_u32_f32_e32 v1, v1
	v_readfirstlane_b32 s11, v1
	s_mul_i32 s10, s10, s11
	s_mul_hi_u32 s10, s11, s10
	s_add_i32 s11, s11, s10
	s_mul_hi_u32 s10, s8, s11
	s_mul_i32 s11, s10, s9
	s_sub_i32 s11, s8, s11
	s_add_i32 s12, s10, 1
	s_sub_i32 s13, s11, s9
	s_cmp_ge_u32 s11, s9
	s_cselect_b32 s10, s12, s10
	s_cselect_b32 s11, s13, s11
	s_add_i32 s12, s10, 1
	s_cmp_ge_u32 s11, s9
	s_cselect_b32 s33, s12, s10
	s_abs_i32 s9, s29
	v_cvt_f32_u32_e32 v1, s9
	s_lshl_b32 s8, s8, 3
	s_mul_i32 s12, s33, s3
	s_xor_b32 s10, s3, s29
	v_rcp_iflag_f32_e32 v1, v1
	s_sub_i32 s13, 0, s9
	s_sub_i32 s29, s8, s12
	s_abs_i32 s11, s3
	v_mul_f32_e32 v1, 0x4f7ffffe, v1
	v_cvt_u32_f32_e32 v1, v1
	s_ashr_i32 s10, s10, 31
	v_readfirstlane_b32 s8, v1
	s_mul_i32 s13, s13, s8
	s_mul_hi_u32 s12, s8, s13
	s_add_i32 s8, s8, s12
	s_mul_hi_u32 s8, s11, s8
	s_mul_i32 s12, s8, s9
	s_sub_i32 s11, s11, s12
	s_add_i32 s13, s8, 1
	s_sub_i32 s12, s11, s9
	s_cmp_ge_u32 s11, s9
	s_cselect_b32 s8, s13, s8
	s_cselect_b32 s11, s12, s11
	s_add_i32 s12, s8, 1
	s_cmp_ge_u32 s11, s9
	s_cselect_b32 s8, s12, s8
	s_xor_b32 s8, s8, s10
	s_sub_i32 s37, s8, s10
	s_abs_i32 s36, s37
	v_cvt_f32_u32_e32 v1, s36
	s_load_dwordx16 s[8:23], s[4:5], 0x0
	v_rcp_iflag_f32_e32 v1, v1
	s_waitcnt lgkmcnt(0)
	s_cmp_eq_u64 s[14:15], 0
	v_mul_f32_e32 v1, 0x4f7ffffe, v1
	v_cvt_u32_f32_e32 v1, v1
	v_readfirstlane_b32 s38, v1
	s_cbranch_scc1 .LBB72_2
; %bb.1:
	s_abs_i32 s26, s34
	v_cvt_f32_u32_e32 v1, s26
	s_sub_i32 s31, 0, s26
	s_abs_i32 s30, s33
	s_ashr_i32 s27, s33, 31
	v_rcp_iflag_f32_e32 v1, v1
	s_load_dwordx2 s[24:25], s[4:5], 0xc8
	v_mul_f32_e32 v1, 0x4f7ffffe, v1
	v_cvt_u32_f32_e32 v1, v1
	v_readfirstlane_b32 s34, v1
	s_mul_i32 s31, s31, s34
	s_mul_hi_u32 s31, s34, s31
	s_add_i32 s34, s34, s31
	s_mul_hi_u32 s31, s30, s34
	s_mul_i32 s31, s31, s26
	s_sub_i32 s30, s30, s31
	s_sub_i32 s31, s30, s26
	s_cmp_ge_u32 s30, s26
	s_cselect_b32 s30, s31, s30
	s_sub_i32 s31, s30, s26
	s_cmp_ge_u32 s30, s26
	s_cselect_b32 s26, s31, s30
	s_xor_b32 s26, s26, s27
	s_sub_i32 s26, s26, s27
	s_ashr_i32 s27, s26, 31
	s_waitcnt lgkmcnt(0)
	s_mul_i32 s25, s26, s25
	s_mul_hi_u32 s30, s26, s24
	s_add_i32 s25, s30, s25
	s_mul_i32 s27, s27, s24
	s_add_i32 s25, s25, s27
	s_mul_i32 s26, s26, s24
	s_add_u32 s30, s14, s26
	s_addc_u32 s31, s15, s25
.LBB72_2:
	s_load_dwordx4 s[24:27], s[4:5], 0x70
	v_bfe_u32 v12, v0, 10, 10
	v_lshrrev_b32_e32 v1, 1, v12
	v_lshl_add_u32 v5, s6, 2, v1
	v_mul_hi_u32 v1, s0, v5
	s_waitcnt lgkmcnt(0)
	s_mul_i32 s14, s33, s26
	s_ashr_i32 s26, s14, 31
	s_mul_i32 s15, s29, s25
	s_add_u32 s8, s8, s14
	v_add_u32_e32 v1, v5, v1
	s_addc_u32 s9, s9, s26
	s_ashr_i32 s14, s15, 31
	v_lshrrev_b32_e32 v1, s1, v1
	s_add_u32 s8, s8, s15
	v_mul_lo_u32 v1, v1, s2
	s_addc_u32 s9, s9, s14
	v_sub_u32_e32 v10, v5, v1
	s_ashr_i32 s15, s24, 31
	v_mov_b32_e32 v1, s24
	v_alignbit_b32 v1, s15, v1, 2
	v_mad_u64_u32 v[2:3], s[0:1], v1, v10, 0
	v_mov_b32_e32 v4, v3
	s_lshr_b32 s0, s15, 2
	v_mad_u64_u32 v[6:7], s[0:1], s0, v10, v[4:5]
	v_mov_b32_e32 v3, v6
	v_and_b32_e32 v4, 0x3ff, v0
	v_lshlrev_b64 v[0:1], 2, v[2:3]
	v_mov_b32_e32 v2, s9
	v_add_co_u32_e32 v0, vcc, s8, v0
	v_addc_co_u32_e32 v1, vcc, v2, v1, vcc
	v_lshlrev_b32_e32 v2, 4, v4
	v_lshlrev_b32_e32 v13, 2, v12
	s_ashr_i32 s14, s25, 31
	v_add_co_u32_e32 v11, vcc, v0, v2
	v_mov_b32_e32 v0, s25
	v_and_b32_e32 v23, 4, v13
	s_lshr_b32 s8, s14, 2
	v_alignbit_b32 v18, s14, v0, 2
	v_addc_co_u32_e32 v22, vcc, 0, v1, vcc
	v_mul_lo_u32 v2, s8, v23
	v_mad_u64_u32 v[0:1], s[0:1], v18, v23, 0
	v_or_b32_e32 v1, v1, v2
	v_lshlrev_b64 v[0:1], 2, v[0:1]
	v_or_b32_e32 v24, 1, v13
	v_add_co_u32_e32 v0, vcc, v11, v0
	v_and_b32_e32 v9, 5, v24
	v_addc_co_u32_e32 v1, vcc, v22, v1, vcc
	v_mad_u64_u32 v[6:7], s[0:1], v18, v9, 0
	global_load_dwordx4 v[0:3], v[0:1], off
	v_mov_b32_e32 v8, v7
	v_mad_u64_u32 v[8:9], s[0:1], s8, v9, v[8:9]
	v_mov_b32_e32 v7, v8
	v_lshlrev_b64 v[6:7], 2, v[6:7]
	v_or_b32_e32 v25, 2, v13
	v_add_co_u32_e32 v6, vcc, v11, v6
	v_and_b32_e32 v17, 6, v25
	v_addc_co_u32_e32 v7, vcc, v22, v7, vcc
	global_load_dwordx4 v[6:9], v[6:7], off
	v_mad_u64_u32 v[14:15], s[0:1], v18, v17, 0
	v_mov_b32_e32 v16, v15
	v_mad_u64_u32 v[16:17], s[0:1], s8, v17, v[16:17]
	v_mov_b32_e32 v15, v16
	v_lshlrev_b64 v[14:15], 2, v[14:15]
	v_or_b32_e32 v26, 3, v13
	v_add_co_u32_e32 v14, vcc, v11, v14
	v_and_b32_e32 v21, 7, v26
	v_addc_co_u32_e32 v15, vcc, v22, v15, vcc
	v_mad_u64_u32 v[18:19], s[0:1], v18, v21, 0
	global_load_dwordx4 v[14:17], v[14:15], off
	v_mov_b32_e32 v20, v19
	v_mad_u64_u32 v[20:21], s[0:1], s8, v21, v[20:21]
	v_mov_b32_e32 v19, v20
	v_lshlrev_b64 v[18:19], 2, v[18:19]
	v_add_co_u32_e32 v18, vcc, v11, v18
	v_addc_co_u32_e32 v19, vcc, v22, v19, vcc
	global_load_dwordx4 v[18:21], v[18:19], off
	s_load_dword s0, s[4:5], 0x40
	v_lshlrev_b32_e32 v11, 1, v4
	s_cmp_eq_u64 s[18:19], 0
	s_waitcnt vmcnt(3) lgkmcnt(0)
	v_pk_mul_f32 v[0:1], v[0:1], s[0:1] op_sel_hi:[1,0]
	v_pk_mul_f32 v[2:3], v[2:3], s[0:1] op_sel_hi:[1,0]
	v_cvt_f16_f32_e32 v22, v1
	v_cvt_f16_f32_e32 v1, v3
	v_cvt_f16_f32_e32 v2, v2
	v_cvt_f16_f32_e32 v0, v0
	v_lshlrev_b32_e32 v3, 8, v12
	v_add_lshl_u32 v3, v3, v11, 2
	v_pack_b32_f16 v1, v2, v1
	v_pack_b32_f16 v0, v0, v22
	ds_write_b64 v3, v[0:1] offset:9216
	s_waitcnt vmcnt(2)
	v_pk_mul_f32 v[0:1], v[6:7], s[0:1] op_sel_hi:[1,0]
	v_pk_mul_f32 v[2:3], v[8:9], s[0:1] op_sel_hi:[1,0]
	v_cvt_f16_f32_e32 v6, v1
	v_cvt_f16_f32_e32 v1, v3
	v_cvt_f16_f32_e32 v2, v2
	v_cvt_f16_f32_e32 v0, v0
	v_lshlrev_b32_e32 v3, 6, v24
	v_add_lshl_u32 v3, v3, v11, 2
	v_pack_b32_f16 v1, v2, v1
	v_pack_b32_f16 v0, v0, v6
	ds_write_b64 v3, v[0:1] offset:9216
	s_waitcnt vmcnt(1)
	;; [unrolled: 12-line block ×3, first 2 shown]
	v_pk_mul_f32 v[0:1], v[18:19], s[0:1] op_sel_hi:[1,0]
	v_pk_mul_f32 v[2:3], v[20:21], s[0:1] op_sel_hi:[1,0]
	v_cvt_f16_f32_e32 v6, v1
	v_cvt_f16_f32_e32 v1, v3
	v_cvt_f16_f32_e32 v2, v2
	v_cvt_f16_f32_e32 v0, v0
	v_lshlrev_b32_e32 v3, 6, v26
	v_add_lshl_u32 v3, v3, v11, 2
	v_pack_b32_f16 v1, v2, v1
	v_pack_b32_f16 v0, v0, v6
	ds_write_b64 v3, v[0:1] offset:9216
	s_waitcnt lgkmcnt(0)
	s_barrier
	s_cbranch_scc1 .LBB72_4
; %bb.3:
	s_load_dword s0, s[4:5], 0xd0
	s_mov_b32 s1, 0
	s_waitcnt lgkmcnt(0)
	s_mul_i32 s0, s0, s33
	s_add_i32 s0, s0, s6
	s_lshl_b64 s[0:1], s[0:1], 2
	s_add_u32 s0, s18, s0
	s_addc_u32 s1, s19, s1
	s_load_dword s28, s[0:1], 0x0
.LBB72_4:
	s_lshl_b32 s6, s7, 6
	s_waitcnt lgkmcnt(0)
	s_cmp_lt_i32 s6, s28
	v_mbcnt_lo_u32_b32 v16, -1, 0
	s_cbranch_scc1 .LBB72_6
; %bb.5:
	v_mbcnt_hi_u32_b32 v11, -1, v16
	v_and_b32_e32 v0, 0x60, v11
	s_mov_b32 s8, 0
	v_add_u32_e32 v56, 32, v0
	v_xor_b32_e32 v59, 16, v11
	v_xor_b32_e32 v60, 8, v11
	;; [unrolled: 1-line block ×5, first 2 shown]
	s_mov_b64 s[0:1], 0
	s_mov_b32 s9, 0xfeffffff
	s_branch .LBB72_7
.LBB72_6:
	s_mov_b64 s[0:1], -1
                                        ; implicit-def: $sgpr9
                                        ; implicit-def: $sgpr8
                                        ; implicit-def: $vgpr11
                                        ; implicit-def: $vgpr56
                                        ; implicit-def: $vgpr59
                                        ; implicit-def: $vgpr60
                                        ; implicit-def: $vgpr61
                                        ; implicit-def: $vgpr58
                                        ; implicit-def: $vgpr57
.LBB72_7:
	v_lshlrev_b32_e32 v21, 2, v4
	s_andn2_b64 vcc, exec, s[0:1]
	v_mov_b32_e32 v3, s9
	v_mov_b32_e32 v7, s8
	;; [unrolled: 1-line block ×16, first 2 shown]
	s_cbranch_vccnz .LBB72_43
; %bb.8:
	s_sub_i32 s0, 0, s36
	s_mul_i32 s0, s0, s38
	s_mul_hi_u32 s0, s38, s0
	s_add_i32 s38, s38, s0
	s_load_dwordx4 s[24:27], s[4:5], 0x98
	s_load_dword s0, s[4:5], 0x54
	s_load_dwordx2 s[8:9], s[4:5], 0x8c
	s_abs_i32 s1, s29
	s_mul_hi_u32 s18, s1, s38
	s_waitcnt lgkmcnt(0)
	s_ashr_i32 s14, s26, 2
	s_ashr_i32 s26, s35, 1
	;; [unrolled: 1-line block ×4, first 2 shown]
	s_mul_i32 s25, s33, s25
	s_mul_hi_u32 s35, s33, s24
	s_add_i32 s25, s35, s25
	s_mul_i32 s35, s8, s24
	s_ashr_i32 s19, s29, 31
	s_ashr_i32 s34, s37, 31
	s_add_i32 s25, s25, s35
	s_mul_i32 s24, s33, s24
	s_add_u32 s10, s10, s24
	s_mul_i32 s24, s18, s36
	s_addc_u32 s11, s11, s25
	s_sub_i32 s1, s1, s24
	s_xor_b32 s19, s19, s34
	s_add_i32 s24, s18, 1
	s_sub_i32 s25, s1, s36
	s_cmp_ge_u32 s1, s36
	s_cselect_b32 s18, s24, s18
	s_cselect_b32 s1, s25, s1
	s_add_i32 s24, s18, 1
	s_cmp_ge_u32 s1, s36
	s_load_dwordx2 s[38:39], s[4:5], 0xa8
	s_cselect_b32 s1, s24, s18
	s_xor_b32 s1, s1, s19
	s_sub_i32 s1, s1, s19
	s_mul_i32 s9, s1, s9
	s_ashr_i32 s19, s9, 31
	s_add_u32 s18, s10, s9
	s_waitcnt lgkmcnt(0)
	s_mul_i32 s9, s33, s39
	s_mul_hi_u32 s10, s33, s38
	s_addc_u32 s19, s11, s19
	s_add_i32 s9, s10, s9
	s_mul_i32 s8, s8, s38
	s_add_i32 s9, s9, s8
	s_mul_i32 s8, s33, s38
	s_add_u32 s8, s12, s8
	s_mul_i32 s1, s1, s27
	v_lshrrev_b32_e32 v0, 3, v4
	s_addc_u32 s9, s13, s9
	s_ashr_i32 s10, s1, 31
	v_add_u32_e32 v1, v0, v13
	v_and_b32_e32 v0, 28, v21
	s_add_u32 s12, s8, s1
	v_lshlrev_b32_e32 v2, 2, v0
	s_movk_i32 s1, 0x90
	v_mad_u32_u24 v25, v1, s1, v2
	v_mul_lo_u32 v2, s15, v1
	v_mov_b32_e32 v1, 0x2400
	v_lshl_add_u32 v40, v12, 10, v1
	v_mov_b32_e32 v1, 0x4400
	v_lshl_add_u32 v41, v12, 9, v1
	v_lshrrev_b32_e32 v1, 4, v4
	v_lshl_add_u32 v1, v12, 1, v1
	v_and_b32_e32 v8, 60, v21
	v_mul_lo_u32 v18, s14, v1
	s_addc_u32 s13, s9, s10
	v_lshl_add_u32 v6, s15, 5, v2
	v_mad_u64_u32 v[10:11], s[8:9], v10, s26, v[4:5]
	v_lshlrev_b32_e32 v9, 2, v8
	v_lshl_add_u32 v28, s14, 4, v18
	v_mov_b32_e32 v53, 0
	v_ashrrev_i32_e32 v3, 31, v2
	v_ashrrev_i32_e32 v7, 31, v6
	v_lshl_or_b32 v43, v1, 8, v9
	v_ashrrev_i32_e32 v19, 31, v18
	v_ashrrev_i32_e32 v29, 31, v28
	s_add_u32 s8, s4, 0xd0
	v_mov_b32_e32 v26, 0xfeffffff
	v_add_u32_e32 v38, 0x1200, v25
	v_mul_u32_u24_e32 v39, 0x90, v4
	v_lshlrev_b32_e32 v42, 3, v4
	v_add_u32_e32 v44, 0x1000, v43
	s_addc_u32 s9, s5, 0
	s_mov_b32 s1, s0
	v_lshlrev_b64 v[12:13], 2, v[2:3]
	v_lshlrev_b32_e32 v45, 2, v0
	v_lshlrev_b64 v[14:15], 2, v[6:7]
	s_mov_b32 s24, 0x3f200000
	s_mov_b32 s25, 0x3fb8aa3b
	;; [unrolled: 1-line block ×4, first 2 shown]
	v_mov_b32_e32 v46, 0xbd5c1c4e
	v_mov_b32_e32 v47, 0x3e088382
	;; [unrolled: 1-line block ×3, first 2 shown]
	s_brev_b32 s34, -2
	v_mbcnt_hi_u32_b32 v11, -1, v16
	v_lshlrev_b64 v[16:17], 2, v[18:19]
	v_lshlrev_b32_e32 v49, 2, v8
	v_lshlrev_b64 v[18:19], 2, v[28:29]
	v_mov_b32_e32 v50, 0x7f800000
	v_mov_b32_e32 v54, 0
	;; [unrolled: 1-line block ×15, first 2 shown]
.LBB72_9:                               ; =>This Inner Loop Header: Depth=1
	s_mul_hi_i32 s11, s6, s15
	s_mul_i32 s10, s6, s15
	s_lshl_b64 s[10:11], s[10:11], 2
	s_add_u32 s10, s18, s10
	s_addc_u32 s11, s19, s11
	v_mov_b32_e32 v2, s11
	v_add_co_u32_e32 v3, vcc, s10, v12
	v_addc_co_u32_e32 v28, vcc, v2, v13, vcc
	v_add_co_u32_e32 v2, vcc, v3, v45
	v_addc_co_u32_e32 v3, vcc, 0, v28, vcc
	v_mov_b32_e32 v28, s11
	v_add_co_u32_e32 v29, vcc, s10, v14
	v_addc_co_u32_e32 v30, vcc, v28, v15, vcc
	v_add_co_u32_e32 v28, vcc, v29, v45
	v_addc_co_u32_e32 v29, vcc, 0, v30, vcc
	global_load_dwordx4 v[56:59], v[2:3], off
	global_load_dwordx4 v[60:63], v[28:29], off
	v_mov_b32_e32 v30, 0
	v_mov_b32_e32 v31, 0
	;; [unrolled: 1-line block ×8, first 2 shown]
	s_waitcnt vmcnt(1)
	ds_write_b128 v25, v[56:59]
	s_waitcnt vmcnt(0)
	ds_write_b128 v38, v[60:63]
	s_waitcnt lgkmcnt(0)
	s_barrier
	ds_read_b128 v[56:59], v40
	ds_read_b128 v[60:63], v39
	ds_read_b128 v[64:67], v39 offset:4608
	ds_read_b128 v[68:71], v40 offset:256
	;; [unrolled: 1-line block ×4, first 2 shown]
	s_waitcnt lgkmcnt(4)
	;;#ASMSTART
	v_dot2_f32_f16 v30, v60, v56, v30
	;;#ASMEND
	;;#ASMSTART
	v_dot2_f32_f16 v30, v61, v57, v30
	;;#ASMEND
	;;#ASMSTART
	v_dot2_f32_f16 v30, v62, v58, v30
	;;#ASMEND
	;;#ASMSTART
	v_dot2_f32_f16 v30, v63, v59, v30
	;;#ASMEND
	s_waitcnt lgkmcnt(2)
	;;#ASMSTART
	v_dot2_f32_f16 v31, v60, v68, v31
	;;#ASMEND
	;;#ASMSTART
	v_dot2_f32_f16 v31, v61, v69, v31
	;;#ASMEND
	;;#ASMSTART
	v_dot2_f32_f16 v31, v62, v70, v31
	;;#ASMEND
	;;#ASMSTART
	v_dot2_f32_f16 v31, v63, v71, v31
	;;#ASMEND
	;; [unrolled: 13-line block ×4, first 2 shown]
	;;#ASMSTART
	v_dot2_f32_f16 v37, v64, v56, v37
	;;#ASMEND
	;;#ASMSTART
	v_dot2_f32_f16 v37, v65, v57, v37
	;;#ASMEND
	;; [unrolled: 3-line block ×16, first 2 shown]
	ds_read_b128 v[56:59], v40 offset:16
	ds_read_b128 v[60:63], v39 offset:16
	;; [unrolled: 1-line block ×6, first 2 shown]
	s_waitcnt lgkmcnt(4)
	;;#ASMSTART
	v_dot2_f32_f16 v30, v60, v56, v30
	;;#ASMEND
	;;#ASMSTART
	v_dot2_f32_f16 v30, v61, v57, v30
	;;#ASMEND
	;;#ASMSTART
	v_dot2_f32_f16 v30, v62, v58, v30
	;;#ASMEND
	;;#ASMSTART
	v_dot2_f32_f16 v30, v63, v59, v30
	;;#ASMEND
	s_waitcnt lgkmcnt(2)
	;;#ASMSTART
	v_dot2_f32_f16 v31, v60, v68, v31
	;;#ASMEND
	;;#ASMSTART
	v_dot2_f32_f16 v31, v61, v69, v31
	;;#ASMEND
	;;#ASMSTART
	v_dot2_f32_f16 v31, v62, v70, v31
	;;#ASMEND
	;;#ASMSTART
	v_dot2_f32_f16 v31, v63, v71, v31
	;;#ASMEND
	s_waitcnt lgkmcnt(1)
	;;#ASMSTART
	v_dot2_f32_f16 v34, v60, v72, v34
	;;#ASMEND
	;;#ASMSTART
	v_dot2_f32_f16 v34, v61, v73, v34
	;;#ASMEND
	;;#ASMSTART
	v_dot2_f32_f16 v34, v62, v74, v34
	;;#ASMEND
	;;#ASMSTART
	v_dot2_f32_f16 v34, v63, v75, v34
	;;#ASMEND
	s_waitcnt lgkmcnt(0)
	;;#ASMSTART
	v_dot2_f32_f16 v32, v60, v76, v32
	;;#ASMEND
	;;#ASMSTART
	v_dot2_f32_f16 v32, v61, v77, v32
	;;#ASMEND
	;;#ASMSTART
	v_dot2_f32_f16 v32, v62, v78, v32
	;;#ASMEND
	;;#ASMSTART
	v_dot2_f32_f16 v32, v63, v79, v32
	;;#ASMEND
	;;#ASMSTART
	v_dot2_f32_f16 v37, v64, v56, v37
	;;#ASMEND
	;;#ASMSTART
	v_dot2_f32_f16 v37, v65, v57, v37
	;;#ASMEND
	;; [unrolled: 3-line block ×16, first 2 shown]
	ds_read_b128 v[56:59], v40 offset:32
	ds_read_b128 v[60:63], v39 offset:32
	;; [unrolled: 1-line block ×6, first 2 shown]
	s_waitcnt lgkmcnt(4)
	;;#ASMSTART
	v_dot2_f32_f16 v30, v60, v56, v30
	;;#ASMEND
	;;#ASMSTART
	v_dot2_f32_f16 v30, v61, v57, v30
	;;#ASMEND
	;;#ASMSTART
	v_dot2_f32_f16 v30, v62, v58, v30
	;;#ASMEND
	;;#ASMSTART
	v_dot2_f32_f16 v30, v63, v59, v30
	;;#ASMEND
	s_waitcnt lgkmcnt(2)
	;;#ASMSTART
	v_dot2_f32_f16 v31, v60, v68, v31
	;;#ASMEND
	;;#ASMSTART
	v_dot2_f32_f16 v31, v61, v69, v31
	;;#ASMEND
	;;#ASMSTART
	v_dot2_f32_f16 v31, v62, v70, v31
	;;#ASMEND
	;;#ASMSTART
	v_dot2_f32_f16 v31, v63, v71, v31
	;;#ASMEND
	;; [unrolled: 13-line block ×4, first 2 shown]
	;;#ASMSTART
	v_dot2_f32_f16 v37, v64, v56, v37
	;;#ASMEND
	;;#ASMSTART
	v_dot2_f32_f16 v37, v65, v57, v37
	;;#ASMEND
	;; [unrolled: 3-line block ×16, first 2 shown]
	ds_read_b128 v[56:59], v40 offset:48
	ds_read_b128 v[60:63], v39 offset:48
	ds_read_b128 v[64:67], v39 offset:4656
	ds_read_b128 v[68:71], v40 offset:304
	ds_read_b128 v[72:75], v40 offset:560
	ds_read_b128 v[76:79], v40 offset:816
	s_waitcnt lgkmcnt(4)
	;;#ASMSTART
	v_dot2_f32_f16 v30, v60, v56, v30
	;;#ASMEND
	;;#ASMSTART
	v_dot2_f32_f16 v30, v61, v57, v30
	;;#ASMEND
	;;#ASMSTART
	v_dot2_f32_f16 v30, v62, v58, v30
	;;#ASMEND
	;;#ASMSTART
	v_dot2_f32_f16 v30, v63, v59, v30
	;;#ASMEND
	s_waitcnt lgkmcnt(2)
	;;#ASMSTART
	v_dot2_f32_f16 v31, v60, v68, v31
	;;#ASMEND
	;;#ASMSTART
	v_dot2_f32_f16 v31, v61, v69, v31
	;;#ASMEND
	;;#ASMSTART
	v_dot2_f32_f16 v31, v62, v70, v31
	;;#ASMEND
	;;#ASMSTART
	v_dot2_f32_f16 v31, v63, v71, v31
	;;#ASMEND
	;; [unrolled: 13-line block ×4, first 2 shown]
	;;#ASMSTART
	v_dot2_f32_f16 v37, v64, v56, v37
	;;#ASMEND
	;;#ASMSTART
	v_dot2_f32_f16 v37, v65, v57, v37
	;;#ASMEND
	;; [unrolled: 3-line block ×16, first 2 shown]
	ds_read_b128 v[56:59], v40 offset:64
	ds_read_b128 v[60:63], v39 offset:64
	;; [unrolled: 1-line block ×6, first 2 shown]
	s_waitcnt lgkmcnt(4)
	;;#ASMSTART
	v_dot2_f32_f16 v30, v60, v56, v30
	;;#ASMEND
	;;#ASMSTART
	v_dot2_f32_f16 v30, v61, v57, v30
	;;#ASMEND
	;;#ASMSTART
	v_dot2_f32_f16 v30, v62, v58, v30
	;;#ASMEND
	;;#ASMSTART
	v_dot2_f32_f16 v30, v63, v59, v30
	;;#ASMEND
	s_waitcnt lgkmcnt(2)
	;;#ASMSTART
	v_dot2_f32_f16 v31, v60, v68, v31
	;;#ASMEND
	;;#ASMSTART
	v_dot2_f32_f16 v31, v61, v69, v31
	;;#ASMEND
	;;#ASMSTART
	v_dot2_f32_f16 v31, v62, v70, v31
	;;#ASMEND
	;;#ASMSTART
	v_dot2_f32_f16 v31, v63, v71, v31
	;;#ASMEND
	;; [unrolled: 13-line block ×4, first 2 shown]
	;;#ASMSTART
	v_dot2_f32_f16 v37, v64, v56, v37
	;;#ASMEND
	;;#ASMSTART
	v_dot2_f32_f16 v37, v65, v57, v37
	;;#ASMEND
	;; [unrolled: 3-line block ×16, first 2 shown]
	ds_read_b128 v[56:59], v40 offset:80
	ds_read_b128 v[60:63], v39 offset:80
	;; [unrolled: 1-line block ×6, first 2 shown]
	s_waitcnt lgkmcnt(4)
	;;#ASMSTART
	v_dot2_f32_f16 v30, v60, v56, v30
	;;#ASMEND
	;;#ASMSTART
	v_dot2_f32_f16 v30, v61, v57, v30
	;;#ASMEND
	;;#ASMSTART
	v_dot2_f32_f16 v30, v62, v58, v30
	;;#ASMEND
	;;#ASMSTART
	v_dot2_f32_f16 v30, v63, v59, v30
	;;#ASMEND
	s_waitcnt lgkmcnt(2)
	;;#ASMSTART
	v_dot2_f32_f16 v31, v60, v68, v31
	;;#ASMEND
	;;#ASMSTART
	v_dot2_f32_f16 v31, v61, v69, v31
	;;#ASMEND
	;;#ASMSTART
	v_dot2_f32_f16 v31, v62, v70, v31
	;;#ASMEND
	;;#ASMSTART
	v_dot2_f32_f16 v31, v63, v71, v31
	;;#ASMEND
	;; [unrolled: 13-line block ×4, first 2 shown]
	;;#ASMSTART
	v_dot2_f32_f16 v37, v64, v56, v37
	;;#ASMEND
	;;#ASMSTART
	v_dot2_f32_f16 v37, v65, v57, v37
	;;#ASMEND
	;; [unrolled: 3-line block ×16, first 2 shown]
	ds_read_b128 v[56:59], v40 offset:96
	ds_read_b128 v[60:63], v39 offset:96
	;; [unrolled: 1-line block ×6, first 2 shown]
	s_waitcnt lgkmcnt(4)
	;;#ASMSTART
	v_dot2_f32_f16 v30, v60, v56, v30
	;;#ASMEND
	;;#ASMSTART
	v_dot2_f32_f16 v30, v61, v57, v30
	;;#ASMEND
	;;#ASMSTART
	v_dot2_f32_f16 v30, v62, v58, v30
	;;#ASMEND
	;;#ASMSTART
	v_dot2_f32_f16 v30, v63, v59, v30
	;;#ASMEND
	s_waitcnt lgkmcnt(2)
	;;#ASMSTART
	v_dot2_f32_f16 v31, v60, v68, v31
	;;#ASMEND
	;;#ASMSTART
	v_dot2_f32_f16 v31, v61, v69, v31
	;;#ASMEND
	;;#ASMSTART
	v_dot2_f32_f16 v31, v62, v70, v31
	;;#ASMEND
	;;#ASMSTART
	v_dot2_f32_f16 v31, v63, v71, v31
	;;#ASMEND
	;; [unrolled: 13-line block ×4, first 2 shown]
	;;#ASMSTART
	v_dot2_f32_f16 v37, v64, v56, v37
	;;#ASMEND
	;;#ASMSTART
	v_dot2_f32_f16 v37, v65, v57, v37
	;;#ASMEND
	;; [unrolled: 3-line block ×16, first 2 shown]
	ds_read_b128 v[56:59], v40 offset:112
	ds_read_b128 v[60:63], v39 offset:112
	;; [unrolled: 1-line block ×6, first 2 shown]
	s_waitcnt lgkmcnt(4)
	;;#ASMSTART
	v_dot2_f32_f16 v30, v60, v56, v30
	;;#ASMEND
	;;#ASMSTART
	v_dot2_f32_f16 v30, v61, v57, v30
	;;#ASMEND
	;;#ASMSTART
	v_dot2_f32_f16 v30, v62, v58, v30
	;;#ASMEND
	;;#ASMSTART
	v_dot2_f32_f16 v30, v63, v59, v30
	;;#ASMEND
	s_waitcnt lgkmcnt(2)
	;;#ASMSTART
	v_dot2_f32_f16 v31, v60, v68, v31
	;;#ASMEND
	;;#ASMSTART
	v_dot2_f32_f16 v31, v61, v69, v31
	;;#ASMEND
	;;#ASMSTART
	v_dot2_f32_f16 v31, v62, v70, v31
	;;#ASMEND
	;;#ASMSTART
	v_dot2_f32_f16 v31, v63, v71, v31
	;;#ASMEND
	;; [unrolled: 13-line block ×4, first 2 shown]
	;;#ASMSTART
	v_dot2_f32_f16 v37, v64, v56, v37
	;;#ASMEND
	;;#ASMSTART
	v_dot2_f32_f16 v37, v65, v57, v37
	;;#ASMEND
	;; [unrolled: 3-line block ×16, first 2 shown]
	s_barrier
	global_load_dwordx4 v[56:59], v[2:3], off offset:128
	global_load_dwordx4 v[60:63], v[28:29], off offset:128
	s_waitcnt vmcnt(1)
	ds_write_b128 v25, v[56:59]
	s_waitcnt vmcnt(0)
	ds_write_b128 v38, v[60:63]
	s_waitcnt lgkmcnt(0)
	s_barrier
	ds_read_b128 v[56:59], v40 offset:128
	ds_read_b128 v[60:63], v39
	ds_read_b128 v[64:67], v39 offset:4608
	ds_read_b128 v[68:71], v40 offset:384
	;; [unrolled: 1-line block ×4, first 2 shown]
	s_waitcnt lgkmcnt(4)
	;;#ASMSTART
	v_dot2_f32_f16 v30, v60, v56, v30
	;;#ASMEND
	;;#ASMSTART
	v_dot2_f32_f16 v30, v61, v57, v30
	;;#ASMEND
	;;#ASMSTART
	v_dot2_f32_f16 v30, v62, v58, v30
	;;#ASMEND
	;;#ASMSTART
	v_dot2_f32_f16 v30, v63, v59, v30
	;;#ASMEND
	s_waitcnt lgkmcnt(2)
	;;#ASMSTART
	v_dot2_f32_f16 v31, v60, v68, v31
	;;#ASMEND
	;;#ASMSTART
	v_dot2_f32_f16 v31, v61, v69, v31
	;;#ASMEND
	;;#ASMSTART
	v_dot2_f32_f16 v31, v62, v70, v31
	;;#ASMEND
	;;#ASMSTART
	v_dot2_f32_f16 v31, v63, v71, v31
	;;#ASMEND
	;; [unrolled: 13-line block ×4, first 2 shown]
	;;#ASMSTART
	v_dot2_f32_f16 v37, v64, v56, v37
	;;#ASMEND
	;;#ASMSTART
	v_dot2_f32_f16 v37, v65, v57, v37
	;;#ASMEND
	;; [unrolled: 3-line block ×16, first 2 shown]
	ds_read_b128 v[56:59], v40 offset:144
	ds_read_b128 v[60:63], v39 offset:16
	;; [unrolled: 1-line block ×6, first 2 shown]
	s_waitcnt lgkmcnt(4)
	;;#ASMSTART
	v_dot2_f32_f16 v30, v60, v56, v30
	;;#ASMEND
	;;#ASMSTART
	v_dot2_f32_f16 v30, v61, v57, v30
	;;#ASMEND
	;;#ASMSTART
	v_dot2_f32_f16 v30, v62, v58, v30
	;;#ASMEND
	;;#ASMSTART
	v_dot2_f32_f16 v30, v63, v59, v30
	;;#ASMEND
	s_waitcnt lgkmcnt(2)
	;;#ASMSTART
	v_dot2_f32_f16 v31, v60, v68, v31
	;;#ASMEND
	;;#ASMSTART
	v_dot2_f32_f16 v31, v61, v69, v31
	;;#ASMEND
	;;#ASMSTART
	v_dot2_f32_f16 v31, v62, v70, v31
	;;#ASMEND
	;;#ASMSTART
	v_dot2_f32_f16 v31, v63, v71, v31
	;;#ASMEND
	;; [unrolled: 13-line block ×4, first 2 shown]
	;;#ASMSTART
	v_dot2_f32_f16 v37, v64, v56, v37
	;;#ASMEND
	;;#ASMSTART
	v_dot2_f32_f16 v37, v65, v57, v37
	;;#ASMEND
	;; [unrolled: 3-line block ×16, first 2 shown]
	ds_read_b128 v[56:59], v40 offset:160
	ds_read_b128 v[60:63], v39 offset:32
	;; [unrolled: 1-line block ×6, first 2 shown]
	s_waitcnt lgkmcnt(4)
	;;#ASMSTART
	v_dot2_f32_f16 v30, v60, v56, v30
	;;#ASMEND
	;;#ASMSTART
	v_dot2_f32_f16 v30, v61, v57, v30
	;;#ASMEND
	;;#ASMSTART
	v_dot2_f32_f16 v30, v62, v58, v30
	;;#ASMEND
	;;#ASMSTART
	v_dot2_f32_f16 v30, v63, v59, v30
	;;#ASMEND
	s_waitcnt lgkmcnt(2)
	;;#ASMSTART
	v_dot2_f32_f16 v31, v60, v68, v31
	;;#ASMEND
	;;#ASMSTART
	v_dot2_f32_f16 v31, v61, v69, v31
	;;#ASMEND
	;;#ASMSTART
	v_dot2_f32_f16 v31, v62, v70, v31
	;;#ASMEND
	;;#ASMSTART
	v_dot2_f32_f16 v31, v63, v71, v31
	;;#ASMEND
	;; [unrolled: 13-line block ×4, first 2 shown]
	;;#ASMSTART
	v_dot2_f32_f16 v37, v64, v56, v37
	;;#ASMEND
	;;#ASMSTART
	v_dot2_f32_f16 v37, v65, v57, v37
	;;#ASMEND
	;; [unrolled: 3-line block ×16, first 2 shown]
	ds_read_b128 v[56:59], v40 offset:176
	ds_read_b128 v[60:63], v39 offset:48
	;; [unrolled: 1-line block ×6, first 2 shown]
	s_waitcnt lgkmcnt(4)
	;;#ASMSTART
	v_dot2_f32_f16 v30, v60, v56, v30
	;;#ASMEND
	;;#ASMSTART
	v_dot2_f32_f16 v30, v61, v57, v30
	;;#ASMEND
	;;#ASMSTART
	v_dot2_f32_f16 v30, v62, v58, v30
	;;#ASMEND
	;;#ASMSTART
	v_dot2_f32_f16 v30, v63, v59, v30
	;;#ASMEND
	s_waitcnt lgkmcnt(2)
	;;#ASMSTART
	v_dot2_f32_f16 v31, v60, v68, v31
	;;#ASMEND
	;;#ASMSTART
	v_dot2_f32_f16 v31, v61, v69, v31
	;;#ASMEND
	;;#ASMSTART
	v_dot2_f32_f16 v31, v62, v70, v31
	;;#ASMEND
	;;#ASMSTART
	v_dot2_f32_f16 v31, v63, v71, v31
	;;#ASMEND
	;; [unrolled: 13-line block ×4, first 2 shown]
	;;#ASMSTART
	v_dot2_f32_f16 v37, v64, v56, v37
	;;#ASMEND
	;;#ASMSTART
	v_dot2_f32_f16 v37, v65, v57, v37
	;;#ASMEND
	;; [unrolled: 3-line block ×16, first 2 shown]
	ds_read_b128 v[56:59], v40 offset:192
	ds_read_b128 v[60:63], v39 offset:64
	;; [unrolled: 1-line block ×6, first 2 shown]
	s_waitcnt lgkmcnt(4)
	;;#ASMSTART
	v_dot2_f32_f16 v30, v60, v56, v30
	;;#ASMEND
	;;#ASMSTART
	v_dot2_f32_f16 v30, v61, v57, v30
	;;#ASMEND
	;;#ASMSTART
	v_dot2_f32_f16 v30, v62, v58, v30
	;;#ASMEND
	;;#ASMSTART
	v_dot2_f32_f16 v30, v63, v59, v30
	;;#ASMEND
	s_waitcnt lgkmcnt(2)
	;;#ASMSTART
	v_dot2_f32_f16 v31, v60, v68, v31
	;;#ASMEND
	;;#ASMSTART
	v_dot2_f32_f16 v31, v61, v69, v31
	;;#ASMEND
	;;#ASMSTART
	v_dot2_f32_f16 v31, v62, v70, v31
	;;#ASMEND
	;;#ASMSTART
	v_dot2_f32_f16 v31, v63, v71, v31
	;;#ASMEND
	;; [unrolled: 13-line block ×4, first 2 shown]
	;;#ASMSTART
	v_dot2_f32_f16 v37, v64, v56, v37
	;;#ASMEND
	;;#ASMSTART
	v_dot2_f32_f16 v37, v65, v57, v37
	;;#ASMEND
	;; [unrolled: 3-line block ×16, first 2 shown]
	ds_read_b128 v[56:59], v40 offset:208
	ds_read_b128 v[60:63], v39 offset:80
	;; [unrolled: 1-line block ×6, first 2 shown]
	s_waitcnt lgkmcnt(4)
	;;#ASMSTART
	v_dot2_f32_f16 v30, v60, v56, v30
	;;#ASMEND
	;;#ASMSTART
	v_dot2_f32_f16 v30, v61, v57, v30
	;;#ASMEND
	;;#ASMSTART
	v_dot2_f32_f16 v30, v62, v58, v30
	;;#ASMEND
	;;#ASMSTART
	v_dot2_f32_f16 v30, v63, v59, v30
	;;#ASMEND
	s_waitcnt lgkmcnt(2)
	;;#ASMSTART
	v_dot2_f32_f16 v31, v60, v68, v31
	;;#ASMEND
	;;#ASMSTART
	v_dot2_f32_f16 v31, v61, v69, v31
	;;#ASMEND
	;;#ASMSTART
	v_dot2_f32_f16 v31, v62, v70, v31
	;;#ASMEND
	;;#ASMSTART
	v_dot2_f32_f16 v31, v63, v71, v31
	;;#ASMEND
	;; [unrolled: 13-line block ×4, first 2 shown]
	;;#ASMSTART
	v_dot2_f32_f16 v37, v64, v56, v37
	;;#ASMEND
	;;#ASMSTART
	v_dot2_f32_f16 v37, v65, v57, v37
	;;#ASMEND
	;; [unrolled: 3-line block ×16, first 2 shown]
	ds_read_b128 v[56:59], v40 offset:224
	ds_read_b128 v[60:63], v39 offset:96
	;; [unrolled: 1-line block ×6, first 2 shown]
	s_waitcnt lgkmcnt(4)
	;;#ASMSTART
	v_dot2_f32_f16 v30, v60, v56, v30
	;;#ASMEND
	;;#ASMSTART
	v_dot2_f32_f16 v30, v61, v57, v30
	;;#ASMEND
	;;#ASMSTART
	v_dot2_f32_f16 v30, v62, v58, v30
	;;#ASMEND
	;;#ASMSTART
	v_dot2_f32_f16 v30, v63, v59, v30
	;;#ASMEND
	s_waitcnt lgkmcnt(2)
	;;#ASMSTART
	v_dot2_f32_f16 v31, v60, v68, v31
	;;#ASMEND
	;;#ASMSTART
	v_dot2_f32_f16 v31, v61, v69, v31
	;;#ASMEND
	;;#ASMSTART
	v_dot2_f32_f16 v31, v62, v70, v31
	;;#ASMEND
	;;#ASMSTART
	v_dot2_f32_f16 v31, v63, v71, v31
	;;#ASMEND
	;; [unrolled: 13-line block ×4, first 2 shown]
	;;#ASMSTART
	v_dot2_f32_f16 v37, v64, v56, v37
	;;#ASMEND
	;;#ASMSTART
	v_dot2_f32_f16 v37, v65, v57, v37
	;;#ASMEND
	;; [unrolled: 3-line block ×16, first 2 shown]
	ds_read_b128 v[56:59], v40 offset:240
	ds_read_b128 v[60:63], v39 offset:112
	;; [unrolled: 1-line block ×6, first 2 shown]
	s_waitcnt lgkmcnt(4)
	;;#ASMSTART
	v_dot2_f32_f16 v30, v60, v56, v30
	;;#ASMEND
	;;#ASMSTART
	v_dot2_f32_f16 v30, v61, v57, v30
	;;#ASMEND
	;;#ASMSTART
	v_dot2_f32_f16 v30, v62, v58, v30
	;;#ASMEND
	;;#ASMSTART
	v_dot2_f32_f16 v30, v63, v59, v30
	;;#ASMEND
	s_waitcnt lgkmcnt(2)
	;;#ASMSTART
	v_dot2_f32_f16 v31, v60, v68, v31
	;;#ASMEND
	;;#ASMSTART
	v_dot2_f32_f16 v31, v61, v69, v31
	;;#ASMEND
	;;#ASMSTART
	v_dot2_f32_f16 v31, v62, v70, v31
	;;#ASMEND
	;;#ASMSTART
	v_dot2_f32_f16 v31, v63, v71, v31
	;;#ASMEND
	;; [unrolled: 13-line block ×4, first 2 shown]
	;;#ASMSTART
	v_dot2_f32_f16 v37, v64, v56, v37
	;;#ASMEND
	;;#ASMSTART
	v_dot2_f32_f16 v37, v65, v57, v37
	;;#ASMEND
	;; [unrolled: 3-line block ×15, first 2 shown]
	v_cmp_nlt_f32_e64 s[10:11], |v30|, s24
	;;#ASMSTART
	v_dot2_f32_f16 v33, v67, v79, v33
	;;#ASMEND
                                        ; implicit-def: $vgpr28
	s_and_saveexec_b64 s[36:37], s[10:11]
	s_xor_b64 s[10:11], exec, s[36:37]
	s_cbranch_execz .LBB72_11
; %bb.10:                               ;   in Loop: Header=BB72_9 Depth=1
	v_add_f32_e64 v2, |v30|, |v30|
	v_mul_f32_e32 v3, 0x3fb8aa3b, v2
	v_rndne_f32_e32 v28, v3
	v_sub_f32_e32 v29, v3, v28
	v_fma_f32 v3, v2, s25, -v3
	v_fmac_f32_e32 v3, 0x32a5705f, v2
	v_add_f32_e32 v3, v29, v3
	v_cvt_i32_f32_e32 v28, v28
	v_exp_f32_e32 v3, v3
	v_cmp_ngt_f32_e32 vcc, s26, v2
	v_ldexp_f32 v3, v3, v28
	v_cndmask_b32_e32 v3, 0, v3, vcc
	v_cmp_nlt_f32_e32 vcc, s27, v2
	v_cndmask_b32_e32 v2, v50, v3, vcc
	v_add_f32_e32 v2, 1.0, v2
	v_rcp_f32_e32 v2, v2
	v_fma_f32 v28, v2, -2.0, 1.0
.LBB72_11:                              ;   in Loop: Header=BB72_9 Depth=1
	s_andn2_saveexec_b64 s[10:11], s[10:11]
; %bb.12:                               ;   in Loop: Header=BB72_9 Depth=1
	v_mul_f32_e32 v2, v30, v30
	v_mov_b32_e32 v3, 0x3ca908c9
	v_fmac_f32_e32 v3, 0xbbbac73d, v2
	v_fma_f32 v3, v2, v3, v46
	v_fma_f32 v3, v2, v3, v47
	;; [unrolled: 1-line block ×3, first 2 shown]
	v_mul_f32_e64 v3, |v30|, v3
	v_fma_f32 v28, v2, v3, |v30|
; %bb.13:                               ;   in Loop: Header=BB72_9 Depth=1
	s_or_b64 exec, exec, s[10:11]
	v_add_u32_e32 v2, s6, v10
	v_ashrrev_i32_e32 v3, 31, v2
	v_lshlrev_b64 v[2:3], 1, v[2:3]
	v_mov_b32_e32 v29, s31
	v_add_co_u32_e32 v2, vcc, s30, v2
	v_addc_co_u32_e32 v3, vcc, v29, v3, vcc
	flat_load_ushort v29, v[2:3]
	v_cmp_nlt_f32_e64 s[10:11], |v37|, s24
                                        ; implicit-def: $vgpr57
	s_and_saveexec_b64 s[36:37], s[10:11]
	s_xor_b64 s[10:11], exec, s[36:37]
	s_cbranch_execz .LBB72_15
; %bb.14:                               ;   in Loop: Header=BB72_9 Depth=1
	v_add_f32_e64 v56, |v37|, |v37|
	v_mul_f32_e32 v57, 0x3fb8aa3b, v56
	v_rndne_f32_e32 v58, v57
	v_sub_f32_e32 v59, v57, v58
	v_fma_f32 v57, v56, s25, -v57
	v_fmac_f32_e32 v57, 0x32a5705f, v56
	v_add_f32_e32 v57, v59, v57
	v_cvt_i32_f32_e32 v58, v58
	v_exp_f32_e32 v57, v57
	v_cmp_ngt_f32_e32 vcc, s26, v56
	v_ldexp_f32 v57, v57, v58
	v_cndmask_b32_e32 v57, 0, v57, vcc
	v_cmp_nlt_f32_e32 vcc, s27, v56
	v_cndmask_b32_e32 v56, v50, v57, vcc
	v_add_f32_e32 v56, 1.0, v56
	v_rcp_f32_e32 v56, v56
	v_fma_f32 v57, v56, -2.0, 1.0
.LBB72_15:                              ;   in Loop: Header=BB72_9 Depth=1
	s_andn2_saveexec_b64 s[10:11], s[10:11]
; %bb.16:                               ;   in Loop: Header=BB72_9 Depth=1
	v_mul_f32_e32 v56, v37, v37
	v_mov_b32_e32 v57, 0x3ca908c9
	v_fmac_f32_e32 v57, 0xbbbac73d, v56
	v_fma_f32 v57, v56, v57, v46
	v_fma_f32 v57, v56, v57, v47
	v_fma_f32 v57, v56, v57, v48
	v_mul_f32_e64 v57, |v37|, v57
	v_fma_f32 v57, v56, v57, |v37|
; %bb.17:                               ;   in Loop: Header=BB72_9 Depth=1
	s_or_b64 exec, exec, s[10:11]
	flat_load_ushort v3, v[2:3] offset:64
	v_bfi_b32 v2, s34, v28, v30
	v_and_b32_e32 v28, 0x60, v11
	v_add_u32_e32 v56, 32, v28
	v_xor_b32_e32 v59, 16, v11
	v_cmp_lt_i32_e32 vcc, v59, v56
	v_cndmask_b32_e32 v28, v11, v59, vcc
	v_lshlrev_b32_e32 v67, 2, v28
	v_bfi_b32 v28, s34, v57, v37
	s_waitcnt vmcnt(0) lgkmcnt(0)
	v_fma_mix_f32 v30, v2, s0, v29 op_sel_hi:[0,0,1]
	v_add_f32_e32 v2, 0x40051340, v30
	v_xor_b32_e32 v60, 8, v11
	v_cmp_lt_i32_e32 vcc, v60, v56
	v_cndmask_b32_e32 v57, v11, v60, vcc
	v_lshlrev_b32_e32 v69, 2, v57
	v_xor_b32_e32 v61, 4, v11
	v_cmp_lt_i32_e32 vcc, v61, v56
	v_cndmask_b32_e32 v57, v11, v61, vcc
	v_lshlrev_b32_e32 v65, 2, v57
	;; [unrolled: 4-line block ×3, first 2 shown]
	v_xor_b32_e32 v57, 1, v11
	v_cmp_lt_i32_e32 vcc, v57, v56
	v_cmp_nlt_f32_e64 s[10:11], |v31|, s24
                                        ; implicit-def: $vgpr66
	v_fma_mix_f32 v28, v28, s0, v3 op_sel_hi:[0,0,1]
	v_add_f32_e32 v37, 0x40051340, v28
	v_max3_f32 v2, v26, v2, v37
	ds_bpermute_b32 v37, v67, v2
	s_waitcnt lgkmcnt(0)
	v_max_f32_e32 v37, v37, v37
	v_max_f32_e32 v2, v2, v37
	ds_bpermute_b32 v37, v69, v2
	s_waitcnt lgkmcnt(0)
	v_max_f32_e32 v37, v37, v37
	v_max_f32_e32 v2, v2, v37
	;; [unrolled: 4-line block ×3, first 2 shown]
	ds_bpermute_b32 v62, v64, v2
	v_cndmask_b32_e32 v37, v11, v57, vcc
	v_lshlrev_b32_e32 v37, 2, v37
	s_waitcnt lgkmcnt(0)
	v_max_f32_e32 v62, v62, v62
	v_max_f32_e32 v62, v2, v62
	ds_bpermute_b32 v63, v37, v62
	s_and_saveexec_b64 s[36:37], s[10:11]
	s_xor_b64 s[10:11], exec, s[36:37]
	s_cbranch_execz .LBB72_19
; %bb.18:                               ;   in Loop: Header=BB72_9 Depth=1
	v_add_f32_e64 v2, |v31|, |v31|
	v_mul_f32_e32 v66, 0x3fb8aa3b, v2
	v_rndne_f32_e32 v68, v66
	v_sub_f32_e32 v70, v66, v68
	v_fma_f32 v66, v2, s25, -v66
	v_fmac_f32_e32 v66, 0x32a5705f, v2
	v_add_f32_e32 v66, v70, v66
	v_cvt_i32_f32_e32 v68, v68
	v_exp_f32_e32 v66, v66
	v_cmp_ngt_f32_e32 vcc, s26, v2
	v_ldexp_f32 v66, v66, v68
	v_cndmask_b32_e32 v66, 0, v66, vcc
	v_cmp_nlt_f32_e32 vcc, s27, v2
	v_cndmask_b32_e32 v2, v50, v66, vcc
	v_add_f32_e32 v2, 1.0, v2
	v_rcp_f32_e32 v2, v2
	v_fma_f32 v66, v2, -2.0, 1.0
.LBB72_19:                              ;   in Loop: Header=BB72_9 Depth=1
	s_andn2_saveexec_b64 s[10:11], s[10:11]
; %bb.20:                               ;   in Loop: Header=BB72_9 Depth=1
	v_mul_f32_e32 v2, v31, v31
	v_mov_b32_e32 v66, 0x3ca908c9
	v_fmac_f32_e32 v66, 0xbbbac73d, v2
	v_fma_f32 v66, v2, v66, v46
	v_fma_f32 v66, v2, v66, v47
	;; [unrolled: 1-line block ×3, first 2 shown]
	v_mul_f32_e64 v66, |v31|, v66
	v_fma_f32 v66, v2, v66, |v31|
; %bb.21:                               ;   in Loop: Header=BB72_9 Depth=1
	s_or_b64 exec, exec, s[10:11]
	v_cmp_nlt_f32_e64 s[10:11], |v36|, s24
                                        ; implicit-def: $vgpr68
	s_and_saveexec_b64 s[36:37], s[10:11]
	s_xor_b64 s[10:11], exec, s[36:37]
	s_cbranch_execz .LBB72_23
; %bb.22:                               ;   in Loop: Header=BB72_9 Depth=1
	v_add_f32_e64 v2, |v36|, |v36|
	v_mul_f32_e32 v68, 0x3fb8aa3b, v2
	v_rndne_f32_e32 v70, v68
	v_sub_f32_e32 v71, v68, v70
	v_fma_f32 v68, v2, s25, -v68
	v_fmac_f32_e32 v68, 0x32a5705f, v2
	v_add_f32_e32 v68, v71, v68
	v_cvt_i32_f32_e32 v70, v70
	v_exp_f32_e32 v68, v68
	v_cmp_ngt_f32_e32 vcc, s26, v2
	v_ldexp_f32 v68, v68, v70
	v_cndmask_b32_e32 v68, 0, v68, vcc
	v_cmp_nlt_f32_e32 vcc, s27, v2
	v_cndmask_b32_e32 v2, v50, v68, vcc
	v_add_f32_e32 v2, 1.0, v2
	v_rcp_f32_e32 v2, v2
	v_fma_f32 v68, v2, -2.0, 1.0
.LBB72_23:                              ;   in Loop: Header=BB72_9 Depth=1
	s_andn2_saveexec_b64 s[10:11], s[10:11]
; %bb.24:                               ;   in Loop: Header=BB72_9 Depth=1
	v_mul_f32_e32 v2, v36, v36
	v_mov_b32_e32 v68, 0x3ca908c9
	v_fmac_f32_e32 v68, 0xbbbac73d, v2
	v_fma_f32 v68, v2, v68, v46
	v_fma_f32 v68, v2, v68, v47
	;; [unrolled: 1-line block ×3, first 2 shown]
	v_mul_f32_e64 v68, |v36|, v68
	v_fma_f32 v68, v2, v68, |v36|
; %bb.25:                               ;   in Loop: Header=BB72_9 Depth=1
	s_or_b64 exec, exec, s[10:11]
	v_cvt_f32_f16_e32 v2, v29
	v_cvt_f32_f16_e32 v3, v3
	v_bfi_b32 v29, s34, v66, v31
	v_bfi_b32 v36, s34, v68, v36
	v_fma_f32 v31, s0, v29, v2
	v_fma_f32 v29, s0, v36, v3
	v_add_f32_e32 v66, 0x40051340, v31
	v_add_f32_e32 v36, 0x40051340, v29
	v_max3_f32 v36, v27, v66, v36
	ds_bpermute_b32 v66, v67, v36
	v_cmp_nlt_f32_e64 s[10:11], |v34|, s24
	s_waitcnt lgkmcnt(0)
	v_max_f32_e32 v66, v66, v66
	v_max_f32_e32 v36, v36, v66
	ds_bpermute_b32 v66, v69, v36
	s_waitcnt lgkmcnt(0)
	v_max_f32_e32 v66, v66, v66
	v_max_f32_e32 v36, v36, v66
	ds_bpermute_b32 v66, v65, v36
	;; [unrolled: 4-line block ×4, first 2 shown]
                                        ; implicit-def: $vgpr36
	s_and_saveexec_b64 s[36:37], s[10:11]
	s_xor_b64 s[10:11], exec, s[36:37]
	s_cbranch_execz .LBB72_27
; %bb.26:                               ;   in Loop: Header=BB72_9 Depth=1
	v_add_f32_e64 v36, |v34|, |v34|
	v_mul_f32_e32 v70, 0x3fb8aa3b, v36
	v_rndne_f32_e32 v71, v70
	v_sub_f32_e32 v72, v70, v71
	v_fma_f32 v70, v36, s25, -v70
	v_fmac_f32_e32 v70, 0x32a5705f, v36
	v_add_f32_e32 v70, v72, v70
	v_cvt_i32_f32_e32 v71, v71
	v_exp_f32_e32 v70, v70
	v_cmp_ngt_f32_e32 vcc, s26, v36
	v_ldexp_f32 v70, v70, v71
	v_cndmask_b32_e32 v70, 0, v70, vcc
	v_cmp_nlt_f32_e32 vcc, s27, v36
	v_cndmask_b32_e32 v36, v50, v70, vcc
	v_add_f32_e32 v36, 1.0, v36
	v_rcp_f32_e32 v36, v36
	v_fma_f32 v36, v36, -2.0, 1.0
.LBB72_27:                              ;   in Loop: Header=BB72_9 Depth=1
	s_andn2_saveexec_b64 s[10:11], s[10:11]
; %bb.28:                               ;   in Loop: Header=BB72_9 Depth=1
	v_mul_f32_e32 v36, v34, v34
	v_mov_b32_e32 v70, 0x3ca908c9
	v_fmac_f32_e32 v70, 0xbbbac73d, v36
	v_fma_f32 v70, v36, v70, v46
	v_fma_f32 v70, v36, v70, v47
	;; [unrolled: 1-line block ×3, first 2 shown]
	v_mul_f32_e64 v70, |v34|, v70
	v_fma_f32 v36, v36, v70, |v34|
; %bb.29:                               ;   in Loop: Header=BB72_9 Depth=1
	s_or_b64 exec, exec, s[10:11]
	v_cmp_nlt_f32_e64 s[10:11], |v35|, s24
                                        ; implicit-def: $vgpr70
	s_and_saveexec_b64 s[36:37], s[10:11]
	s_xor_b64 s[10:11], exec, s[36:37]
	s_cbranch_execz .LBB72_31
; %bb.30:                               ;   in Loop: Header=BB72_9 Depth=1
	v_add_f32_e64 v70, |v35|, |v35|
	v_mul_f32_e32 v71, 0x3fb8aa3b, v70
	v_rndne_f32_e32 v72, v71
	v_sub_f32_e32 v73, v71, v72
	v_fma_f32 v71, v70, s25, -v71
	v_fmac_f32_e32 v71, 0x32a5705f, v70
	v_add_f32_e32 v71, v73, v71
	v_cvt_i32_f32_e32 v72, v72
	v_exp_f32_e32 v71, v71
	v_cmp_ngt_f32_e32 vcc, s26, v70
	v_ldexp_f32 v71, v71, v72
	v_cndmask_b32_e32 v71, 0, v71, vcc
	v_cmp_nlt_f32_e32 vcc, s27, v70
	v_cndmask_b32_e32 v70, v50, v71, vcc
	v_add_f32_e32 v70, 1.0, v70
	v_rcp_f32_e32 v70, v70
	v_fma_f32 v70, v70, -2.0, 1.0
.LBB72_31:                              ;   in Loop: Header=BB72_9 Depth=1
	s_andn2_saveexec_b64 s[10:11], s[10:11]
; %bb.32:                               ;   in Loop: Header=BB72_9 Depth=1
	v_mul_f32_e32 v70, v35, v35
	v_mov_b32_e32 v71, 0x3ca908c9
	v_fmac_f32_e32 v71, 0xbbbac73d, v70
	v_fma_f32 v71, v70, v71, v46
	v_fma_f32 v71, v70, v71, v47
	;; [unrolled: 1-line block ×3, first 2 shown]
	v_mul_f32_e64 v71, |v35|, v71
	v_fma_f32 v70, v70, v71, |v35|
; %bb.33:                               ;   in Loop: Header=BB72_9 Depth=1
	s_or_b64 exec, exec, s[10:11]
	v_bfi_b32 v34, s34, v36, v34
	v_fma_f32 v36, s0, v34, v2
	v_bfi_b32 v34, s34, v70, v35
	v_fma_f32 v34, s0, v34, v3
	v_add_f32_e32 v71, 0x40051340, v36
	v_add_f32_e32 v35, 0x40051340, v34
	v_max3_f32 v35, v0, v71, v35
	ds_bpermute_b32 v70, v67, v35
	v_cmp_nlt_f32_e64 s[10:11], |v32|, s24
                                        ; implicit-def: $vgpr71
	s_waitcnt lgkmcnt(0)
	v_max_f32_e32 v70, v70, v70
	v_max_f32_e32 v35, v35, v70
	ds_bpermute_b32 v70, v69, v35
	s_waitcnt lgkmcnt(0)
	v_max_f32_e32 v70, v70, v70
	v_max_f32_e32 v35, v35, v70
	ds_bpermute_b32 v70, v65, v35
	;; [unrolled: 4-line block ×4, first 2 shown]
	s_and_saveexec_b64 s[36:37], s[10:11]
	s_xor_b64 s[10:11], exec, s[36:37]
	s_cbranch_execz .LBB72_35
; %bb.34:                               ;   in Loop: Header=BB72_9 Depth=1
	v_add_f32_e64 v71, |v32|, |v32|
	v_mul_f32_e32 v72, 0x3fb8aa3b, v71
	v_rndne_f32_e32 v73, v72
	v_sub_f32_e32 v74, v72, v73
	v_fma_f32 v72, v71, s25, -v72
	v_fmac_f32_e32 v72, 0x32a5705f, v71
	v_add_f32_e32 v72, v74, v72
	v_cvt_i32_f32_e32 v73, v73
	v_exp_f32_e32 v72, v72
	v_cmp_ngt_f32_e32 vcc, s26, v71
	v_ldexp_f32 v72, v72, v73
	v_cndmask_b32_e32 v72, 0, v72, vcc
	v_cmp_nlt_f32_e32 vcc, s27, v71
	v_cndmask_b32_e32 v71, v50, v72, vcc
	v_add_f32_e32 v71, 1.0, v71
	v_rcp_f32_e32 v71, v71
	v_fma_f32 v71, v71, -2.0, 1.0
.LBB72_35:                              ;   in Loop: Header=BB72_9 Depth=1
	s_andn2_saveexec_b64 s[10:11], s[10:11]
; %bb.36:                               ;   in Loop: Header=BB72_9 Depth=1
	v_mul_f32_e32 v71, v32, v32
	v_mov_b32_e32 v72, 0x3ca908c9
	v_fmac_f32_e32 v72, 0xbbbac73d, v71
	v_fma_f32 v72, v71, v72, v46
	v_fma_f32 v72, v71, v72, v47
	;; [unrolled: 1-line block ×3, first 2 shown]
	v_mul_f32_e64 v72, |v32|, v72
	v_fma_f32 v71, v71, v72, |v32|
; %bb.37:                               ;   in Loop: Header=BB72_9 Depth=1
	s_or_b64 exec, exec, s[10:11]
	v_cmp_nlt_f32_e64 s[10:11], |v33|, s24
                                        ; implicit-def: $vgpr72
	s_and_saveexec_b64 s[36:37], s[10:11]
	s_xor_b64 s[10:11], exec, s[36:37]
	s_cbranch_execz .LBB72_39
; %bb.38:                               ;   in Loop: Header=BB72_9 Depth=1
	v_add_f32_e64 v72, |v33|, |v33|
	v_mul_f32_e32 v73, 0x3fb8aa3b, v72
	v_rndne_f32_e32 v74, v73
	v_sub_f32_e32 v75, v73, v74
	v_fma_f32 v73, v72, s25, -v73
	v_fmac_f32_e32 v73, 0x32a5705f, v72
	v_add_f32_e32 v73, v75, v73
	v_cvt_i32_f32_e32 v74, v74
	v_exp_f32_e32 v73, v73
	v_cmp_ngt_f32_e32 vcc, s26, v72
	v_ldexp_f32 v73, v73, v74
	v_cndmask_b32_e32 v73, 0, v73, vcc
	v_cmp_nlt_f32_e32 vcc, s27, v72
	v_cndmask_b32_e32 v72, v50, v73, vcc
	v_add_f32_e32 v72, 1.0, v72
	v_rcp_f32_e32 v72, v72
	v_fma_f32 v72, v72, -2.0, 1.0
.LBB72_39:                              ;   in Loop: Header=BB72_9 Depth=1
	s_andn2_saveexec_b64 s[10:11], s[10:11]
; %bb.40:                               ;   in Loop: Header=BB72_9 Depth=1
	v_mul_f32_e32 v72, v33, v33
	v_mov_b32_e32 v73, 0x3ca908c9
	v_fmac_f32_e32 v73, 0xbbbac73d, v72
	v_fma_f32 v73, v72, v73, v46
	v_fma_f32 v73, v72, v73, v47
	;; [unrolled: 1-line block ×3, first 2 shown]
	v_mul_f32_e64 v73, |v33|, v73
	v_fma_f32 v72, v72, v73, |v33|
; %bb.41:                               ;   in Loop: Header=BB72_9 Depth=1
	s_or_b64 exec, exec, s[10:11]
	v_bfi_b32 v33, s34, v72, v33
	v_bfi_b32 v32, s34, v71, v32
	v_pk_fma_f32 v[72:73], v[32:33], s[0:1], v[2:3]
	v_add_f32_e32 v2, 0x40051340, v72
	v_add_f32_e32 v3, 0x40051340, v73
	v_max3_f32 v2, v1, v2, v3
	ds_bpermute_b32 v3, v67, v2
	v_max_f32_e32 v33, v35, v35
	v_max_f32_e32 v62, v62, v62
	s_mul_hi_i32 s11, s6, s14
	s_mul_i32 s10, s6, s14
	s_waitcnt lgkmcnt(0)
	v_max_f32_e32 v3, v3, v3
	v_max_f32_e32 v3, v2, v3
	ds_bpermute_b32 v32, v69, v3
	v_max_f32_e32 v2, v70, v70
	v_max_f32_e32 v2, v33, v2
	v_sub_f32_e32 v33, v36, v2
	v_mul_f32_e32 v35, 0x3fb8aa3b, v33
	s_waitcnt lgkmcnt(0)
	v_max_f32_e32 v32, v32, v32
	v_max_f32_e32 v3, v3, v32
	ds_bpermute_b32 v32, v65, v3
	v_fma_f32 v36, v33, s25, -v35
	v_rndne_f32_e32 v65, v35
	v_sub_f32_e32 v34, v34, v2
	v_fmac_f32_e32 v36, 0x32a5705f, v33
	s_waitcnt lgkmcnt(0)
	v_max_f32_e32 v32, v32, v32
	v_max_f32_e32 v3, v3, v32
	ds_bpermute_b32 v32, v64, v3
	v_sub_f32_e32 v35, v35, v65
	v_add_f32_e32 v35, v35, v36
	v_cvt_i32_f32_e32 v64, v65
	v_exp_f32_e32 v35, v35
	s_waitcnt lgkmcnt(0)
	v_max_f32_e32 v32, v32, v32
	v_max_f32_e32 v3, v3, v32
	ds_bpermute_b32 v32, v37, v3
	v_ldexp_f32 v35, v35, v64
	v_cmp_ngt_f32_e32 vcc, s26, v33
	v_cndmask_b32_e32 v35, 0, v35, vcc
	v_cmp_nlt_f32_e32 vcc, s27, v33
	s_waitcnt lgkmcnt(0)
	v_max_f32_e32 v32, v32, v32
	v_max_f32_e32 v3, v3, v32
	v_mul_f32_e32 v32, 0x3fb8aa3b, v34
	v_fma_f32 v36, v34, s25, -v32
	v_rndne_f32_e32 v37, v32
	v_fmac_f32_e32 v36, 0x32a5705f, v34
	v_sub_f32_e32 v32, v32, v37
	v_add_f32_e32 v32, v32, v36
	v_exp_f32_e32 v36, v32
	v_cvt_i32_f32_e32 v37, v37
	v_cndmask_b32_e32 v32, v50, v35, vcc
	v_cmp_ngt_f32_e32 vcc, s26, v34
	v_pk_add_f32 v[0:1], v[0:1], v[2:3] neg_lo:[0,1] neg_hi:[0,1]
	v_ldexp_f32 v33, v36, v37
	v_cndmask_b32_e32 v33, 0, v33, vcc
	v_cmp_nlt_f32_e32 vcc, s27, v34
	v_cndmask_b32_e32 v34, v50, v33, vcc
	v_mul_f32_e32 v33, 0x3fb8aa3b, v1
	v_fma_f32 v35, v1, s25, -v33
	v_rndne_f32_e32 v36, v33
	v_fmac_f32_e32 v35, 0x32a5705f, v1
	v_sub_f32_e32 v33, v33, v36
	v_add_f32_e32 v33, v33, v35
	v_cvt_i32_f32_e32 v35, v36
	v_mul_f32_e32 v36, 0x3fb8aa3b, v0
	v_fma_f32 v37, v0, s25, -v36
	v_rndne_f32_e32 v64, v36
	v_fmac_f32_e32 v37, 0x32a5705f, v0
	v_sub_f32_e32 v36, v36, v64
	v_exp_f32_e32 v33, v33
	v_add_f32_e32 v36, v36, v37
	v_exp_f32_e32 v36, v36
	v_cvt_i32_f32_e32 v37, v64
	v_ldexp_f32 v33, v33, v35
	v_cmp_ngt_f32_e32 vcc, s26, v1
	v_cndmask_b32_e32 v33, 0, v33, vcc
	v_ldexp_f32 v35, v36, v37
	v_cmp_ngt_f32_e32 vcc, s26, v0
	v_cndmask_b32_e32 v35, 0, v35, vcc
	v_cmp_nlt_f32_e32 vcc, s27, v0
	v_mov_b32_e32 v0, v3
	v_pk_add_f32 v[64:65], v[72:73], v[0:1] op_sel_hi:[1,0] neg_lo:[0,1] neg_hi:[0,1]
	v_mul_f32_e32 v0, 0x3fb8aa3b, v65
	v_cndmask_b32_e32 v36, v50, v35, vcc
	v_fma_f32 v35, v65, s25, -v0
	v_rndne_f32_e32 v37, v0
	v_fmac_f32_e32 v35, 0x32a5705f, v65
	v_sub_f32_e32 v0, v0, v37
	v_add_f32_e32 v0, v0, v35
	v_exp_f32_e32 v0, v0
	v_cvt_i32_f32_e32 v35, v37
	v_cmp_nlt_f32_e32 vcc, s27, v1
	v_mul_f32_e32 v1, 0x3fb8aa3b, v64
	v_cndmask_b32_e32 v37, v50, v33, vcc
	v_ldexp_f32 v0, v0, v35
	v_fma_f32 v33, v64, s25, -v1
	v_rndne_f32_e32 v35, v1
	v_fmac_f32_e32 v33, 0x32a5705f, v64
	v_sub_f32_e32 v1, v1, v35
	v_add_f32_e32 v1, v1, v33
	v_exp_f32_e32 v1, v1
	v_cvt_i32_f32_e32 v33, v35
	v_cmp_ngt_f32_e32 vcc, s26, v65
	v_cndmask_b32_e32 v0, 0, v0, vcc
	v_cmp_nlt_f32_e32 vcc, s27, v65
	v_cndmask_b32_e32 v35, v50, v0, vcc
	v_ldexp_f32 v0, v1, v33
	v_cmp_ngt_f32_e32 vcc, s26, v64
	v_cndmask_b32_e32 v0, 0, v0, vcc
	v_cmp_nlt_f32_e32 vcc, s27, v64
	v_cndmask_b32_e32 v33, v50, v0, vcc
	v_max_f32_e32 v0, v68, v68
	v_max_f32_e32 v1, v66, v66
	;; [unrolled: 1-line block ×5, first 2 shown]
	v_pk_add_f32 v[30:31], v[30:31], v[0:1] neg_lo:[0,1] neg_hi:[0,1]
	v_mul_f32_e32 v62, 0x3fb8aa3b, v31
	v_fma_f32 v63, v31, s25, -v62
	v_rndne_f32_e32 v65, v62
	v_fmac_f32_e32 v63, 0x32a5705f, v31
	v_sub_f32_e32 v62, v62, v65
	v_add_f32_e32 v62, v62, v63
	v_exp_f32_e32 v62, v62
	v_cvt_i32_f32_e32 v63, v65
	v_cvt_f16_f32_e32 v64, v37
	v_cmp_ngt_f32_e32 vcc, s26, v31
	s_lshl_b64 s[10:11], s[10:11], 2
	v_ldexp_f32 v62, v62, v63
	v_cndmask_b32_e32 v79, 0, v62, vcc
	v_mul_f32_e32 v62, 0x3fb8aa3b, v30
	v_pk_mul_f16 v55, v64, v55 op_sel_hi:[0,1]
	v_pk_mul_f16 v53, v64, v53 op_sel_hi:[0,1]
	v_fma_f32 v63, v30, s25, -v62
	v_rndne_f32_e32 v64, v62
	v_fmac_f32_e32 v63, 0x32a5705f, v30
	v_sub_f32_e32 v62, v62, v64
	s_add_u32 s10, s12, s10
	v_add_f32_e32 v62, v62, v63
	s_addc_u32 s11, s13, s11
	v_exp_f32_e32 v80, v62
	v_mov_b32_e32 v62, s11
	v_add_co_u32_e32 v63, vcc, s10, v16
	v_addc_co_u32_e32 v62, vcc, v62, v17, vcc
	v_add_co_u32_e32 v70, vcc, v63, v49
	v_addc_co_u32_e32 v71, vcc, 0, v62, vcc
	v_mov_b32_e32 v62, s11
	v_add_co_u32_e32 v63, vcc, s10, v18
	v_addc_co_u32_e32 v62, vcc, v62, v19, vcc
	v_add_co_u32_e32 v72, vcc, v63, v49
	s_barrier
	v_cvt_i32_f32_e32 v81, v64
	v_addc_co_u32_e32 v73, vcc, 0, v62, vcc
	global_load_dwordx4 v[62:65], v[70:71], off
	global_load_dwordx4 v[66:69], v[72:73], off
	v_pk_add_f32 v[28:29], v[28:29], v[0:1] neg_lo:[0,1] neg_hi:[0,1]
	v_mul_f32_e32 v71, 0x3fb8aa3b, v29
	v_fma_f32 v72, v29, s25, -v71
	v_rndne_f32_e32 v73, v71
	v_fmac_f32_e32 v72, 0x32a5705f, v29
	v_sub_f32_e32 v71, v71, v73
	v_add_f32_e32 v71, v71, v72
	v_exp_f32_e32 v71, v71
	v_cvt_i32_f32_e32 v72, v73
	v_cmp_nlt_f32_e32 vcc, s27, v31
	v_cndmask_b32_e32 v31, v50, v79, vcc
	v_ldexp_f32 v70, v80, v81
	v_cmp_ngt_f32_e32 vcc, s26, v30
	v_cndmask_b32_e32 v70, 0, v70, vcc
	v_cmp_nlt_f32_e32 vcc, s27, v30
	v_cndmask_b32_e32 v30, v50, v70, vcc
	v_ldexp_f32 v70, v71, v72
	v_mul_f32_e32 v71, 0x3fb8aa3b, v28
	v_fma_f32 v72, v28, s25, -v71
	v_rndne_f32_e32 v73, v71
	v_fmac_f32_e32 v72, 0x32a5705f, v28
	v_sub_f32_e32 v71, v71, v73
	v_add_f32_e32 v71, v71, v72
	v_exp_f32_e32 v71, v71
	v_cvt_i32_f32_e32 v72, v73
	v_cmp_ngt_f32_e32 vcc, s26, v29
	v_cndmask_b32_e32 v70, 0, v70, vcc
	v_cmp_nlt_f32_e32 vcc, s27, v29
	v_cndmask_b32_e32 v29, v50, v70, vcc
	v_ldexp_f32 v70, v71, v72
	v_cmp_ngt_f32_e32 vcc, s26, v28
	v_cndmask_b32_e32 v70, 0, v70, vcc
	v_cmp_nlt_f32_e32 vcc, s27, v28
	v_pk_add_f32 v[26:27], v[26:27], v[0:1] neg_lo:[0,1] neg_hi:[0,1]
	v_cndmask_b32_e32 v28, v50, v70, vcc
	v_mul_f32_e32 v70, 0x3fb8aa3b, v27
	v_fma_f32 v71, v27, s25, -v70
	v_rndne_f32_e32 v72, v70
	v_fmac_f32_e32 v71, 0x32a5705f, v27
	v_sub_f32_e32 v70, v70, v72
	v_add_f32_e32 v70, v70, v71
	v_cvt_i32_f32_e32 v71, v72
	v_mul_f32_e32 v72, 0x3fb8aa3b, v26
	v_fma_f32 v73, v26, s25, -v72
	v_rndne_f32_e32 v81, v72
	v_fmac_f32_e32 v73, 0x32a5705f, v26
	v_sub_f32_e32 v72, v72, v81
	v_exp_f32_e32 v70, v70
	v_add_f32_e32 v72, v72, v73
	v_exp_f32_e32 v72, v72
	v_cvt_i32_f32_e32 v73, v81
	v_cvt_f16_f32_e32 v74, v32
	v_cvt_f16_f32_e32 v75, v34
	;; [unrolled: 1-line block ×6, first 2 shown]
	v_ldexp_f32 v70, v70, v71
	v_cmp_ngt_f32_e32 vcc, s26, v27
	v_cvt_f16_f32_e32 v83, v28
	v_cvt_f16_f32_e32 v84, v29
	v_cndmask_b32_e32 v71, 0, v70, vcc
	v_ldexp_f32 v70, v72, v73
	v_cmp_ngt_f32_e32 vcc, s26, v26
	v_cndmask_b32_e32 v70, 0, v70, vcc
	v_cmp_nlt_f32_e32 vcc, s27, v26
	v_cndmask_b32_e32 v70, v50, v70, vcc
	v_cmp_nlt_f32_e32 vcc, s27, v27
	v_pk_add_f32 v[26:27], v[32:33], v[34:35]
	v_pk_add_f32 v[72:73], v[30:31], v[28:29]
	v_pk_fma_f32 v[6:7], v[6:7], v[36:37], v[26:27]
	v_add_u32_e32 v30, v41, v42
	v_pack_b32_f16 v27, v74, v77
	v_pack_b32_f16 v26, v80, v79
	;; [unrolled: 1-line block ×4, first 2 shown]
	ds_write2_b64 v30, v[26:27], v[28:29] offset1:32
	s_waitcnt vmcnt(1)
	ds_write_b128 v43, v[62:65]
	s_waitcnt vmcnt(0)
	ds_write_b128 v44, v[66:69]
	s_waitcnt lgkmcnt(0)
	s_barrier
	ds_read2_b64 v[26:29], v42 offset1:32
	ds_read_b128 v[30:33], v41
	v_cvt_f16_f32_e32 v81, v70
	v_cndmask_b32_e32 v71, v50, v71, vcc
	v_cvt_f16_f32_e32 v76, v36
	v_cvt_f16_f32_e32 v82, v71
	v_pk_fma_f32 v[8:9], v[8:9], v[70:71], v[72:73]
	s_waitcnt lgkmcnt(0)
	v_pk_mul_f16 v70, v26, v30 op_sel_hi:[1,0]
	v_pk_fma_f16 v54, v81, v54, v70 op_sel_hi:[0,1,1]
	v_pk_mul_f16 v70, v26, v30 op_sel:[0,1]
	v_pk_mul_f16 v24, v76, v24 op_sel_hi:[0,1]
	v_pk_mul_f16 v22, v81, v22 op_sel_hi:[0,1]
	;; [unrolled: 1-line block ×3, first 2 shown]
	v_pk_fma_f16 v52, v82, v52, v70 op_sel_hi:[0,1,1]
	ds_read_b128 v[34:37], v41 offset:16
	ds_read_b128 v[62:65], v41 offset:32
	;; [unrolled: 1-line block ×3, first 2 shown]
	v_pk_mul_f16 v70, v26, v31 op_sel_hi:[1,0]
	v_pk_fma_f16 v26, v26, v31, v55 op_sel:[0,1,0]
	v_pk_fma_f16 v22, v27, v30, v22 op_sel_hi:[1,0,1]
	v_pk_fma_f16 v20, v27, v30, v20 op_sel:[0,1,0]
	v_pk_fma_f16 v24, v27, v31, v24 op_sel_hi:[1,0,1]
	;; [unrolled: 2-line block ×3, first 2 shown]
	v_pk_fma_f16 v31, v28, v32, v52 op_sel:[0,1,0]
	ds_read2_b64 v[52:55], v42 offset0:64 offset1:96
	v_pk_fma_f16 v51, v76, v51, v70 op_sel_hi:[0,1,1]
	v_pk_fma_f16 v26, v28, v33, v26 op_sel:[0,1,0]
	v_pk_fma_f16 v51, v28, v33, v51 op_sel_hi:[1,0,1]
	v_pk_fma_f16 v22, v29, v32, v22 op_sel_hi:[1,0,1]
	v_pk_fma_f16 v20, v29, v32, v20 op_sel:[0,1,0]
	v_pk_fma_f16 v24, v29, v33, v24 op_sel_hi:[1,0,1]
	v_pk_fma_f16 v27, v29, v33, v27 op_sel:[0,1,0]
	s_waitcnt lgkmcnt(0)
	v_pk_fma_f16 v28, v52, v34, v30 op_sel_hi:[1,0,1]
	v_pk_fma_f16 v29, v52, v34, v31 op_sel:[0,1,0]
	v_pk_fma_f16 v26, v52, v35, v26 op_sel:[0,1,0]
	v_pk_fma_f16 v22, v53, v34, v22 op_sel_hi:[1,0,1]
	v_pk_fma_f16 v20, v53, v34, v20 op_sel:[0,1,0]
	v_pk_fma_f16 v31, v53, v35, v27 op_sel:[0,1,0]
	;; [unrolled: 3-line block ×3, first 2 shown]
	ds_read2_b64 v[26:29], v42 offset0:128 offset1:160
	v_pk_fma_f16 v30, v52, v35, v51 op_sel_hi:[1,0,1]
	v_pk_fma_f16 v24, v53, v35, v24 op_sel_hi:[1,0,1]
	;; [unrolled: 1-line block ×4, first 2 shown]
	v_pk_fma_f16 v20, v55, v36, v20 op_sel:[0,1,0]
	v_pk_fma_f16 v24, v55, v37, v24 op_sel_hi:[1,0,1]
	v_pk_fma_f16 v31, v55, v37, v31 op_sel:[0,1,0]
	s_waitcnt lgkmcnt(0)
	v_pk_fma_f16 v32, v26, v62, v32 op_sel_hi:[1,0,1]
	v_pk_fma_f16 v33, v26, v62, v33 op_sel:[0,1,0]
	v_pk_fma_f16 v30, v26, v63, v30 op_sel_hi:[1,0,1]
	v_pk_fma_f16 v26, v26, v63, v34 op_sel:[0,1,0]
	;; [unrolled: 2-line block ×5, first 2 shown]
	v_pk_fma_f16 v36, v28, v65, v30 op_sel_hi:[1,0,1]
	ds_read2_b64 v[30:33], v42 offset0:192 offset1:224
	v_pk_fma_f16 v26, v28, v65, v26 op_sel:[0,1,0]
	v_pk_fma_f16 v20, v29, v64, v20 op_sel:[0,1,0]
	v_pk_fma_f16 v22, v29, v64, v22 op_sel_hi:[1,0,1]
	v_pk_fma_f16 v24, v29, v65, v24 op_sel_hi:[1,0,1]
	v_pk_fma_f16 v27, v29, v65, v27 op_sel:[0,1,0]
	s_waitcnt lgkmcnt(0)
	v_pk_fma_f16 v28, v30, v66, v34 op_sel_hi:[1,0,1]
	v_pk_fma_f16 v29, v30, v66, v35 op_sel:[0,1,0]
	v_pk_fma_f16 v34, v30, v67, v36 op_sel_hi:[1,0,1]
	v_pk_fma_f16 v26, v30, v67, v26 op_sel:[0,1,0]
	v_pk_fma_f16 v30, v31, v66, v20 op_sel:[0,1,0]
	v_add_u32_e32 v20, 0x800, v42
	v_pk_fma_f16 v22, v31, v66, v22 op_sel_hi:[1,0,1]
	v_pk_fma_f16 v24, v31, v67, v24 op_sel_hi:[1,0,1]
	v_pk_fma_f16 v31, v31, v67, v27 op_sel:[0,1,0]
	v_pk_fma_f16 v51, v32, v68, v28 op_sel_hi:[1,0,1]
	v_pk_fma_f16 v52, v32, v68, v29 op_sel:[0,1,0]
	;; [unrolled: 2-line block ×3, first 2 shown]
	ds_read2_b64 v[26:29], v20 offset1:32
	ds_read_b128 v[34:37], v41 offset:64
	v_pk_fma_f16 v22, v33, v68, v22 op_sel_hi:[1,0,1]
	v_pk_fma_f16 v55, v33, v68, v30 op_sel:[0,1,0]
	v_pk_fma_f16 v24, v33, v69, v24 op_sel_hi:[1,0,1]
	v_pk_fma_f16 v62, v33, v69, v31 op_sel:[0,1,0]
	s_waitcnt lgkmcnt(0)
	v_pk_fma_f16 v51, v26, v34, v51 op_sel_hi:[1,0,1]
	v_pk_fma_f16 v52, v26, v34, v52 op_sel:[0,1,0]
	v_pk_fma_f16 v53, v26, v35, v53 op_sel_hi:[1,0,1]
	ds_read_b128 v[30:33], v41 offset:80
	v_pk_fma_f16 v26, v26, v35, v54 op_sel:[0,1,0]
	v_pk_fma_f16 v22, v27, v34, v22 op_sel_hi:[1,0,1]
	v_pk_fma_f16 v34, v27, v34, v55 op_sel:[0,1,0]
	v_pk_fma_f16 v24, v27, v35, v24 op_sel_hi:[1,0,1]
	;; [unrolled: 2-line block ×4, first 2 shown]
	ds_read2_b64 v[52:55], v20 offset0:64 offset1:96
	v_pk_fma_f16 v26, v28, v37, v26 op_sel:[0,1,0]
	v_pk_fma_f16 v22, v29, v36, v22 op_sel_hi:[1,0,1]
	v_pk_fma_f16 v28, v29, v36, v34 op_sel:[0,1,0]
	v_pk_fma_f16 v24, v29, v37, v24 op_sel_hi:[1,0,1]
	v_pk_fma_f16 v27, v29, v37, v27 op_sel:[0,1,0]
	s_waitcnt lgkmcnt(0)
	v_pk_fma_f16 v29, v52, v30, v35 op_sel_hi:[1,0,1]
	v_pk_fma_f16 v34, v52, v30, v51 op_sel:[0,1,0]
	v_pk_fma_f16 v35, v52, v31, v62 op_sel_hi:[1,0,1]
	v_pk_fma_f16 v26, v52, v31, v26 op_sel:[0,1,0]
	;; [unrolled: 2-line block ×6, first 2 shown]
	ds_read2_b64 v[26:29], v20 offset0:128 offset1:160
	ds_read_b128 v[34:37], v41 offset:96
	v_pk_fma_f16 v22, v55, v32, v22 op_sel_hi:[1,0,1]
	v_pk_fma_f16 v62, v55, v32, v30 op_sel:[0,1,0]
	v_pk_fma_f16 v24, v55, v33, v24 op_sel_hi:[1,0,1]
	v_pk_fma_f16 v55, v55, v33, v31 op_sel:[0,1,0]
	s_waitcnt lgkmcnt(0)
	v_pk_fma_f16 v51, v26, v34, v51 op_sel_hi:[1,0,1]
	v_pk_fma_f16 v52, v26, v34, v52 op_sel:[0,1,0]
	v_pk_fma_f16 v53, v26, v35, v53 op_sel_hi:[1,0,1]
	ds_read_b128 v[30:33], v41 offset:112
	v_pk_fma_f16 v26, v26, v35, v54 op_sel:[0,1,0]
	v_pk_fma_f16 v22, v27, v34, v22 op_sel_hi:[1,0,1]
	v_pk_fma_f16 v34, v27, v34, v62 op_sel:[0,1,0]
	v_pk_fma_f16 v24, v27, v35, v24 op_sel_hi:[1,0,1]
	;; [unrolled: 2-line block ×4, first 2 shown]
	ds_read2_b64 v[52:55], v20 offset0:192 offset1:224
	v_pk_fma_f16 v22, v29, v36, v22 op_sel_hi:[1,0,1]
	v_pk_fma_f16 v26, v28, v37, v26 op_sel:[0,1,0]
	v_pk_fma_f16 v28, v29, v36, v34 op_sel:[0,1,0]
	v_pk_fma_f16 v24, v29, v37, v24 op_sel_hi:[1,0,1]
	s_waitcnt lgkmcnt(0)
	v_pk_fma_f16 v22, v53, v30, v22 op_sel_hi:[1,0,1]
	v_pk_fma_f16 v27, v29, v37, v27 op_sel:[0,1,0]
	v_pk_fma_f16 v29, v52, v30, v35 op_sel_hi:[1,0,1]
	v_pk_fma_f16 v34, v52, v30, v51 op_sel:[0,1,0]
	;; [unrolled: 2-line block ×3, first 2 shown]
	v_pk_fma_f16 v62, v55, v32, v22 op_sel_hi:[1,0,1]
	v_add_u32_e32 v22, 0x1000, v42
	v_pk_fma_f16 v30, v53, v30, v28 op_sel:[0,1,0]
	v_pk_fma_f16 v24, v53, v31, v24 op_sel_hi:[1,0,1]
	v_pk_fma_f16 v31, v53, v31, v27 op_sel:[0,1,0]
	v_pk_fma_f16 v51, v54, v32, v29 op_sel_hi:[1,0,1]
	;; [unrolled: 2-line block ×3, first 2 shown]
	v_pk_fma_f16 v54, v54, v33, v26 op_sel:[0,1,0]
	ds_read2_b64 v[26:29], v22 offset1:32
	ds_read_b128 v[34:37], v41 offset:128
	v_pk_fma_f16 v63, v55, v32, v30 op_sel:[0,1,0]
	v_pk_fma_f16 v24, v55, v33, v24 op_sel_hi:[1,0,1]
	v_pk_fma_f16 v55, v55, v33, v31 op_sel:[0,1,0]
	ds_read_b128 v[30:33], v41 offset:144
	s_waitcnt lgkmcnt(1)
	v_pk_fma_f16 v51, v26, v34, v51 op_sel_hi:[1,0,1]
	v_pk_fma_f16 v52, v26, v34, v52 op_sel:[0,1,0]
	v_pk_fma_f16 v53, v26, v35, v53 op_sel_hi:[1,0,1]
	v_pk_fma_f16 v26, v26, v35, v54 op_sel:[0,1,0]
	;; [unrolled: 2-line block ×5, first 2 shown]
	v_pk_fma_f16 v63, v28, v37, v53 op_sel_hi:[1,0,1]
	ds_read2_b64 v[52:55], v22 offset0:64 offset1:96
	v_pk_fma_f16 v26, v28, v37, v26 op_sel:[0,1,0]
	v_pk_fma_f16 v28, v29, v36, v62 op_sel_hi:[1,0,1]
	v_pk_fma_f16 v34, v29, v36, v34 op_sel:[0,1,0]
	v_pk_fma_f16 v24, v29, v37, v24 op_sel_hi:[1,0,1]
	v_pk_fma_f16 v27, v29, v37, v27 op_sel:[0,1,0]
	s_waitcnt lgkmcnt(0)
	v_pk_fma_f16 v29, v52, v30, v35 op_sel_hi:[1,0,1]
	v_pk_fma_f16 v35, v52, v30, v51 op_sel:[0,1,0]
	v_pk_fma_f16 v36, v52, v31, v63 op_sel_hi:[1,0,1]
	v_pk_fma_f16 v26, v52, v31, v26 op_sel:[0,1,0]
	v_pk_fma_f16 v28, v53, v30, v28 op_sel_hi:[1,0,1]
	s_or_b32 s10, s6, 32
	v_pk_fma_f16 v30, v53, v30, v34 op_sel:[0,1,0]
	v_pk_fma_f16 v24, v53, v31, v24 op_sel_hi:[1,0,1]
	v_pk_fma_f16 v31, v53, v31, v27 op_sel:[0,1,0]
	v_pk_fma_f16 v51, v54, v32, v29 op_sel_hi:[1,0,1]
	;; [unrolled: 2-line block ×4, first 2 shown]
	ds_read2_b64 v[26:29], v22 offset0:128 offset1:160
	ds_read_b128 v[34:37], v41 offset:160
	s_mul_hi_i32 s11, s10, s14
	s_mul_i32 s10, s10, s14
	s_lshl_b64 s[10:11], s[10:11], 2
	s_add_u32 s10, s12, s10
	s_addc_u32 s11, s13, s11
	v_mov_b32_e32 v86, s11
	v_add_co_u32_e32 v87, vcc, s10, v16
	v_pk_fma_f16 v63, v55, v32, v30 op_sel:[0,1,0]
	v_pk_fma_f16 v24, v55, v33, v24 op_sel_hi:[1,0,1]
	v_pk_fma_f16 v55, v55, v33, v31 op_sel:[0,1,0]
	s_waitcnt lgkmcnt(0)
	v_pk_fma_f16 v51, v26, v34, v51 op_sel_hi:[1,0,1]
	v_pk_fma_f16 v52, v26, v34, v52 op_sel:[0,1,0]
	v_pk_fma_f16 v53, v26, v35, v53 op_sel_hi:[1,0,1]
	v_addc_co_u32_e32 v86, vcc, v86, v17, vcc
	ds_read_b128 v[30:33], v41 offset:176
	v_pk_fma_f16 v26, v26, v35, v54 op_sel:[0,1,0]
	v_pk_fma_f16 v62, v27, v34, v62 op_sel_hi:[1,0,1]
	v_pk_fma_f16 v34, v27, v34, v63 op_sel:[0,1,0]
	v_pk_fma_f16 v24, v27, v35, v24 op_sel_hi:[1,0,1]
	;; [unrolled: 2-line block ×4, first 2 shown]
	ds_read2_b64 v[52:55], v22 offset0:192 offset1:224
	v_add_co_u32_e32 v94, vcc, v87, v49
	v_addc_co_u32_e32 v95, vcc, 0, v86, vcc
	v_mov_b32_e32 v86, s11
	v_add_co_u32_e32 v87, vcc, s10, v18
	v_addc_co_u32_e32 v86, vcc, v86, v19, vcc
	v_pk_fma_f16 v102, v29, v37, v24 op_sel_hi:[1,0,1]
	v_add_u32_e32 v24, 0x1800, v42
	v_add_co_u32_e32 v96, vcc, v87, v49
	v_pk_fma_f16 v99, v28, v37, v26 op_sel:[0,1,0]
	v_pk_fma_f16 v100, v29, v36, v62 op_sel_hi:[1,0,1]
	v_pk_fma_f16 v101, v29, v36, v34 op_sel:[0,1,0]
	v_pk_fma_f16 v103, v29, v37, v27 op_sel:[0,1,0]
	s_waitcnt lgkmcnt(0)
	v_pk_fma_f16 v104, v52, v30, v35 op_sel_hi:[1,0,1]
	ds_read2_b64 v[26:29], v24 offset1:32
	ds_read2_b64 v[34:37], v24 offset0:64 offset1:96
	ds_read_b128 v[62:65], v41 offset:192
	ds_read_b128 v[66:69], v41 offset:208
	ds_read2_b64 v[70:73], v24 offset0:128 offset1:160
	ds_read2_b64 v[74:77], v24 offset0:192 offset1:224
	ds_read_b128 v[78:81], v41 offset:224
	ds_read_b128 v[82:85], v41 offset:240
	s_waitcnt lgkmcnt(0)
	s_barrier
	v_addc_co_u32_e32 v97, vcc, 0, v86, vcc
	global_load_dwordx4 v[86:89], v[94:95], off
	global_load_dwordx4 v[90:93], v[96:97], off
	v_pk_fma_f16 v51, v52, v30, v51 op_sel:[0,1,0]
	v_pk_fma_f16 v94, v52, v31, v98 op_sel_hi:[1,0,1]
	v_pk_fma_f16 v52, v52, v31, v99 op_sel:[0,1,0]
	v_pk_fma_f16 v95, v53, v30, v100 op_sel_hi:[1,0,1]
	;; [unrolled: 2-line block ×39, first 2 shown]
	s_waitcnt vmcnt(1)
	ds_write_b128 v43, v[86:89]
	s_waitcnt vmcnt(0)
	ds_write_b128 v44, v[90:93]
	s_waitcnt lgkmcnt(0)
	s_barrier
	ds_read2_b64 v[26:29], v42 offset1:32
	ds_read_b128 v[30:33], v41 offset:256
	v_pk_fma_f16 v72, v77, v85, v34 op_sel:[0,1,0]
	ds_read_b128 v[34:37], v41 offset:272
	ds_read_b128 v[52:55], v41 offset:288
	;; [unrolled: 1-line block ×3, first 2 shown]
	s_waitcnt lgkmcnt(3)
	v_pk_fma_f16 v51, v26, v30, v51 op_sel_hi:[1,0,1]
	v_pk_fma_f16 v66, v26, v30, v66 op_sel:[0,1,0]
	v_pk_fma_f16 v67, v26, v31, v67 op_sel_hi:[1,0,1]
	v_pk_fma_f16 v26, v26, v31, v68 op_sel:[0,1,0]
	;; [unrolled: 2-line block ×5, first 2 shown]
	v_pk_fma_f16 v71, v28, v33, v67 op_sel_hi:[1,0,1]
	ds_read2_b64 v[66:69], v42 offset0:64 offset1:96
	v_pk_fma_f16 v26, v28, v33, v26 op_sel:[0,1,0]
	v_pk_fma_f16 v28, v29, v32, v73 op_sel_hi:[1,0,1]
	v_pk_fma_f16 v30, v29, v32, v30 op_sel:[0,1,0]
	v_pk_fma_f16 v32, v29, v33, v70 op_sel_hi:[1,0,1]
	v_pk_fma_f16 v27, v29, v33, v27 op_sel:[0,1,0]
	s_waitcnt lgkmcnt(0)
	v_pk_fma_f16 v29, v66, v34, v31 op_sel_hi:[1,0,1]
	v_pk_fma_f16 v26, v66, v35, v26 op_sel:[0,1,0]
	v_pk_fma_f16 v31, v66, v34, v51 op_sel:[0,1,0]
	v_pk_fma_f16 v33, v66, v35, v71 op_sel_hi:[1,0,1]
	v_pk_fma_f16 v51, v67, v34, v28 op_sel_hi:[1,0,1]
	v_pk_fma_f16 v30, v67, v34, v30 op_sel:[0,1,0]
	v_pk_fma_f16 v32, v67, v35, v32 op_sel_hi:[1,0,1]
	v_pk_fma_f16 v34, v67, v35, v27 op_sel:[0,1,0]
	;; [unrolled: 2-line block ×3, first 2 shown]
	ds_read2_b64 v[26:29], v42 offset0:128 offset1:160
	v_pk_fma_f16 v31, v68, v36, v31 op_sel:[0,1,0]
	v_pk_fma_f16 v33, v68, v37, v33 op_sel_hi:[1,0,1]
	v_pk_fma_f16 v51, v69, v36, v51 op_sel_hi:[1,0,1]
	v_pk_fma_f16 v30, v69, v36, v30 op_sel:[0,1,0]
	v_pk_fma_f16 v32, v69, v37, v32 op_sel_hi:[1,0,1]
	v_pk_fma_f16 v34, v69, v37, v34 op_sel:[0,1,0]
	s_waitcnt lgkmcnt(0)
	v_pk_fma_f16 v35, v26, v52, v35 op_sel_hi:[1,0,1]
	v_pk_fma_f16 v31, v26, v52, v31 op_sel:[0,1,0]
	v_pk_fma_f16 v33, v26, v53, v33 op_sel_hi:[1,0,1]
	v_pk_fma_f16 v36, v27, v52, v51 op_sel_hi:[1,0,1]
	v_pk_fma_f16 v37, v27, v52, v30 op_sel:[0,1,0]
	v_pk_fma_f16 v51, v27, v53, v32 op_sel_hi:[1,0,1]
	v_pk_fma_f16 v27, v27, v53, v34 op_sel:[0,1,0]
	;; [unrolled: 2-line block ×3, first 2 shown]
	v_pk_fma_f16 v52, v28, v55, v33 op_sel_hi:[1,0,1]
	ds_read2_b64 v[30:33], v42 offset0:192 offset1:224
	v_pk_fma_f16 v26, v26, v53, v66 op_sel:[0,1,0]
	v_pk_fma_f16 v26, v28, v55, v26 op_sel:[0,1,0]
	v_pk_fma_f16 v28, v29, v54, v36 op_sel_hi:[1,0,1]
	v_pk_fma_f16 v36, v29, v54, v37 op_sel:[0,1,0]
	v_pk_fma_f16 v37, v29, v55, v51 op_sel_hi:[1,0,1]
	v_pk_fma_f16 v27, v29, v55, v27 op_sel:[0,1,0]
	s_waitcnt lgkmcnt(0)
	v_pk_fma_f16 v29, v30, v62, v34 op_sel_hi:[1,0,1]
	v_pk_fma_f16 v34, v30, v62, v35 op_sel:[0,1,0]
	v_pk_fma_f16 v35, v30, v63, v52 op_sel_hi:[1,0,1]
	v_pk_fma_f16 v26, v30, v63, v26 op_sel:[0,1,0]
	;; [unrolled: 2-line block ×6, first 2 shown]
	v_pk_fma_f16 v62, v33, v64, v28 op_sel_hi:[1,0,1]
	ds_read2_b64 v[26:29], v20 offset1:32
	ds_read_b128 v[34:37], v41 offset:320
	v_pk_fma_f16 v63, v33, v64, v30 op_sel:[0,1,0]
	v_pk_fma_f16 v51, v33, v65, v51 op_sel_hi:[1,0,1]
	v_pk_fma_f16 v64, v33, v65, v31 op_sel:[0,1,0]
	ds_read_b128 v[30:33], v41 offset:336
	s_waitcnt lgkmcnt(1)
	v_pk_fma_f16 v52, v26, v34, v52 op_sel_hi:[1,0,1]
	v_pk_fma_f16 v53, v26, v34, v53 op_sel:[0,1,0]
	v_pk_fma_f16 v54, v26, v35, v54 op_sel_hi:[1,0,1]
	v_pk_fma_f16 v26, v26, v35, v55 op_sel:[0,1,0]
	;; [unrolled: 2-line block ×5, first 2 shown]
	v_pk_fma_f16 v64, v28, v37, v54 op_sel_hi:[1,0,1]
	ds_read2_b64 v[52:55], v20 offset0:64 offset1:96
	v_pk_fma_f16 v26, v28, v37, v26 op_sel:[0,1,0]
	v_pk_fma_f16 v28, v29, v36, v62 op_sel_hi:[1,0,1]
	v_pk_fma_f16 v34, v29, v36, v34 op_sel:[0,1,0]
	v_pk_fma_f16 v36, v29, v37, v51 op_sel_hi:[1,0,1]
	v_pk_fma_f16 v27, v29, v37, v27 op_sel:[0,1,0]
	s_waitcnt lgkmcnt(0)
	v_pk_fma_f16 v29, v52, v30, v35 op_sel_hi:[1,0,1]
	v_pk_fma_f16 v35, v52, v30, v63 op_sel:[0,1,0]
	v_pk_fma_f16 v37, v52, v31, v64 op_sel_hi:[1,0,1]
	v_pk_fma_f16 v26, v52, v31, v26 op_sel:[0,1,0]
	;; [unrolled: 2-line block ×6, first 2 shown]
	v_pk_fma_f16 v63, v55, v32, v28 op_sel_hi:[1,0,1]
	ds_read2_b64 v[26:29], v20 offset0:128 offset1:160
	ds_read_b128 v[34:37], v41 offset:352
	v_pk_fma_f16 v64, v55, v32, v30 op_sel:[0,1,0]
	v_pk_fma_f16 v51, v55, v33, v51 op_sel_hi:[1,0,1]
	v_pk_fma_f16 v55, v55, v33, v31 op_sel:[0,1,0]
	ds_read_b128 v[30:33], v41 offset:368
	s_waitcnt lgkmcnt(1)
	v_pk_fma_f16 v52, v26, v34, v52 op_sel_hi:[1,0,1]
	v_pk_fma_f16 v53, v26, v34, v53 op_sel:[0,1,0]
	v_pk_fma_f16 v62, v26, v35, v62 op_sel_hi:[1,0,1]
	v_pk_fma_f16 v26, v26, v35, v54 op_sel:[0,1,0]
	v_pk_fma_f16 v63, v27, v34, v63 op_sel_hi:[1,0,1]
	v_pk_fma_f16 v34, v27, v34, v64 op_sel:[0,1,0]
	v_pk_fma_f16 v51, v27, v35, v51 op_sel_hi:[1,0,1]
	v_pk_fma_f16 v27, v27, v35, v55 op_sel:[0,1,0]
	v_pk_fma_f16 v35, v28, v36, v52 op_sel_hi:[1,0,1]
	v_pk_fma_f16 v64, v28, v36, v53 op_sel:[0,1,0]
	ds_read2_b64 v[52:55], v20 offset0:192 offset1:224
	v_pk_fma_f16 v62, v28, v37, v62 op_sel_hi:[1,0,1]
	v_pk_fma_f16 v26, v28, v37, v26 op_sel:[0,1,0]
	v_pk_fma_f16 v20, v29, v36, v63 op_sel_hi:[1,0,1]
	v_pk_fma_f16 v28, v29, v36, v34 op_sel:[0,1,0]
	;; [unrolled: 2-line block ×3, first 2 shown]
	s_waitcnt lgkmcnt(0)
	v_pk_fma_f16 v29, v52, v30, v35 op_sel_hi:[1,0,1]
	v_pk_fma_f16 v35, v52, v30, v64 op_sel:[0,1,0]
	v_pk_fma_f16 v36, v52, v31, v62 op_sel_hi:[1,0,1]
	v_pk_fma_f16 v26, v52, v31, v26 op_sel:[0,1,0]
	;; [unrolled: 2-line block ×6, first 2 shown]
	ds_read2_b64 v[26:29], v22 offset1:32
	ds_read_b128 v[34:37], v41 offset:384
	v_pk_fma_f16 v20, v55, v32, v20 op_sel_hi:[1,0,1]
	v_pk_fma_f16 v63, v55, v32, v30 op_sel:[0,1,0]
	v_pk_fma_f16 v51, v55, v33, v51 op_sel_hi:[1,0,1]
	v_pk_fma_f16 v55, v55, v33, v31 op_sel:[0,1,0]
	s_waitcnt lgkmcnt(0)
	v_pk_fma_f16 v52, v26, v34, v52 op_sel_hi:[1,0,1]
	v_pk_fma_f16 v53, v26, v34, v53 op_sel:[0,1,0]
	ds_read_b128 v[30:33], v41 offset:400
	v_pk_fma_f16 v62, v26, v35, v62 op_sel_hi:[1,0,1]
	v_pk_fma_f16 v26, v26, v35, v54 op_sel:[0,1,0]
	v_pk_fma_f16 v20, v27, v34, v20 op_sel_hi:[1,0,1]
	v_pk_fma_f16 v34, v27, v34, v63 op_sel:[0,1,0]
	;; [unrolled: 2-line block ×4, first 2 shown]
	ds_read2_b64 v[52:55], v22 offset0:64 offset1:96
	v_pk_fma_f16 v62, v28, v37, v62 op_sel_hi:[1,0,1]
	v_pk_fma_f16 v26, v28, v37, v26 op_sel:[0,1,0]
	v_pk_fma_f16 v20, v29, v36, v20 op_sel_hi:[1,0,1]
	v_pk_fma_f16 v28, v29, v36, v34 op_sel:[0,1,0]
	;; [unrolled: 2-line block ×3, first 2 shown]
	s_waitcnt lgkmcnt(0)
	v_pk_fma_f16 v29, v52, v30, v35 op_sel_hi:[1,0,1]
	v_pk_fma_f16 v35, v52, v30, v63 op_sel:[0,1,0]
	v_pk_fma_f16 v36, v52, v31, v62 op_sel_hi:[1,0,1]
	v_pk_fma_f16 v26, v52, v31, v26 op_sel:[0,1,0]
	v_pk_fma_f16 v20, v53, v30, v20 op_sel_hi:[1,0,1]
	v_pk_fma_f16 v30, v53, v30, v28 op_sel:[0,1,0]
	v_pk_fma_f16 v51, v53, v31, v34 op_sel_hi:[1,0,1]
	v_pk_fma_f16 v31, v53, v31, v27 op_sel:[0,1,0]
	v_pk_fma_f16 v52, v54, v32, v29 op_sel_hi:[1,0,1]
	v_pk_fma_f16 v53, v54, v32, v35 op_sel:[0,1,0]
	v_pk_fma_f16 v62, v54, v33, v36 op_sel_hi:[1,0,1]
	v_pk_fma_f16 v54, v54, v33, v26 op_sel:[0,1,0]
	ds_read2_b64 v[26:29], v22 offset0:128 offset1:160
	ds_read_b128 v[34:37], v41 offset:416
	v_pk_fma_f16 v20, v55, v32, v20 op_sel_hi:[1,0,1]
	v_pk_fma_f16 v63, v55, v32, v30 op_sel:[0,1,0]
	v_pk_fma_f16 v51, v55, v33, v51 op_sel_hi:[1,0,1]
	v_pk_fma_f16 v55, v55, v33, v31 op_sel:[0,1,0]
	s_waitcnt lgkmcnt(0)
	v_pk_fma_f16 v52, v26, v34, v52 op_sel_hi:[1,0,1]
	v_pk_fma_f16 v53, v26, v34, v53 op_sel:[0,1,0]
	ds_read_b128 v[30:33], v41 offset:432
	v_pk_fma_f16 v62, v26, v35, v62 op_sel_hi:[1,0,1]
	v_pk_fma_f16 v26, v26, v35, v54 op_sel:[0,1,0]
	v_pk_fma_f16 v20, v27, v34, v20 op_sel_hi:[1,0,1]
	v_pk_fma_f16 v34, v27, v34, v63 op_sel:[0,1,0]
	;; [unrolled: 2-line block ×4, first 2 shown]
	ds_read2_b64 v[52:55], v22 offset0:192 offset1:224
	v_pk_fma_f16 v62, v28, v37, v62 op_sel_hi:[1,0,1]
	v_pk_fma_f16 v26, v28, v37, v26 op_sel:[0,1,0]
	v_pk_fma_f16 v20, v29, v36, v20 op_sel_hi:[1,0,1]
	v_pk_fma_f16 v22, v29, v36, v34 op_sel:[0,1,0]
	;; [unrolled: 2-line block ×3, first 2 shown]
	s_waitcnt lgkmcnt(0)
	v_pk_fma_f16 v29, v52, v30, v35 op_sel_hi:[1,0,1]
	v_pk_fma_f16 v34, v52, v30, v63 op_sel:[0,1,0]
	v_pk_fma_f16 v35, v52, v31, v62 op_sel_hi:[1,0,1]
	v_pk_fma_f16 v26, v52, v31, v26 op_sel:[0,1,0]
	;; [unrolled: 2-line block ×6, first 2 shown]
	ds_read2_b64 v[26:29], v24 offset1:32
	ds_read_b128 v[34:37], v41 offset:448
	v_pk_fma_f16 v20, v55, v32, v20 op_sel_hi:[1,0,1]
	v_pk_fma_f16 v22, v55, v32, v22 op_sel:[0,1,0]
	v_pk_fma_f16 v62, v55, v33, v30 op_sel_hi:[1,0,1]
	v_pk_fma_f16 v55, v55, v33, v31 op_sel:[0,1,0]
	s_waitcnt lgkmcnt(0)
	v_pk_fma_f16 v51, v26, v34, v51 op_sel_hi:[1,0,1]
	v_pk_fma_f16 v52, v26, v34, v52 op_sel:[0,1,0]
	v_pk_fma_f16 v53, v26, v35, v53 op_sel_hi:[1,0,1]
	ds_read_b128 v[30:33], v41 offset:464
	v_pk_fma_f16 v26, v26, v35, v54 op_sel:[0,1,0]
	v_pk_fma_f16 v20, v27, v34, v20 op_sel_hi:[1,0,1]
	v_pk_fma_f16 v22, v27, v34, v22 op_sel:[0,1,0]
	v_pk_fma_f16 v34, v27, v35, v62 op_sel_hi:[1,0,1]
	;; [unrolled: 2-line block ×4, first 2 shown]
	ds_read2_b64 v[52:55], v24 offset0:64 offset1:96
	v_pk_fma_f16 v26, v28, v37, v26 op_sel:[0,1,0]
	v_pk_fma_f16 v20, v29, v36, v20 op_sel_hi:[1,0,1]
	v_pk_fma_f16 v22, v29, v36, v22 op_sel:[0,1,0]
	v_pk_fma_f16 v28, v29, v37, v34 op_sel_hi:[1,0,1]
	v_pk_fma_f16 v27, v29, v37, v27 op_sel:[0,1,0]
	s_waitcnt lgkmcnt(0)
	v_pk_fma_f16 v29, v52, v30, v35 op_sel_hi:[1,0,1]
	v_pk_fma_f16 v34, v52, v30, v51 op_sel:[0,1,0]
	v_pk_fma_f16 v35, v52, v31, v62 op_sel_hi:[1,0,1]
	v_pk_fma_f16 v26, v52, v31, v26 op_sel:[0,1,0]
	;; [unrolled: 2-line block ×6, first 2 shown]
	ds_read2_b64 v[26:29], v24 offset0:128 offset1:160
	ds_read_b128 v[34:37], v41 offset:480
	v_pk_fma_f16 v20, v55, v32, v20 op_sel_hi:[1,0,1]
	v_pk_fma_f16 v22, v55, v32, v22 op_sel:[0,1,0]
	v_pk_fma_f16 v62, v55, v33, v30 op_sel_hi:[1,0,1]
	v_pk_fma_f16 v55, v55, v33, v31 op_sel:[0,1,0]
	ds_read_b128 v[30:33], v41 offset:496
	s_waitcnt lgkmcnt(1)
	v_pk_fma_f16 v51, v26, v34, v51 op_sel_hi:[1,0,1]
	v_pk_fma_f16 v52, v26, v34, v52 op_sel:[0,1,0]
	v_pk_fma_f16 v20, v27, v34, v20 op_sel_hi:[1,0,1]
	v_pk_fma_f16 v22, v27, v34, v22 op_sel:[0,1,0]
	v_pk_fma_f16 v34, v27, v35, v62 op_sel_hi:[1,0,1]
	ds_read2_b64 v[62:65], v24 offset0:192 offset1:224
	s_waitcnt lgkmcnt(0)
	s_barrier
	s_load_dword s10, s[8:9], 0x4
	v_pk_fma_f16 v53, v26, v35, v53 op_sel_hi:[1,0,1]
	v_pk_fma_f16 v26, v26, v35, v54 op_sel:[0,1,0]
	v_pk_fma_f16 v27, v27, v35, v55 op_sel:[0,1,0]
	v_pk_fma_f16 v35, v28, v36, v51 op_sel_hi:[1,0,1]
	v_pk_fma_f16 v51, v28, v36, v52 op_sel:[0,1,0]
	v_pk_fma_f16 v52, v28, v37, v53 op_sel_hi:[1,0,1]
	;; [unrolled: 2-line block ×4, first 2 shown]
	v_pk_fma_f16 v27, v29, v37, v27 op_sel:[0,1,0]
	s_waitcnt lgkmcnt(0)
	s_lshl_b32 s10, s10, 6
	v_pk_fma_f16 v28, v62, v30, v35 op_sel_hi:[1,0,1]
	v_pk_fma_f16 v29, v62, v30, v51 op_sel:[0,1,0]
	v_pk_fma_f16 v34, v62, v31, v52 op_sel_hi:[1,0,1]
	v_pk_fma_f16 v26, v62, v31, v26 op_sel:[0,1,0]
	;; [unrolled: 2-line block ×4, first 2 shown]
	s_add_i32 s6, s10, s6
	v_pk_fma_f16 v54, v64, v32, v28 op_sel_hi:[1,0,1]
	v_pk_fma_f16 v52, v64, v32, v29 op_sel:[0,1,0]
	v_pk_fma_f16 v51, v64, v33, v34 op_sel_hi:[1,0,1]
	v_pk_fma_f16 v55, v64, v33, v26 op_sel:[0,1,0]
	;; [unrolled: 2-line block ×3, first 2 shown]
	v_pk_fma_f16 v24, v65, v33, v24 op_sel_hi:[1,0,1]
	s_cmp_ge_i32 s6, s28
	v_pk_fma_f16 v53, v65, v33, v27 op_sel:[0,1,0]
	s_cbranch_scc1 .LBB72_43
; %bb.42:                               ;   in Loop: Header=BB72_9 Depth=1
	v_mov_b32_e32 v26, v0
	v_mov_b32_e32 v27, v1
	;; [unrolled: 1-line block ×4, first 2 shown]
	s_branch .LBB72_9
.LBB72_43:
	v_cmp_lt_i32_e32 vcc, v59, v56
	v_cndmask_b32_e32 v10, v11, v59, vcc
	v_cmp_lt_i32_e32 vcc, v60, v56
	v_cndmask_b32_e32 v12, v11, v60, vcc
	v_cmp_lt_i32_e32 vcc, v61, v56
	v_lshlrev_b32_e32 v10, 2, v10
	v_lshlrev_b32_e32 v16, 2, v12
	v_cndmask_b32_e32 v12, v11, v61, vcc
	v_lshlrev_b32_e32 v17, 2, v12
	ds_bpermute_b32 v12, v10, v8
	ds_bpermute_b32 v13, v10, v9
	;; [unrolled: 1-line block ×4, first 2 shown]
	v_cmp_lt_i32_e32 vcc, v58, v56
	v_cndmask_b32_e32 v10, v11, v58, vcc
	s_waitcnt lgkmcnt(2)
	v_pk_add_f32 v[8:9], v[8:9], v[12:13]
	ds_bpermute_b32 v12, v16, v8
	s_waitcnt lgkmcnt(1)
	v_pk_add_f32 v[6:7], v[6:7], v[14:15]
	ds_bpermute_b32 v13, v16, v9
	ds_bpermute_b32 v14, v16, v6
	;; [unrolled: 1-line block ×3, first 2 shown]
	v_lshlrev_b32_e32 v16, 2, v10
	v_cmp_lt_i32_e32 vcc, v57, v56
	s_waitcnt lgkmcnt(2)
	v_pk_add_f32 v[8:9], v[8:9], v[12:13]
	ds_bpermute_b32 v12, v17, v8
	s_waitcnt lgkmcnt(1)
	v_pk_add_f32 v[6:7], v[6:7], v[14:15]
	ds_bpermute_b32 v13, v17, v9
	ds_bpermute_b32 v14, v17, v6
	;; [unrolled: 1-line block ×3, first 2 shown]
	v_cndmask_b32_e32 v17, v11, v57, vcc
	s_cmp_lg_u64 s[16:17], 0
	s_waitcnt lgkmcnt(2)
	v_pk_add_f32 v[8:9], v[8:9], v[12:13]
	ds_bpermute_b32 v10, v16, v8
	s_waitcnt lgkmcnt(1)
	v_pk_add_f32 v[6:7], v[6:7], v[14:15]
	ds_bpermute_b32 v11, v16, v9
	ds_bpermute_b32 v12, v16, v6
	;; [unrolled: 1-line block ×3, first 2 shown]
	v_lshlrev_b32_e32 v14, 2, v17
	s_cselect_b64 s[0:1], -1, 0
	s_waitcnt lgkmcnt(2)
	v_pk_add_f32 v[8:9], v[8:9], v[10:11]
	ds_bpermute_b32 v10, v14, v8
	s_waitcnt lgkmcnt(1)
	v_pk_add_f32 v[6:7], v[6:7], v[12:13]
	ds_bpermute_b32 v11, v14, v9
	ds_bpermute_b32 v12, v14, v6
	;; [unrolled: 1-line block ×3, first 2 shown]
	s_cmp_eq_u32 s7, 0
	s_cselect_b64 s[8:9], -1, 0
	s_and_b64 s[0:1], s[8:9], s[0:1]
	s_waitcnt lgkmcnt(2)
	v_pk_add_f32 v[8:9], v[8:9], v[10:11]
	s_waitcnt lgkmcnt(0)
	v_pk_add_f32 v[6:7], v[6:7], v[12:13]
	s_and_b64 vcc, exec, s[0:1]
	s_cbranch_vccz .LBB72_45
; %bb.44:
	v_add_u32_e32 v10, s29, v23
	v_ashrrev_i32_e32 v11, 31, v10
	v_lshlrev_b64 v[10:11], 2, v[10:11]
	v_mov_b32_e32 v12, s17
	v_add_co_u32_e32 v10, vcc, s16, v10
	v_addc_co_u32_e32 v11, vcc, v12, v11, vcc
	global_load_dwordx4 v[10:13], v[10:11], off
	v_max_f32_e32 v14, v1, v1
	v_max_f32_e32 v16, v0, v0
	v_max_f32_e32 v17, v3, v3
	v_max_f32_e32 v19, v2, v2
	s_mov_b32 s6, 0x3fb8aa3b
	s_mov_b32 s0, 0xc2ce8ed0
	;; [unrolled: 1-line block ×3, first 2 shown]
	v_mov_b32_e32 v18, 0x7f800000
	s_waitcnt vmcnt(0)
	v_max_f32_e32 v15, v11, v11
	v_max_f32_e32 v25, v10, v10
	;; [unrolled: 1-line block ×6, first 2 shown]
	v_pk_add_f32 v[0:1], v[0:1], v[14:15] neg_lo:[0,1] neg_hi:[0,1]
	v_max_f32_e32 v17, v17, v26
	v_max_f32_e32 v16, v19, v27
	v_mul_f32_e32 v19, 0x3fb8aa3b, v1
	v_pk_add_f32 v[2:3], v[2:3], v[16:17] neg_lo:[0,1] neg_hi:[0,1]
	v_mul_f32_e32 v25, 0x3fb8aa3b, v0
	v_fma_f32 v30, v1, s6, -v19
	v_rndne_f32_e32 v31, v19
	v_mul_f32_e32 v26, 0x3fb8aa3b, v3
	v_fma_f32 v32, v0, s6, -v25
	v_rndne_f32_e32 v33, v25
	v_fmac_f32_e32 v30, 0x32a5705f, v1
	v_sub_f32_e32 v19, v19, v31
	v_mul_f32_e32 v27, 0x3fb8aa3b, v2
	v_fma_f32 v34, v3, s6, -v26
	v_rndne_f32_e32 v35, v26
	v_fmac_f32_e32 v32, 0x32a5705f, v0
	v_sub_f32_e32 v25, v25, v33
	v_add_f32_e32 v19, v19, v30
	v_fma_f32 v36, v2, s6, -v27
	v_rndne_f32_e32 v37, v27
	v_cvt_i32_f32_e32 v31, v31
	v_fmac_f32_e32 v34, 0x32a5705f, v3
	v_sub_f32_e32 v26, v26, v35
	v_add_f32_e32 v25, v25, v32
	v_exp_f32_e32 v19, v19
	v_cvt_i32_f32_e32 v33, v33
	v_fmac_f32_e32 v36, 0x32a5705f, v2
	v_sub_f32_e32 v27, v27, v37
	v_add_f32_e32 v26, v26, v34
	v_exp_f32_e32 v25, v25
	v_cvt_i32_f32_e32 v35, v35
	v_add_f32_e32 v27, v27, v36
	v_exp_f32_e32 v26, v26
	v_cvt_i32_f32_e32 v37, v37
	v_exp_f32_e32 v27, v27
	v_ldexp_f32 v19, v19, v31
	v_cmp_ngt_f32_e32 vcc, s0, v1
	v_ldexp_f32 v25, v25, v33
	v_cndmask_b32_e32 v19, 0, v19, vcc
	v_cmp_ngt_f32_e32 vcc, s0, v0
	v_ldexp_f32 v26, v26, v35
	v_cndmask_b32_e32 v25, 0, v25, vcc
	;; [unrolled: 3-line block ×3, first 2 shown]
	v_cmp_ngt_f32_e32 vcc, s0, v2
	v_cndmask_b32_e32 v27, 0, v27, vcc
	v_cmp_nlt_f32_e32 vcc, s1, v1
	v_cndmask_b32_e32 v1, v18, v19, vcc
	v_cmp_nlt_f32_e32 vcc, s1, v0
	;; [unrolled: 2-line block ×4, first 2 shown]
	v_cndmask_b32_e32 v2, v18, v27, vcc
	v_cvt_f16_f32_e32 v19, v0
	v_cvt_f16_f32_e32 v25, v1
	v_pk_add_f32 v[12:13], v[12:13], v[16:17] neg_lo:[0,1] neg_hi:[0,1]
	v_cvt_f16_f32_e32 v26, v2
	v_mul_f32_e32 v28, 0x3fb8aa3b, v13
	v_mul_f32_e32 v29, 0x3fb8aa3b, v12
	v_fma_f32 v38, v13, s6, -v28
	v_rndne_f32_e32 v39, v28
	v_fmac_f32_e32 v38, 0x32a5705f, v13
	v_sub_f32_e32 v28, v28, v39
	v_pk_mul_f16 v54, v19, v54 op_sel_hi:[0,1]
	v_pk_mul_f16 v22, v19, v22 op_sel_hi:[0,1]
	;; [unrolled: 1-line block ×4, first 2 shown]
	v_fma_f32 v19, v12, s6, -v29
	v_rndne_f32_e32 v25, v29
	v_add_f32_e32 v28, v28, v38
	v_pk_mul_f16 v51, v26, v51 op_sel_hi:[0,1]
	v_pk_mul_f16 v24, v26, v24 op_sel_hi:[0,1]
	v_fmac_f32_e32 v19, 0x32a5705f, v12
	v_sub_f32_e32 v26, v29, v25
	v_cvt_i32_f32_e32 v39, v39
	v_exp_f32_e32 v28, v28
	v_add_f32_e32 v19, v26, v19
	v_exp_f32_e32 v19, v19
	v_cvt_i32_f32_e32 v25, v25
	v_cvt_f16_f32_e32 v27, v3
	v_pk_add_f32 v[10:11], v[10:11], v[14:15] neg_lo:[0,1] neg_hi:[0,1]
	v_ldexp_f32 v28, v28, v39
	v_cmp_ngt_f32_e32 vcc, s0, v13
	v_cndmask_b32_e32 v26, 0, v28, vcc
	v_cmp_nlt_f32_e32 vcc, s1, v13
	v_ldexp_f32 v19, v19, v25
	v_mul_f32_e32 v25, 0x3fb8aa3b, v11
	v_pk_mul_f16 v55, v27, v55 op_sel_hi:[0,1]
	v_pk_mul_f16 v53, v27, v53 op_sel_hi:[0,1]
	v_cndmask_b32_e32 v13, v18, v26, vcc
	v_fma_f32 v26, v11, s6, -v25
	v_rndne_f32_e32 v27, v25
	v_fmac_f32_e32 v26, 0x32a5705f, v11
	v_sub_f32_e32 v25, v25, v27
	v_add_f32_e32 v25, v25, v26
	v_exp_f32_e32 v25, v25
	v_cvt_i32_f32_e32 v26, v27
	v_cmp_ngt_f32_e32 vcc, s0, v12
	v_cndmask_b32_e32 v19, 0, v19, vcc
	v_cmp_nlt_f32_e32 vcc, s1, v12
	v_cndmask_b32_e32 v12, v18, v19, vcc
	v_ldexp_f32 v19, v25, v26
	v_mul_f32_e32 v25, 0x3fb8aa3b, v10
	v_fma_f32 v26, v10, s6, -v25
	v_rndne_f32_e32 v27, v25
	v_fmac_f32_e32 v26, 0x32a5705f, v10
	v_sub_f32_e32 v25, v25, v27
	v_add_f32_e32 v25, v25, v26
	v_exp_f32_e32 v25, v25
	v_cvt_i32_f32_e32 v26, v27
	v_cmp_ngt_f32_e32 vcc, s0, v11
	v_cndmask_b32_e32 v19, 0, v19, vcc
	v_cmp_nlt_f32_e32 vcc, s1, v11
	v_cndmask_b32_e32 v11, v18, v19, vcc
	v_ldexp_f32 v19, v25, v26
	v_cmp_ngt_f32_e32 vcc, s0, v10
	v_cndmask_b32_e32 v19, 0, v19, vcc
	v_cmp_nlt_f32_e32 vcc, s1, v10
	v_cndmask_b32_e32 v10, v18, v19, vcc
	v_pk_fma_f32 v[6:7], v[6:7], v[2:3], v[12:13]
	v_pk_fma_f32 v[8:9], v[8:9], v[0:1], v[10:11]
	v_pk_mov_b32 v[0:1], v[14:15], v[14:15] op_sel:[0,1]
	v_pk_mov_b32 v[2:3], v[16:17], v[16:17] op_sel:[0,1]
.LBB72_45:
	v_cmp_gt_i32_e32 vcc, s2, v5
	s_and_saveexec_b64 s[0:1], vcc
	s_cbranch_execz .LBB72_62
; %bb.46:
	s_load_dword s6, s[4:5], 0xd4
	v_mov_b32_e32 v10, 1.0
	s_waitcnt lgkmcnt(0)
	s_cmp_lg_u32 s6, 1
	s_cselect_b64 s[0:1], -1, 0
	s_cmp_eq_u32 s6, 1
	s_cselect_b64 s[4:5], -1, 0
	s_and_b64 vcc, exec, s[0:1]
	s_cbranch_vccnz .LBB72_48
; %bb.47:
	v_div_scale_f32 v10, s[8:9], v8, v8, 1.0
	v_rcp_f32_e32 v11, v10
	v_div_scale_f32 v12, vcc, 1.0, v8, 1.0
	v_fma_f32 v13, -v10, v11, 1.0
	v_fmac_f32_e32 v11, v13, v11
	v_mul_f32_e32 v13, v12, v11
	v_fma_f32 v14, -v10, v13, v12
	v_fmac_f32_e32 v13, v14, v11
	v_fma_f32 v10, -v10, v13, v12
	v_div_fmas_f32 v10, v10, v11, v13
	v_div_fixup_f32 v10, v10, v8, 1.0
.LBB72_48:
	s_mul_i32 s33, s33, s2
	v_add_u32_e32 v5, s33, v5
	v_mul_lo_u32 v5, v5, s3
	v_add3_u32 v5, s29, v23, v5
	v_cmp_eq_u32_e32 vcc, 0, v4
	v_mul_lo_u32 v4, s6, v5
	v_add_u32_e32 v4, s7, v4
	v_cvt_f32_f16_sdwa v15, v54 dst_sel:DWORD dst_unused:UNUSED_PAD src0_sel:WORD_1
	v_cvt_f32_f16_e32 v14, v54
	v_cvt_f32_f16_sdwa v17, v22 dst_sel:DWORD dst_unused:UNUSED_PAD src0_sel:WORD_1
	v_cvt_f32_f16_e32 v16, v22
	v_lshl_add_u32 v12, v4, 7, v21
	v_mov_b32_e32 v13, 0
	v_lshlrev_b64 v[12:13], 2, v[12:13]
	s_and_b64 s[2:3], vcc, s[0:1]
	v_mov_b32_e32 v5, s21
	v_add_co_u32_e32 v18, vcc, s20, v12
	v_addc_co_u32_e32 v19, vcc, v5, v13, vcc
	v_pk_mul_f32 v[12:13], v[10:11], v[14:15] op_sel_hi:[0,1]
	v_pk_mul_f32 v[14:15], v[10:11], v[16:17] op_sel_hi:[0,1]
	global_store_dwordx4 v[18:19], v[12:15], off
	s_and_saveexec_b64 s[0:1], s[2:3]
	s_cbranch_execz .LBB72_50
; %bb.49:
	v_ashrrev_i32_e32 v5, 31, v4
	v_lshlrev_b64 v[10:11], 3, v[4:5]
	v_mov_b32_e32 v5, s23
	v_add_co_u32_e32 v10, vcc, s22, v10
	v_addc_co_u32_e32 v11, vcc, v5, v11, vcc
	v_mov_b32_e32 v12, v0
	v_mov_b32_e32 v13, v8
	global_store_dwordx2 v[10:11], v[12:13], off
.LBB72_50:
	s_or_b64 exec, exec, s[0:1]
	v_cndmask_b32_e64 v0, 0, 1, s[4:5]
	v_cmp_ne_u32_e64 s[0:1], 1, v0
	s_andn2_b64 vcc, exec, s[4:5]
	v_mov_b32_e32 v0, 1.0
	s_cbranch_vccnz .LBB72_52
; %bb.51:
	v_div_scale_f32 v0, s[4:5], v9, v9, 1.0
	v_rcp_f32_e32 v5, v0
	v_div_scale_f32 v8, vcc, 1.0, v9, 1.0
	v_fma_f32 v10, -v0, v5, 1.0
	v_fmac_f32_e32 v5, v10, v5
	v_mul_f32_e32 v10, v8, v5
	v_fma_f32 v11, -v0, v10, v8
	v_fmac_f32_e32 v10, v11, v5
	v_fma_f32 v0, -v0, v10, v8
	v_div_fmas_f32 v0, v0, v5, v10
	v_div_fixup_f32 v0, v0, v9, 1.0
.LBB72_52:
	v_add_u32_e32 v4, s6, v4
	v_cvt_f32_f16_sdwa v13, v52 dst_sel:DWORD dst_unused:UNUSED_PAD src0_sel:WORD_1
	v_cvt_f32_f16_e32 v12, v52
	v_cvt_f32_f16_sdwa v15, v20 dst_sel:DWORD dst_unused:UNUSED_PAD src0_sel:WORD_1
	v_cvt_f32_f16_e32 v14, v20
	v_lshl_add_u32 v10, v4, 7, v21
	v_mov_b32_e32 v11, 0
	v_lshlrev_b64 v[10:11], 2, v[10:11]
	v_mov_b32_e32 v5, s21
	v_add_co_u32_e32 v16, vcc, s20, v10
	v_addc_co_u32_e32 v17, vcc, v5, v11, vcc
	v_pk_mul_f32 v[10:11], v[0:1], v[12:13] op_sel_hi:[0,1]
	v_pk_mul_f32 v[12:13], v[0:1], v[14:15] op_sel_hi:[0,1]
	global_store_dwordx4 v[16:17], v[10:13], off
	s_and_saveexec_b64 s[4:5], s[2:3]
	s_cbranch_execz .LBB72_54
; %bb.53:
	v_ashrrev_i32_e32 v5, 31, v4
	v_lshlrev_b64 v[10:11], 3, v[4:5]
	v_mov_b32_e32 v0, s23
	v_add_co_u32_e32 v10, vcc, s22, v10
	v_addc_co_u32_e32 v11, vcc, v0, v11, vcc
	v_mov_b32_e32 v8, v1
	global_store_dwordx2 v[10:11], v[8:9], off
.LBB72_54:
	s_or_b64 exec, exec, s[4:5]
	s_and_b64 vcc, exec, s[0:1]
	v_mov_b32_e32 v8, 1.0
	s_cbranch_vccnz .LBB72_56
; %bb.55:
	v_div_scale_f32 v0, s[4:5], v6, v6, 1.0
	v_rcp_f32_e32 v1, v0
	v_div_scale_f32 v5, vcc, 1.0, v6, 1.0
	v_fma_f32 v8, -v0, v1, 1.0
	v_fmac_f32_e32 v1, v8, v1
	v_mul_f32_e32 v8, v5, v1
	v_fma_f32 v9, -v0, v8, v5
	v_fmac_f32_e32 v8, v9, v1
	v_fma_f32 v0, -v0, v8, v5
	v_div_fmas_f32 v0, v0, v1, v8
	v_div_fixup_f32 v8, v0, v6, 1.0
.LBB72_56:
	v_add_u32_e32 v0, s6, v4
	v_cvt_f32_f16_sdwa v11, v51 dst_sel:DWORD dst_unused:UNUSED_PAD src0_sel:WORD_1
	v_cvt_f32_f16_e32 v10, v51
	v_cvt_f32_f16_sdwa v13, v24 dst_sel:DWORD dst_unused:UNUSED_PAD src0_sel:WORD_1
	v_cvt_f32_f16_e32 v12, v24
	v_lshl_add_u32 v4, v0, 7, v21
	v_mov_b32_e32 v5, 0
	v_lshlrev_b64 v[4:5], 2, v[4:5]
	v_mov_b32_e32 v1, s21
	v_add_co_u32_e32 v4, vcc, s20, v4
	v_addc_co_u32_e32 v5, vcc, v1, v5, vcc
	v_pk_mul_f32 v[10:11], v[8:9], v[10:11] op_sel_hi:[0,1]
	v_pk_mul_f32 v[12:13], v[8:9], v[12:13] op_sel_hi:[0,1]
	global_store_dwordx4 v[4:5], v[10:13], off
	s_and_saveexec_b64 s[4:5], s[2:3]
	s_cbranch_execz .LBB72_58
; %bb.57:
	v_ashrrev_i32_e32 v1, 31, v0
	v_lshlrev_b64 v[4:5], 3, v[0:1]
	v_mov_b32_e32 v1, s23
	v_add_co_u32_e32 v4, vcc, s22, v4
	v_addc_co_u32_e32 v5, vcc, v1, v5, vcc
	v_mov_b32_e32 v8, v2
	v_mov_b32_e32 v9, v6
	global_store_dwordx2 v[4:5], v[8:9], off
.LBB72_58:
	s_or_b64 exec, exec, s[4:5]
	s_and_b64 vcc, exec, s[0:1]
	v_mov_b32_e32 v2, 1.0
	s_cbranch_vccnz .LBB72_60
; %bb.59:
	v_div_scale_f32 v1, s[0:1], v7, v7, 1.0
	v_rcp_f32_e32 v2, v1
	v_div_scale_f32 v4, vcc, 1.0, v7, 1.0
	v_fma_f32 v5, -v1, v2, 1.0
	v_fmac_f32_e32 v2, v5, v2
	v_mul_f32_e32 v5, v4, v2
	v_fma_f32 v6, -v1, v5, v4
	v_fmac_f32_e32 v5, v6, v2
	v_fma_f32 v1, -v1, v5, v4
	v_div_fmas_f32 v1, v1, v2, v5
	v_div_fixup_f32 v2, v1, v7, 1.0
.LBB72_60:
	v_add_u32_e32 v0, s6, v0
	v_cvt_f32_f16_sdwa v9, v55 dst_sel:DWORD dst_unused:UNUSED_PAD src0_sel:WORD_1
	v_cvt_f32_f16_e32 v8, v55
	v_cvt_f32_f16_sdwa v11, v53 dst_sel:DWORD dst_unused:UNUSED_PAD src0_sel:WORD_1
	v_cvt_f32_f16_e32 v10, v53
	v_lshl_add_u32 v4, v0, 7, v21
	v_mov_b32_e32 v5, 0
	v_lshlrev_b64 v[4:5], 2, v[4:5]
	v_mov_b32_e32 v1, s21
	v_add_co_u32_e32 v4, vcc, s20, v4
	v_addc_co_u32_e32 v5, vcc, v1, v5, vcc
	v_pk_mul_f32 v[8:9], v[2:3], v[8:9] op_sel_hi:[0,1]
	v_pk_mul_f32 v[10:11], v[2:3], v[10:11] op_sel_hi:[0,1]
	global_store_dwordx4 v[4:5], v[8:11], off
	s_and_b64 exec, exec, s[2:3]
	s_cbranch_execz .LBB72_62
; %bb.61:
	v_ashrrev_i32_e32 v1, 31, v0
	v_lshlrev_b64 v[0:1], 3, v[0:1]
	v_mov_b32_e32 v2, s23
	v_add_co_u32_e32 v0, vcc, s22, v0
	v_addc_co_u32_e32 v1, vcc, v2, v1, vcc
	v_mov_b32_e32 v6, v3
	global_store_dwordx2 v[0:1], v[6:7], off
.LBB72_62:
	s_endpgm
	.section	.rodata,"a",@progbits
	.p2align	6, 0x0
	.amdhsa_kernel _ZL15flash_attn_tileILi128ELi128ELi4ELi8ELb1EEvPKcS1_S1_S1_S1_PKiPfP15HIP_vector_typeIfLj2EEffffjfiS5_IjLj3EEiiiiiiiiiiiliiliiiiil
		.amdhsa_group_segment_fixed_size 21504
		.amdhsa_private_segment_fixed_size 0
		.amdhsa_kernarg_size 464
		.amdhsa_user_sgpr_count 6
		.amdhsa_user_sgpr_private_segment_buffer 1
		.amdhsa_user_sgpr_dispatch_ptr 0
		.amdhsa_user_sgpr_queue_ptr 0
		.amdhsa_user_sgpr_kernarg_segment_ptr 1
		.amdhsa_user_sgpr_dispatch_id 0
		.amdhsa_user_sgpr_flat_scratch_init 0
		.amdhsa_user_sgpr_kernarg_preload_length 0
		.amdhsa_user_sgpr_kernarg_preload_offset 0
		.amdhsa_user_sgpr_private_segment_size 0
		.amdhsa_uses_dynamic_stack 0
		.amdhsa_system_sgpr_private_segment_wavefront_offset 0
		.amdhsa_system_sgpr_workgroup_id_x 1
		.amdhsa_system_sgpr_workgroup_id_y 1
		.amdhsa_system_sgpr_workgroup_id_z 1
		.amdhsa_system_sgpr_workgroup_info 0
		.amdhsa_system_vgpr_workitem_id 1
		.amdhsa_next_free_vgpr 105
		.amdhsa_next_free_sgpr 40
		.amdhsa_accum_offset 108
		.amdhsa_reserve_vcc 1
		.amdhsa_reserve_flat_scratch 0
		.amdhsa_float_round_mode_32 0
		.amdhsa_float_round_mode_16_64 0
		.amdhsa_float_denorm_mode_32 3
		.amdhsa_float_denorm_mode_16_64 3
		.amdhsa_dx10_clamp 1
		.amdhsa_ieee_mode 1
		.amdhsa_fp16_overflow 0
		.amdhsa_tg_split 0
		.amdhsa_exception_fp_ieee_invalid_op 0
		.amdhsa_exception_fp_denorm_src 0
		.amdhsa_exception_fp_ieee_div_zero 0
		.amdhsa_exception_fp_ieee_overflow 0
		.amdhsa_exception_fp_ieee_underflow 0
		.amdhsa_exception_fp_ieee_inexact 0
		.amdhsa_exception_int_div_zero 0
	.end_amdhsa_kernel
	.section	.text._ZL15flash_attn_tileILi128ELi128ELi4ELi8ELb1EEvPKcS1_S1_S1_S1_PKiPfP15HIP_vector_typeIfLj2EEffffjfiS5_IjLj3EEiiiiiiiiiiiliiliiiiil,"axG",@progbits,_ZL15flash_attn_tileILi128ELi128ELi4ELi8ELb1EEvPKcS1_S1_S1_S1_PKiPfP15HIP_vector_typeIfLj2EEffffjfiS5_IjLj3EEiiiiiiiiiiiliiliiiiil,comdat
.Lfunc_end72:
	.size	_ZL15flash_attn_tileILi128ELi128ELi4ELi8ELb1EEvPKcS1_S1_S1_S1_PKiPfP15HIP_vector_typeIfLj2EEffffjfiS5_IjLj3EEiiiiiiiiiiiliiliiiiil, .Lfunc_end72-_ZL15flash_attn_tileILi128ELi128ELi4ELi8ELb1EEvPKcS1_S1_S1_S1_PKiPfP15HIP_vector_typeIfLj2EEffffjfiS5_IjLj3EEiiiiiiiiiiiliiliiiiil
                                        ; -- End function
	.section	.AMDGPU.csdata,"",@progbits
; Kernel info:
; codeLenInByte = 17736
; NumSgprs: 44
; NumVgprs: 105
; NumAgprs: 0
; TotalNumVgprs: 105
; ScratchSize: 0
; MemoryBound: 0
; FloatMode: 240
; IeeeMode: 1
; LDSByteSize: 21504 bytes/workgroup (compile time only)
; SGPRBlocks: 5
; VGPRBlocks: 13
; NumSGPRsForWavesPerEU: 44
; NumVGPRsForWavesPerEU: 105
; AccumOffset: 108
; Occupancy: 3
; WaveLimiterHint : 1
; COMPUTE_PGM_RSRC2:SCRATCH_EN: 0
; COMPUTE_PGM_RSRC2:USER_SGPR: 6
; COMPUTE_PGM_RSRC2:TRAP_HANDLER: 0
; COMPUTE_PGM_RSRC2:TGID_X_EN: 1
; COMPUTE_PGM_RSRC2:TGID_Y_EN: 1
; COMPUTE_PGM_RSRC2:TGID_Z_EN: 1
; COMPUTE_PGM_RSRC2:TIDIG_COMP_CNT: 1
; COMPUTE_PGM_RSRC3_GFX90A:ACCUM_OFFSET: 26
; COMPUTE_PGM_RSRC3_GFX90A:TG_SPLIT: 0
	.section	.text._ZL15flash_attn_tileILi128ELi128ELi2ELi8ELb1EEvPKcS1_S1_S1_S1_PKiPfP15HIP_vector_typeIfLj2EEffffjfiS5_IjLj3EEiiiiiiiiiiiliiliiiiil,"axG",@progbits,_ZL15flash_attn_tileILi128ELi128ELi2ELi8ELb1EEvPKcS1_S1_S1_S1_PKiPfP15HIP_vector_typeIfLj2EEffffjfiS5_IjLj3EEiiiiiiiiiiiliiliiiiil,comdat
	.globl	_ZL15flash_attn_tileILi128ELi128ELi2ELi8ELb1EEvPKcS1_S1_S1_S1_PKiPfP15HIP_vector_typeIfLj2EEffffjfiS5_IjLj3EEiiiiiiiiiiiliiliiiiil ; -- Begin function _ZL15flash_attn_tileILi128ELi128ELi2ELi8ELb1EEvPKcS1_S1_S1_S1_PKiPfP15HIP_vector_typeIfLj2EEffffjfiS5_IjLj3EEiiiiiiiiiiiliiliiiiil
	.p2align	8
	.type	_ZL15flash_attn_tileILi128ELi128ELi2ELi8ELb1EEvPKcS1_S1_S1_S1_PKiPfP15HIP_vector_typeIfLj2EEffffjfiS5_IjLj3EEiiiiiiiiiiiliiliiiiil,@function
_ZL15flash_attn_tileILi128ELi128ELi2ELi8ELb1EEvPKcS1_S1_S1_S1_PKiPfP15HIP_vector_typeIfLj2EEffffjfiS5_IjLj3EEiiiiiiiiiiiliiliiiiil: ; @_ZL15flash_attn_tileILi128ELi128ELi2ELi8ELb1EEvPKcS1_S1_S1_S1_PKiPfP15HIP_vector_typeIfLj2EEffffjfiS5_IjLj3EEiiiiiiiiiiiliiliiiiil
; %bb.0:
	s_load_dwordx4 s[0:3], s[4:5], 0x5c
	s_load_dwordx2 s[28:29], s[4:5], 0x80
	s_load_dwordx2 s[34:35], s[4:5], 0xb8
	s_mov_b64 s[30:31], 0
	s_waitcnt lgkmcnt(0)
	s_ashr_i32 s9, s3, 31
	s_lshr_b32 s9, s9, 29
	s_add_i32 s9, s3, s9
	s_ashr_i32 s9, s9, 3
	v_cvt_f32_u32_e32 v1, s9
	s_sub_i32 s10, 0, s9
	v_rcp_iflag_f32_e32 v1, v1
	v_mul_f32_e32 v1, 0x4f7ffffe, v1
	v_cvt_u32_f32_e32 v1, v1
	v_readfirstlane_b32 s11, v1
	s_mul_i32 s10, s10, s11
	s_mul_hi_u32 s10, s11, s10
	s_add_i32 s11, s11, s10
	s_mul_hi_u32 s10, s8, s11
	s_mul_i32 s11, s10, s9
	s_sub_i32 s11, s8, s11
	s_add_i32 s12, s10, 1
	s_sub_i32 s13, s11, s9
	s_cmp_ge_u32 s11, s9
	s_cselect_b32 s10, s12, s10
	s_cselect_b32 s11, s13, s11
	s_add_i32 s12, s10, 1
	s_cmp_ge_u32 s11, s9
	s_cselect_b32 s33, s12, s10
	s_abs_i32 s9, s29
	v_cvt_f32_u32_e32 v1, s9
	s_lshl_b32 s8, s8, 3
	s_mul_i32 s12, s33, s3
	s_xor_b32 s10, s3, s29
	v_rcp_iflag_f32_e32 v1, v1
	s_sub_i32 s13, 0, s9
	s_sub_i32 s29, s8, s12
	s_abs_i32 s11, s3
	v_mul_f32_e32 v1, 0x4f7ffffe, v1
	v_cvt_u32_f32_e32 v1, v1
	s_ashr_i32 s10, s10, 31
	v_readfirstlane_b32 s8, v1
	s_mul_i32 s13, s13, s8
	s_mul_hi_u32 s12, s8, s13
	s_add_i32 s8, s8, s12
	s_mul_hi_u32 s8, s11, s8
	s_mul_i32 s12, s8, s9
	s_sub_i32 s11, s11, s12
	s_add_i32 s13, s8, 1
	s_sub_i32 s12, s11, s9
	s_cmp_ge_u32 s11, s9
	s_cselect_b32 s8, s13, s8
	s_cselect_b32 s11, s12, s11
	s_add_i32 s12, s8, 1
	s_cmp_ge_u32 s11, s9
	s_cselect_b32 s8, s12, s8
	s_xor_b32 s8, s8, s10
	s_sub_i32 s37, s8, s10
	s_abs_i32 s36, s37
	v_cvt_f32_u32_e32 v1, s36
	s_load_dwordx16 s[8:23], s[4:5], 0x0
	v_rcp_iflag_f32_e32 v1, v1
	s_waitcnt lgkmcnt(0)
	s_cmp_eq_u64 s[14:15], 0
	v_mul_f32_e32 v1, 0x4f7ffffe, v1
	v_cvt_u32_f32_e32 v1, v1
	v_readfirstlane_b32 s38, v1
	s_cbranch_scc1 .LBB73_2
; %bb.1:
	s_abs_i32 s26, s34
	v_cvt_f32_u32_e32 v1, s26
	s_sub_i32 s31, 0, s26
	s_abs_i32 s30, s33
	s_ashr_i32 s27, s33, 31
	v_rcp_iflag_f32_e32 v1, v1
	s_load_dwordx2 s[24:25], s[4:5], 0xc8
	v_mul_f32_e32 v1, 0x4f7ffffe, v1
	v_cvt_u32_f32_e32 v1, v1
	v_readfirstlane_b32 s34, v1
	s_mul_i32 s31, s31, s34
	s_mul_hi_u32 s31, s34, s31
	s_add_i32 s34, s34, s31
	s_mul_hi_u32 s31, s30, s34
	s_mul_i32 s31, s31, s26
	s_sub_i32 s30, s30, s31
	s_sub_i32 s31, s30, s26
	s_cmp_ge_u32 s30, s26
	s_cselect_b32 s30, s31, s30
	s_sub_i32 s31, s30, s26
	s_cmp_ge_u32 s30, s26
	s_cselect_b32 s26, s31, s30
	s_xor_b32 s26, s26, s27
	s_sub_i32 s26, s26, s27
	s_ashr_i32 s27, s26, 31
	s_waitcnt lgkmcnt(0)
	s_mul_i32 s25, s26, s25
	s_mul_hi_u32 s30, s26, s24
	s_add_i32 s25, s30, s25
	s_mul_i32 s27, s27, s24
	s_add_i32 s25, s25, s27
	s_mul_i32 s26, s26, s24
	s_add_u32 s30, s14, s26
	s_addc_u32 s31, s15, s25
.LBB73_2:
	s_load_dwordx4 s[24:27], s[4:5], 0x70
	v_bfe_u32 v8, v0, 10, 10
	v_lshrrev_b32_e32 v1, 2, v8
	v_lshl_add_u32 v1, s6, 1, v1
	v_mul_hi_u32 v2, s0, v1
	s_waitcnt lgkmcnt(0)
	s_mul_i32 s14, s33, s26
	s_ashr_i32 s26, s14, 31
	s_mul_i32 s15, s29, s25
	s_add_u32 s8, s8, s14
	v_add_u32_e32 v2, v1, v2
	s_addc_u32 s9, s9, s26
	s_ashr_i32 s14, s15, 31
	v_lshrrev_b32_e32 v2, s1, v2
	s_add_u32 s8, s8, s15
	v_mul_lo_u32 v2, v2, s2
	s_addc_u32 s9, s9, s14
	v_sub_u32_e32 v6, v1, v2
	s_ashr_i32 s15, s24, 31
	v_mov_b32_e32 v2, s24
	v_alignbit_b32 v2, s15, v2, 2
	v_mad_u64_u32 v[2:3], s[0:1], v2, v6, 0
	v_mov_b32_e32 v4, v3
	s_lshr_b32 s0, s15, 2
	v_mad_u64_u32 v[4:5], s[0:1], s0, v6, v[4:5]
	v_mov_b32_e32 v3, v4
	v_lshlrev_b64 v[2:3], 2, v[2:3]
	v_and_b32_e32 v0, 0x3ff, v0
	v_mov_b32_e32 v4, s9
	v_add_co_u32_e32 v2, vcc, s8, v2
	v_addc_co_u32_e32 v3, vcc, v4, v3, vcc
	v_lshlrev_b32_e32 v4, 4, v0
	v_lshlrev_b32_e32 v9, 1, v8
	s_ashr_i32 s14, s25, 31
	v_add_co_u32_e32 v7, vcc, v2, v4
	v_mov_b32_e32 v2, s25
	v_and_b32_e32 v25, 6, v9
	v_alignbit_b32 v10, s14, v2, 2
	v_addc_co_u32_e32 v14, vcc, 0, v3, vcc
	v_mad_u64_u32 v[2:3], s[0:1], v10, v25, 0
	v_or_b32_e32 v15, 1, v9
	v_mov_b32_e32 v4, v3
	s_lshr_b32 s8, s14, 2
	v_and_b32_e32 v13, 7, v15
	v_mad_u64_u32 v[4:5], s[0:1], s8, v25, v[4:5]
	v_mad_u64_u32 v[10:11], s[0:1], v10, v13, 0
	v_mov_b32_e32 v3, v4
	v_mov_b32_e32 v12, v11
	v_lshlrev_b64 v[2:3], 2, v[2:3]
	v_mad_u64_u32 v[12:13], s[0:1], s8, v13, v[12:13]
	v_add_co_u32_e32 v2, vcc, v7, v2
	v_mov_b32_e32 v11, v12
	v_addc_co_u32_e32 v3, vcc, v14, v3, vcc
	v_lshlrev_b64 v[10:11], 2, v[10:11]
	v_add_co_u32_e32 v10, vcc, v7, v10
	global_load_dwordx4 v[2:5], v[2:3], off
	v_addc_co_u32_e32 v11, vcc, v14, v11, vcc
	global_load_dwordx4 v[10:13], v[10:11], off
	s_load_dword s0, s[4:5], 0x40
	v_lshlrev_b32_e32 v7, 1, v0
	v_lshlrev_b32_e32 v14, 7, v8
	;; [unrolled: 1-line block ×3, first 2 shown]
	v_add_lshl_u32 v14, v14, v7, 2
	v_add_lshl_u32 v7, v15, v7, 2
	s_cmp_eq_u64 s[18:19], 0
	s_waitcnt vmcnt(1) lgkmcnt(0)
	v_pk_mul_f32 v[2:3], v[2:3], s[0:1] op_sel_hi:[1,0]
	v_pk_mul_f32 v[4:5], v[4:5], s[0:1] op_sel_hi:[1,0]
	v_cvt_f16_f32_e32 v15, v3
	s_waitcnt vmcnt(0)
	v_pk_mul_f32 v[10:11], v[10:11], s[0:1] op_sel_hi:[1,0]
	v_pk_mul_f32 v[12:13], v[12:13], s[0:1] op_sel_hi:[1,0]
	v_cvt_f16_f32_e32 v2, v2
	v_cvt_f16_f32_e32 v3, v5
	;; [unrolled: 1-line block ×7, first 2 shown]
	v_pack_b32_f16 v3, v4, v3
	v_pack_b32_f16 v2, v2, v15
	;; [unrolled: 1-line block ×4, first 2 shown]
	ds_write_b64 v14, v[2:3] offset:17408
	ds_write_b64 v7, v[4:5] offset:17408
	s_waitcnt lgkmcnt(0)
	s_barrier
	s_cbranch_scc1 .LBB73_4
; %bb.3:
	s_load_dword s0, s[4:5], 0xd0
	s_mov_b32 s1, 0
	s_waitcnt lgkmcnt(0)
	s_mul_i32 s0, s0, s33
	s_add_i32 s0, s0, s6
	s_lshl_b64 s[0:1], s[0:1], 2
	s_add_u32 s0, s18, s0
	s_addc_u32 s1, s19, s1
	s_load_dword s28, s[0:1], 0x0
.LBB73_4:
	s_lshl_b32 s6, s7, 6
	s_waitcnt lgkmcnt(0)
	s_cmp_lt_i32 s6, s28
	v_mbcnt_lo_u32_b32 v16, -1, 0
	s_cbranch_scc1 .LBB73_6
; %bb.5:
	v_mbcnt_hi_u32_b32 v7, -1, v16
	v_and_b32_e32 v2, 0x60, v7
	s_mov_b32 s0, 0xfeffffff
	s_mov_b32 s14, 0
	v_add_u32_e32 v51, 32, v2
	v_xor_b32_e32 v56, 16, v7
	v_xor_b32_e32 v52, 8, v7
	;; [unrolled: 1-line block ×5, first 2 shown]
	s_mov_b32 s1, s0
	s_mov_b64 s[8:9], 0
	s_branch .LBB73_7
.LBB73_6:
	s_mov_b64 s[8:9], -1
                                        ; implicit-def: $sgpr14
                                        ; implicit-def: $sgpr0_sgpr1
                                        ; implicit-def: $vgpr7
                                        ; implicit-def: $vgpr51
                                        ; implicit-def: $vgpr56
                                        ; implicit-def: $vgpr52
                                        ; implicit-def: $vgpr53
                                        ; implicit-def: $vgpr54
                                        ; implicit-def: $vgpr55
.LBB73_7:
	v_lshlrev_b32_e32 v28, 2, v0
	s_andn2_b64 vcc, exec, s[8:9]
	v_mov_b32_e32 v5, s14
	v_mov_b32_e32 v47, s14
	v_pk_mov_b32 v[2:3], s[0:1], s[0:1] op_sel:[0,1]
	v_mov_b32_e32 v48, s14
	v_mov_b32_e32 v4, s14
	;; [unrolled: 1-line block ×4, first 2 shown]
	s_cbranch_vccnz .LBB73_26
; %bb.8:
	s_sub_i32 s0, 0, s36
	s_mul_i32 s0, s0, s38
	s_mul_hi_u32 s0, s38, s0
	s_add_i32 s38, s38, s0
	s_load_dwordx4 s[24:27], s[4:5], 0x98
	s_load_dword s0, s[4:5], 0x54
	s_load_dwordx2 s[8:9], s[4:5], 0x8c
	s_abs_i32 s1, s29
	s_mul_hi_u32 s18, s1, s38
	s_waitcnt lgkmcnt(0)
	s_ashr_i32 s14, s26, 2
	s_ashr_i32 s26, s35, 1
	;; [unrolled: 1-line block ×4, first 2 shown]
	s_mul_i32 s25, s33, s25
	s_mul_hi_u32 s35, s33, s24
	s_add_i32 s25, s35, s25
	s_mul_i32 s35, s8, s24
	s_ashr_i32 s19, s29, 31
	s_ashr_i32 s34, s37, 31
	s_add_i32 s25, s25, s35
	s_mul_i32 s24, s33, s24
	s_add_u32 s10, s10, s24
	s_mul_i32 s24, s18, s36
	s_addc_u32 s11, s11, s25
	s_sub_i32 s1, s1, s24
	s_xor_b32 s19, s19, s34
	s_add_i32 s24, s18, 1
	s_sub_i32 s25, s1, s36
	s_cmp_ge_u32 s1, s36
	s_cselect_b32 s18, s24, s18
	s_cselect_b32 s1, s25, s1
	s_add_i32 s24, s18, 1
	s_cmp_ge_u32 s1, s36
	s_load_dwordx2 s[38:39], s[4:5], 0xa8
	s_cselect_b32 s1, s24, s18
	s_xor_b32 s1, s1, s19
	s_sub_i32 s1, s1, s19
	s_mul_i32 s9, s1, s9
	s_ashr_i32 s19, s9, 31
	s_add_u32 s18, s10, s9
	s_waitcnt lgkmcnt(0)
	s_mul_i32 s9, s33, s39
	s_mul_hi_u32 s10, s33, s38
	s_addc_u32 s19, s11, s19
	s_add_i32 s9, s10, s9
	s_mul_i32 s8, s8, s38
	s_add_i32 s9, s9, s8
	s_mul_i32 s8, s33, s38
	s_add_u32 s8, s12, s8
	s_mul_i32 s1, s1, s27
	s_addc_u32 s9, s13, s9
	s_ashr_i32 s10, s1, 31
	v_lshrrev_b32_e32 v2, 4, v0
	v_and_b32_e32 v4, 60, v28
	s_add_u32 s12, s8, s1
	v_add_u32_e32 v2, v2, v9
	v_lshlrev_b32_e32 v3, 2, v4
	s_movk_i32 s1, 0x110
	s_addc_u32 s13, s9, s10
	v_mad_u32_u24 v29, v2, s1, v3
	v_mul_lo_u32 v10, s15, v2
	s_lshl_b32 s1, s15, 4
	v_add_u32_e32 v12, s1, v10
	v_add_u32_e32 v14, s1, v12
	;; [unrolled: 1-line block ×3, first 2 shown]
	v_mul_lo_u32 v20, s14, v2
	s_lshl_b32 s1, s14, 4
	v_add_u32_e32 v22, s1, v20
	v_add_u32_e32 v26, s1, v22
	v_mov_b32_e32 v5, 0x4400
	v_mad_u64_u32 v[6:7], s[8:9], v6, s26, v[0:1]
	v_add_u32_e32 v48, s1, v26
	v_mov_b32_e32 v46, 0
	v_ashrrev_i32_e32 v11, 31, v10
	v_ashrrev_i32_e32 v13, 31, v12
	v_ashrrev_i32_e32 v15, 31, v14
	v_ashrrev_i32_e32 v19, 31, v18
	v_lshl_add_u32 v34, v8, 9, v5
	v_mov_b32_e32 v5, 0x5400
	v_lshl_or_b32 v36, v2, 8, v3
	v_ashrrev_i32_e32 v21, 31, v20
	v_ashrrev_i32_e32 v23, 31, v22
	v_ashrrev_i32_e32 v27, 31, v26
	v_ashrrev_i32_e32 v49, 31, v48
	s_add_u32 s8, s4, 0xd0
	v_mov_b32_e32 v2, 0xfeffffff
	v_add_u32_e32 v30, 0x1100, v29
	v_add_u32_e32 v31, 0x2200, v29
	;; [unrolled: 1-line block ×3, first 2 shown]
	v_mul_u32_u24_e32 v33, 0x110, v0
	v_lshl_add_u32 v35, v8, 8, v5
	v_add_u32_e32 v37, 0x1000, v36
	v_add_u32_e32 v38, 0x2000, v36
	;; [unrolled: 1-line block ×3, first 2 shown]
	v_lshlrev_b32_e32 v40, 3, v0
	s_addc_u32 s9, s5, 0
	s_mov_b32 s1, s0
	v_lshlrev_b64 v[8:9], 2, v[10:11]
	v_lshlrev_b32_e32 v41, 2, v4
	v_lshlrev_b64 v[10:11], 2, v[12:13]
	v_lshlrev_b64 v[12:13], 2, v[14:15]
	;; [unrolled: 1-line block ×3, first 2 shown]
	s_mov_b32 s24, 0x3f200000
	s_mov_b32 s25, 0x3fb8aa3b
	;; [unrolled: 1-line block ×4, first 2 shown]
	v_mov_b32_e32 v42, 0xbd5c1c4e
	v_mov_b32_e32 v43, 0x3e088382
	;; [unrolled: 1-line block ×3, first 2 shown]
	s_brev_b32 s34, -2
	v_mbcnt_hi_u32_b32 v7, -1, v16
	v_lshlrev_b64 v[16:17], 2, v[20:21]
	v_lshlrev_b64 v[18:19], 2, v[22:23]
	;; [unrolled: 1-line block ×4, first 2 shown]
	v_mov_b32_e32 v45, 0x7f800000
	v_mov_b32_e32 v48, 0
	;; [unrolled: 1-line block ×7, first 2 shown]
	s_branch .LBB73_10
.LBB73_9:                               ;   in Loop: Header=BB73_10 Depth=1
	s_or_b64 exec, exec, s[10:11]
	v_cvt_f32_f16_e32 v68, v57
	v_cvt_f32_f16_e32 v69, v64
	v_bfi_b32 v67, s34, v67, v50
	v_bfi_b32 v66, s34, v66, v49
	v_mov_b32_e32 v76, v2
	v_pk_fma_f32 v[74:75], v[66:67], s[0:1], v[68:69]
	v_add_f32_e32 v49, 0x40051340, v74
	v_add_f32_e32 v50, 0x40051340, v75
	v_max3_f32 v49, v3, v49, v50
	ds_bpermute_b32 v50, v58, v49
	v_mov_b32_e32 v77, v3
	s_mul_hi_i32 s11, s6, s14
	s_mul_i32 s10, s6, s14
	s_lshl_b64 s[10:11], s[10:11], 2
	s_waitcnt lgkmcnt(0)
	v_max_f32_e32 v50, v50, v50
	v_max_f32_e32 v49, v49, v50
	ds_bpermute_b32 v50, v59, v49
	s_add_u32 s10, s12, s10
	s_addc_u32 s11, s13, s11
	s_waitcnt lgkmcnt(0)
	s_barrier
	v_max_f32_e32 v50, v50, v50
	v_max_f32_e32 v49, v49, v50
	ds_bpermute_b32 v50, v61, v49
	s_waitcnt lgkmcnt(0)
	v_max_f32_e32 v2, v50, v50
	v_max_f32_e32 v2, v49, v2
	ds_bpermute_b32 v3, v62, v2
	v_max_f32_e32 v49, v65, v65
	v_max_f32_e32 v50, v63, v63
	s_waitcnt lgkmcnt(0)
	v_max_f32_e32 v3, v3, v3
	v_max_f32_e32 v3, v2, v3
	ds_bpermute_b32 v57, v60, v3
	v_max_f32_e32 v2, v50, v49
	s_waitcnt lgkmcnt(0)
	v_max_f32_e32 v49, v57, v57
	v_max_f32_e32 v3, v3, v49
	v_pk_add_f32 v[26:27], v[26:27], v[2:3] op_sel_hi:[1,0] neg_lo:[0,1] neg_hi:[0,1]
	v_mul_f32_e32 v49, 0x3fb8aa3b, v27
	v_fma_f32 v57, v27, s25, -v49
	v_rndne_f32_e32 v58, v49
	v_fmac_f32_e32 v57, 0x32a5705f, v27
	v_sub_f32_e32 v49, v49, v58
	v_add_f32_e32 v49, v49, v57
	v_cvt_i32_f32_e32 v58, v58
	v_exp_f32_e32 v49, v49
	v_mul_f32_e32 v50, 0x3fb8aa3b, v26
	v_fma_f32 v59, v26, s25, -v50
	v_rndne_f32_e32 v60, v50
	v_fmac_f32_e32 v59, 0x32a5705f, v26
	v_sub_f32_e32 v50, v50, v60
	v_add_f32_e32 v50, v50, v59
	v_ldexp_f32 v49, v49, v58
	v_mov_b32_e32 v58, s11
	v_add_co_u32_e32 v59, vcc, s10, v16
	v_addc_co_u32_e32 v58, vcc, v58, v17, vcc
	v_add_co_u32_e32 v66, vcc, v59, v41
	v_addc_co_u32_e32 v67, vcc, 0, v58, vcc
	v_mov_b32_e32 v58, s11
	v_add_co_u32_e32 v59, vcc, s10, v18
	v_addc_co_u32_e32 v58, vcc, v58, v19, vcc
	v_add_co_u32_e32 v68, vcc, v59, v41
	v_addc_co_u32_e32 v69, vcc, 0, v58, vcc
	v_cvt_i32_f32_e32 v57, v60
	global_load_dwordx4 v[58:61], v[66:67], off
	global_load_dwordx4 v[62:65], v[68:69], off
	v_mov_b32_e32 v66, s11
	v_add_co_u32_e32 v67, vcc, s10, v20
	v_addc_co_u32_e32 v66, vcc, v66, v21, vcc
	v_add_co_u32_e32 v78, vcc, v67, v41
	v_addc_co_u32_e32 v79, vcc, 0, v66, vcc
	v_mov_b32_e32 v66, s11
	v_add_co_u32_e32 v67, vcc, s10, v22
	v_addc_co_u32_e32 v66, vcc, v66, v23, vcc
	v_add_co_u32_e32 v80, vcc, v67, v41
	v_addc_co_u32_e32 v81, vcc, 0, v66, vcc
	global_load_dwordx4 v[66:69], v[78:79], off
	global_load_dwordx4 v[70:73], v[80:81], off
	v_exp_f32_e32 v50, v50
	v_cmp_ngt_f32_e32 vcc, s26, v27
	v_cndmask_b32_e32 v49, 0, v49, vcc
	v_cmp_nlt_f32_e32 vcc, s27, v27
	v_cndmask_b32_e32 v78, v45, v49, vcc
	v_ldexp_f32 v27, v50, v57
	v_cmp_ngt_f32_e32 vcc, s26, v26
	v_mov_b32_e32 v50, v3
	v_cndmask_b32_e32 v27, 0, v27, vcc
	v_cmp_nlt_f32_e32 vcc, s27, v26
	v_pk_add_f32 v[74:75], v[74:75], v[50:51] op_sel_hi:[1,0] neg_lo:[0,1] neg_hi:[0,1]
	v_cndmask_b32_e32 v26, v45, v27, vcc
	v_mul_f32_e32 v27, 0x3fb8aa3b, v75
	v_fma_f32 v49, v75, s25, -v27
	v_rndne_f32_e32 v50, v27
	v_fmac_f32_e32 v49, 0x32a5705f, v75
	v_sub_f32_e32 v27, v27, v50
	v_add_f32_e32 v27, v27, v49
	v_exp_f32_e32 v27, v27
	v_cvt_i32_f32_e32 v49, v50
	v_cmp_ngt_f32_e32 vcc, s26, v75
	v_pk_add_f32 v[76:77], v[76:77], v[2:3] neg_lo:[0,1] neg_hi:[0,1]
	v_cvt_f16_f32_e32 v50, v26
	v_ldexp_f32 v27, v27, v49
	v_mul_f32_e32 v49, 0x3fb8aa3b, v74
	v_fma_f32 v79, v74, s25, -v49
	v_rndne_f32_e32 v80, v49
	v_fmac_f32_e32 v79, 0x32a5705f, v74
	v_sub_f32_e32 v49, v49, v80
	v_add_f32_e32 v49, v49, v79
	v_exp_f32_e32 v49, v49
	v_cvt_i32_f32_e32 v80, v80
	v_cndmask_b32_e32 v27, 0, v27, vcc
	v_cmp_nlt_f32_e32 vcc, s27, v75
	v_cndmask_b32_e32 v79, v45, v27, vcc
	v_ldexp_f32 v27, v49, v80
	v_mul_f32_e32 v49, 0x3fb8aa3b, v77
	v_fma_f32 v75, v77, s25, -v49
	v_rndne_f32_e32 v80, v49
	v_fmac_f32_e32 v75, 0x32a5705f, v77
	v_sub_f32_e32 v49, v49, v80
	v_add_f32_e32 v49, v49, v75
	v_exp_f32_e32 v49, v49
	v_cvt_i32_f32_e32 v80, v80
	v_cmp_ngt_f32_e32 vcc, s26, v74
	v_cndmask_b32_e32 v27, 0, v27, vcc
	v_cmp_nlt_f32_e32 vcc, s27, v74
	v_cndmask_b32_e32 v27, v45, v27, vcc
	v_pk_add_f32 v[74:75], v[26:27], v[78:79]
	v_ldexp_f32 v26, v49, v80
	v_mul_f32_e32 v49, 0x3fb8aa3b, v76
	v_cvt_f16_f32_e32 v57, v78
	v_fma_f32 v78, v76, s25, -v49
	v_rndne_f32_e32 v80, v49
	v_fmac_f32_e32 v78, 0x32a5705f, v76
	v_sub_f32_e32 v49, v49, v80
	v_add_f32_e32 v49, v49, v78
	v_exp_f32_e32 v49, v49
	v_cvt_i32_f32_e32 v78, v80
	v_cmp_ngt_f32_e32 vcc, s26, v77
	v_cndmask_b32_e32 v26, 0, v26, vcc
	v_cmp_nlt_f32_e32 vcc, s27, v77
	v_cndmask_b32_e32 v77, v45, v26, vcc
	v_ldexp_f32 v26, v49, v78
	v_cvt_f16_f32_e32 v27, v27
	v_cvt_f16_f32_e32 v49, v79
	v_cmp_ngt_f32_e32 vcc, s26, v76
	v_cndmask_b32_e32 v26, 0, v26, vcc
	v_cmp_nlt_f32_e32 vcc, s27, v76
	v_cndmask_b32_e32 v76, v45, v26, vcc
	v_pk_fma_f32 v[4:5], v[4:5], v[76:77], v[74:75]
	v_add_u32_e32 v74, v35, v28
	v_pack_b32_f16 v27, v50, v27
	v_pack_b32_f16 v49, v57, v49
	ds_write2_b32 v74, v27, v49 offset1:32
	s_waitcnt vmcnt(3)
	ds_write_b128 v36, v[58:61]
	s_waitcnt vmcnt(2)
	ds_write_b128 v37, v[62:65]
	;; [unrolled: 2-line block ×4, first 2 shown]
	s_waitcnt lgkmcnt(0)
	s_barrier
	ds_read2_b64 v[58:61], v40 offset1:32
	ds_read_b128 v[62:65], v35
	v_cvt_f16_f32_e32 v78, v77
	v_cvt_f16_f32_e32 v26, v76
	ds_read_b128 v[66:69], v35 offset:16
	ds_read_b128 v[70:73], v35 offset:32
	;; [unrolled: 1-line block ×3, first 2 shown]
	v_pk_mul_f16 v27, v78, v46 op_sel_hi:[0,1]
	s_waitcnt lgkmcnt(3)
	v_pk_mul_f16 v46, v58, v62 op_sel_hi:[1,0]
	v_pk_fma_f16 v50, v26, v48, v46 op_sel_hi:[0,1,1]
	v_pk_mul_f16 v46, v58, v62 op_sel:[0,1]
	v_pk_fma_f16 v57, v78, v47, v46 op_sel_hi:[0,1,1]
	v_pk_mul_f16 v46, v59, v62 op_sel_hi:[1,0]
	v_pk_fma_f16 v24, v26, v24, v46 op_sel_hi:[0,1,1]
	ds_read2_b64 v[46:49], v40 offset0:64 offset1:96
	v_pk_fma_f16 v26, v59, v62, v27 op_sel:[0,1,0]
	v_pk_fma_f16 v27, v60, v63, v50 op_sel_hi:[1,0,1]
	v_pk_fma_f16 v50, v60, v63, v57 op_sel:[0,1,0]
	v_pk_fma_f16 v24, v61, v63, v24 op_sel_hi:[1,0,1]
	v_pk_fma_f16 v26, v61, v63, v26 op_sel:[0,1,0]
	ds_read2_b64 v[58:61], v40 offset0:128 offset1:160
	s_waitcnt lgkmcnt(1)
	v_pk_fma_f16 v27, v46, v64, v27 op_sel_hi:[1,0,1]
	v_pk_fma_f16 v46, v46, v64, v50 op_sel:[0,1,0]
	v_pk_fma_f16 v24, v47, v64, v24 op_sel_hi:[1,0,1]
	v_pk_fma_f16 v26, v47, v64, v26 op_sel:[0,1,0]
	v_pk_fma_f16 v46, v48, v65, v46 op_sel:[0,1,0]
	v_pk_fma_f16 v27, v48, v65, v27 op_sel_hi:[1,0,1]
	v_pk_fma_f16 v24, v49, v65, v24 op_sel_hi:[1,0,1]
	v_pk_fma_f16 v26, v49, v65, v26 op_sel:[0,1,0]
	s_waitcnt lgkmcnt(0)
	v_pk_fma_f16 v50, v58, v66, v46 op_sel:[0,1,0]
	ds_read2_b64 v[46:49], v40 offset0:192 offset1:224
	v_pk_fma_f16 v27, v58, v66, v27 op_sel_hi:[1,0,1]
	v_pk_fma_f16 v27, v60, v67, v27 op_sel_hi:[1,0,1]
	v_pk_fma_f16 v50, v60, v67, v50 op_sel:[0,1,0]
	v_pk_fma_f16 v24, v59, v66, v24 op_sel_hi:[1,0,1]
	v_pk_fma_f16 v26, v59, v66, v26 op_sel:[0,1,0]
	s_waitcnt lgkmcnt(0)
	v_pk_fma_f16 v27, v46, v68, v27 op_sel_hi:[1,0,1]
	v_pk_fma_f16 v46, v46, v68, v50 op_sel:[0,1,0]
	v_add_u32_e32 v50, 0x800, v40
	v_pk_fma_f16 v24, v61, v67, v24 op_sel_hi:[1,0,1]
	v_pk_fma_f16 v26, v61, v67, v26 op_sel:[0,1,0]
	ds_read2_b64 v[58:61], v50 offset1:32
	v_pk_fma_f16 v24, v47, v68, v24 op_sel_hi:[1,0,1]
	v_pk_fma_f16 v26, v47, v68, v26 op_sel:[0,1,0]
	v_pk_fma_f16 v46, v48, v69, v46 op_sel:[0,1,0]
	v_pk_fma_f16 v27, v48, v69, v27 op_sel_hi:[1,0,1]
	v_pk_fma_f16 v24, v49, v69, v24 op_sel_hi:[1,0,1]
	v_pk_fma_f16 v26, v49, v69, v26 op_sel:[0,1,0]
	s_waitcnt lgkmcnt(0)
	v_pk_fma_f16 v57, v58, v70, v46 op_sel:[0,1,0]
	ds_read2_b64 v[46:49], v50 offset0:64 offset1:96
	v_pk_fma_f16 v27, v58, v70, v27 op_sel_hi:[1,0,1]
	v_pk_fma_f16 v24, v59, v70, v24 op_sel_hi:[1,0,1]
	v_pk_fma_f16 v26, v59, v70, v26 op_sel:[0,1,0]
	v_pk_fma_f16 v27, v60, v71, v27 op_sel_hi:[1,0,1]
	v_pk_fma_f16 v57, v60, v71, v57 op_sel:[0,1,0]
	;; [unrolled: 2-line block ×3, first 2 shown]
	ds_read2_b64 v[58:61], v50 offset0:128 offset1:160
	s_waitcnt lgkmcnt(1)
	v_pk_fma_f16 v27, v46, v72, v27 op_sel_hi:[1,0,1]
	v_pk_fma_f16 v46, v46, v72, v57 op_sel:[0,1,0]
	v_pk_fma_f16 v24, v47, v72, v24 op_sel_hi:[1,0,1]
	v_pk_fma_f16 v26, v47, v72, v26 op_sel:[0,1,0]
	v_pk_fma_f16 v46, v48, v73, v46 op_sel:[0,1,0]
	v_pk_fma_f16 v27, v48, v73, v27 op_sel_hi:[1,0,1]
	v_pk_fma_f16 v24, v49, v73, v24 op_sel_hi:[1,0,1]
	v_pk_fma_f16 v26, v49, v73, v26 op_sel:[0,1,0]
	s_waitcnt lgkmcnt(0)
	v_pk_fma_f16 v57, v58, v74, v46 op_sel:[0,1,0]
	ds_read2_b64 v[46:49], v50 offset0:192 offset1:224
	v_pk_fma_f16 v27, v58, v74, v27 op_sel_hi:[1,0,1]
	v_pk_fma_f16 v27, v60, v75, v27 op_sel_hi:[1,0,1]
	v_pk_fma_f16 v50, v60, v75, v57 op_sel:[0,1,0]
	v_pk_fma_f16 v24, v59, v74, v24 op_sel_hi:[1,0,1]
	v_pk_fma_f16 v26, v59, v74, v26 op_sel:[0,1,0]
	s_waitcnt lgkmcnt(0)
	v_pk_fma_f16 v27, v46, v76, v27 op_sel_hi:[1,0,1]
	v_pk_fma_f16 v46, v46, v76, v50 op_sel:[0,1,0]
	v_add_u32_e32 v50, 0x1000, v40
	v_pk_fma_f16 v24, v61, v75, v24 op_sel_hi:[1,0,1]
	v_pk_fma_f16 v26, v61, v75, v26 op_sel:[0,1,0]
	ds_read2_b64 v[58:61], v50 offset1:32
	ds_read_b128 v[62:65], v35 offset:64
	ds_read2_b64 v[66:69], v50 offset0:64 offset1:96
	v_pk_fma_f16 v24, v47, v76, v24 op_sel_hi:[1,0,1]
	v_pk_fma_f16 v26, v47, v76, v26 op_sel:[0,1,0]
	v_pk_fma_f16 v27, v48, v77, v27 op_sel_hi:[1,0,1]
	v_pk_fma_f16 v57, v48, v77, v46 op_sel:[0,1,0]
	;; [unrolled: 2-line block ×3, first 2 shown]
	s_waitcnt lgkmcnt(1)
	v_pk_fma_f16 v27, v58, v62, v27 op_sel_hi:[1,0,1]
	v_pk_fma_f16 v57, v58, v62, v57 op_sel:[0,1,0]
	v_pk_fma_f16 v24, v59, v62, v24 op_sel_hi:[1,0,1]
	v_pk_fma_f16 v26, v59, v62, v26 op_sel:[0,1,0]
	ds_read_b128 v[46:49], v35 offset:80
	v_pk_fma_f16 v27, v60, v63, v27 op_sel_hi:[1,0,1]
	v_pk_fma_f16 v57, v60, v63, v57 op_sel:[0,1,0]
	v_pk_fma_f16 v24, v61, v63, v24 op_sel_hi:[1,0,1]
	v_pk_fma_f16 v26, v61, v63, v26 op_sel:[0,1,0]
	ds_read2_b64 v[58:61], v50 offset0:128 offset1:160
	s_waitcnt lgkmcnt(2)
	v_pk_fma_f16 v27, v66, v64, v27 op_sel_hi:[1,0,1]
	v_pk_fma_f16 v57, v66, v64, v57 op_sel:[0,1,0]
	v_pk_fma_f16 v24, v67, v64, v24 op_sel_hi:[1,0,1]
	v_pk_fma_f16 v26, v67, v64, v26 op_sel:[0,1,0]
	v_pk_fma_f16 v27, v68, v65, v27 op_sel_hi:[1,0,1]
	v_pk_fma_f16 v57, v68, v65, v57 op_sel:[0,1,0]
	v_pk_fma_f16 v24, v69, v65, v24 op_sel_hi:[1,0,1]
	v_pk_fma_f16 v26, v69, v65, v26 op_sel:[0,1,0]
	ds_read2_b64 v[62:65], v50 offset0:192 offset1:224
	s_waitcnt lgkmcnt(1)
	v_pk_fma_f16 v27, v58, v46, v27 op_sel_hi:[1,0,1]
	v_pk_fma_f16 v57, v58, v46, v57 op_sel:[0,1,0]
	v_pk_fma_f16 v24, v59, v46, v24 op_sel_hi:[1,0,1]
	v_pk_fma_f16 v26, v59, v46, v26 op_sel:[0,1,0]
	v_add_u32_e32 v50, 0x1800, v40
	v_pk_fma_f16 v27, v60, v47, v27 op_sel_hi:[1,0,1]
	v_pk_fma_f16 v46, v60, v47, v57 op_sel:[0,1,0]
	v_pk_fma_f16 v24, v61, v47, v24 op_sel_hi:[1,0,1]
	v_pk_fma_f16 v26, v61, v47, v26 op_sel:[0,1,0]
	ds_read2_b64 v[58:61], v50 offset1:32
	ds_read_b128 v[66:69], v35 offset:96
	s_waitcnt lgkmcnt(2)
	v_pk_fma_f16 v27, v62, v48, v27 op_sel_hi:[1,0,1]
	v_pk_fma_f16 v46, v62, v48, v46 op_sel:[0,1,0]
	v_pk_fma_f16 v24, v63, v48, v24 op_sel_hi:[1,0,1]
	v_pk_fma_f16 v26, v63, v48, v26 op_sel:[0,1,0]
	v_pk_fma_f16 v27, v64, v49, v27 op_sel_hi:[1,0,1]
	v_pk_fma_f16 v57, v64, v49, v46 op_sel:[0,1,0]
	v_pk_fma_f16 v24, v65, v49, v24 op_sel_hi:[1,0,1]
	v_pk_fma_f16 v26, v65, v49, v26 op_sel:[0,1,0]
	ds_read2_b64 v[62:65], v50 offset0:64 offset1:96
	s_waitcnt lgkmcnt(1)
	v_pk_fma_f16 v27, v58, v66, v27 op_sel_hi:[1,0,1]
	v_pk_fma_f16 v57, v58, v66, v57 op_sel:[0,1,0]
	v_pk_fma_f16 v24, v59, v66, v24 op_sel_hi:[1,0,1]
	v_pk_fma_f16 v26, v59, v66, v26 op_sel:[0,1,0]
	ds_read_b128 v[46:49], v35 offset:112
	v_pk_fma_f16 v27, v60, v67, v27 op_sel_hi:[1,0,1]
	v_pk_fma_f16 v57, v60, v67, v57 op_sel:[0,1,0]
	v_pk_fma_f16 v24, v61, v67, v24 op_sel_hi:[1,0,1]
	v_pk_fma_f16 v26, v61, v67, v26 op_sel:[0,1,0]
	ds_read2_b64 v[58:61], v50 offset0:128 offset1:160
	s_waitcnt lgkmcnt(2)
	v_pk_fma_f16 v27, v62, v68, v27 op_sel_hi:[1,0,1]
	v_pk_fma_f16 v57, v62, v68, v57 op_sel:[0,1,0]
	v_pk_fma_f16 v24, v63, v68, v24 op_sel_hi:[1,0,1]
	v_pk_fma_f16 v26, v63, v68, v26 op_sel:[0,1,0]
	v_pk_fma_f16 v27, v64, v69, v27 op_sel_hi:[1,0,1]
	v_pk_fma_f16 v57, v64, v69, v57 op_sel:[0,1,0]
	v_pk_fma_f16 v24, v65, v69, v24 op_sel_hi:[1,0,1]
	v_pk_fma_f16 v26, v65, v69, v26 op_sel:[0,1,0]
	ds_read2_b64 v[62:65], v50 offset0:192 offset1:224
	s_waitcnt lgkmcnt(1)
	v_pk_fma_f16 v27, v58, v46, v27 op_sel_hi:[1,0,1]
	v_pk_fma_f16 v57, v58, v46, v57 op_sel:[0,1,0]
	v_pk_fma_f16 v24, v59, v46, v24 op_sel_hi:[1,0,1]
	v_pk_fma_f16 v26, v59, v46, v26 op_sel:[0,1,0]
	v_add_u32_e32 v50, 0x2000, v40
	v_pk_fma_f16 v27, v60, v47, v27 op_sel_hi:[1,0,1]
	v_pk_fma_f16 v46, v60, v47, v57 op_sel:[0,1,0]
	v_pk_fma_f16 v24, v61, v47, v24 op_sel_hi:[1,0,1]
	v_pk_fma_f16 v26, v61, v47, v26 op_sel:[0,1,0]
	ds_read2_b64 v[58:61], v50 offset1:32
	ds_read_b128 v[66:69], v35 offset:128
	s_waitcnt lgkmcnt(2)
	v_pk_fma_f16 v27, v62, v48, v27 op_sel_hi:[1,0,1]
	v_pk_fma_f16 v46, v62, v48, v46 op_sel:[0,1,0]
	v_pk_fma_f16 v24, v63, v48, v24 op_sel_hi:[1,0,1]
	v_pk_fma_f16 v26, v63, v48, v26 op_sel:[0,1,0]
	v_pk_fma_f16 v27, v64, v49, v27 op_sel_hi:[1,0,1]
	v_pk_fma_f16 v57, v64, v49, v46 op_sel:[0,1,0]
	v_pk_fma_f16 v24, v65, v49, v24 op_sel_hi:[1,0,1]
	v_pk_fma_f16 v26, v65, v49, v26 op_sel:[0,1,0]
	ds_read2_b64 v[62:65], v50 offset0:64 offset1:96
	;; [unrolled: 43-line block ×5, first 2 shown]
	s_waitcnt lgkmcnt(1)
	v_pk_fma_f16 v27, v58, v66, v27 op_sel_hi:[1,0,1]
	v_pk_fma_f16 v57, v58, v66, v57 op_sel:[0,1,0]
	v_pk_fma_f16 v24, v59, v66, v24 op_sel_hi:[1,0,1]
	v_pk_fma_f16 v26, v59, v66, v26 op_sel:[0,1,0]
	;; [unrolled: 2-line block ×4, first 2 shown]
	ds_read_b128 v[46:49], v35 offset:240
	s_waitcnt lgkmcnt(1)
	v_pk_fma_f16 v27, v62, v68, v27 op_sel_hi:[1,0,1]
	v_pk_fma_f16 v57, v62, v68, v57 op_sel:[0,1,0]
	v_pk_fma_f16 v24, v63, v68, v24 op_sel_hi:[1,0,1]
	v_pk_fma_f16 v26, v63, v68, v26 op_sel:[0,1,0]
	ds_read2_b64 v[58:61], v50 offset0:128 offset1:160
	v_pk_fma_f16 v27, v64, v69, v27 op_sel_hi:[1,0,1]
	v_pk_fma_f16 v57, v64, v69, v57 op_sel:[0,1,0]
	v_pk_fma_f16 v24, v65, v69, v24 op_sel_hi:[1,0,1]
	v_pk_fma_f16 v26, v65, v69, v26 op_sel:[0,1,0]
	ds_read2_b64 v[62:65], v50 offset0:192 offset1:224
	s_waitcnt lgkmcnt(0)
	s_barrier
	s_load_dword s10, s[8:9], 0x4
	v_pk_fma_f16 v27, v58, v46, v27 op_sel_hi:[1,0,1]
	v_pk_fma_f16 v57, v58, v46, v57 op_sel:[0,1,0]
	v_pk_fma_f16 v24, v59, v46, v24 op_sel_hi:[1,0,1]
	v_pk_fma_f16 v26, v59, v46, v26 op_sel:[0,1,0]
	;; [unrolled: 2-line block ×4, first 2 shown]
	s_waitcnt lgkmcnt(0)
	s_lshl_b32 s10, s10, 6
	v_pk_fma_f16 v27, v62, v48, v27 op_sel_hi:[1,0,1]
	v_pk_fma_f16 v46, v62, v48, v46 op_sel:[0,1,0]
	v_pk_fma_f16 v24, v63, v48, v24 op_sel_hi:[1,0,1]
	v_pk_fma_f16 v26, v63, v48, v26 op_sel:[0,1,0]
	s_add_i32 s6, s10, s6
	v_pk_fma_f16 v48, v64, v49, v27 op_sel_hi:[1,0,1]
	v_pk_fma_f16 v47, v64, v49, v46 op_sel:[0,1,0]
	v_pk_fma_f16 v24, v65, v49, v24 op_sel_hi:[1,0,1]
	s_cmp_ge_i32 s6, s28
	v_pk_fma_f16 v46, v65, v49, v26 op_sel:[0,1,0]
	s_cbranch_scc1 .LBB73_26
.LBB73_10:                              ; =>This Inner Loop Header: Depth=1
	s_mul_hi_i32 s11, s6, s15
	s_mul_i32 s10, s6, s15
	s_lshl_b64 s[10:11], s[10:11], 2
	s_add_u32 s10, s18, s10
	s_addc_u32 s11, s19, s11
	v_mov_b32_e32 v26, s11
	v_add_co_u32_e32 v27, vcc, s10, v8
	v_addc_co_u32_e32 v49, vcc, v26, v9, vcc
	v_add_co_u32_e32 v26, vcc, v27, v41
	v_addc_co_u32_e32 v27, vcc, 0, v49, vcc
	v_mov_b32_e32 v49, s11
	v_add_co_u32_e32 v50, vcc, s10, v10
	v_addc_co_u32_e32 v49, vcc, v49, v11, vcc
	v_add_co_u32_e32 v50, vcc, v50, v41
	v_addc_co_u32_e32 v51, vcc, 0, v49, vcc
	global_load_dwordx4 v[52:55], v[26:27], off
	global_load_dwordx4 v[56:59], v[50:51], off
	v_mov_b32_e32 v26, s11
	v_add_co_u32_e32 v27, vcc, s10, v12
	v_addc_co_u32_e32 v49, vcc, v26, v13, vcc
	v_add_co_u32_e32 v26, vcc, v27, v41
	v_addc_co_u32_e32 v27, vcc, 0, v49, vcc
	v_mov_b32_e32 v49, s11
	v_add_co_u32_e32 v50, vcc, s10, v14
	v_addc_co_u32_e32 v49, vcc, v49, v15, vcc
	v_add_co_u32_e32 v50, vcc, v50, v41
	v_addc_co_u32_e32 v51, vcc, 0, v49, vcc
	global_load_dwordx4 v[60:63], v[26:27], off
	global_load_dwordx4 v[64:67], v[50:51], off
	v_mov_b32_e32 v51, 0
	v_mov_b32_e32 v49, 0
	;; [unrolled: 1-line block ×3, first 2 shown]
	s_waitcnt vmcnt(3)
	ds_write_b128 v29, v[52:55]
	s_waitcnt vmcnt(2)
	ds_write_b128 v30, v[56:59]
	s_waitcnt vmcnt(1)
	ds_write_b128 v31, v[60:63]
	s_waitcnt vmcnt(0)
	ds_write_b128 v32, v[64:67]
	s_waitcnt lgkmcnt(0)
	s_barrier
	ds_read_b128 v[54:57], v34
	ds_read_b128 v[58:61], v33
	ds_read_b128 v[62:65], v33 offset:8704
	ds_read_b128 v[66:69], v34 offset:256
	s_waitcnt lgkmcnt(2)
	;;#ASMSTART
	v_dot2_f32_f16 v51, v58, v54, v51
	;;#ASMEND
	;;#ASMSTART
	v_dot2_f32_f16 v51, v59, v55, v51
	;;#ASMEND
	;; [unrolled: 3-line block ×4, first 2 shown]
	s_waitcnt lgkmcnt(0)
	;;#ASMSTART
	v_dot2_f32_f16 v49, v58, v66, v49
	;;#ASMEND
	;;#ASMSTART
	v_dot2_f32_f16 v49, v59, v67, v49
	;;#ASMEND
	v_mov_b32_e32 v52, 0
	;;#ASMSTART
	v_dot2_f32_f16 v49, v60, v68, v49
	;;#ASMEND
	;;#ASMSTART
	v_dot2_f32_f16 v49, v61, v69, v49
	;;#ASMEND
	;;#ASMSTART
	v_dot2_f32_f16 v52, v62, v54, v52
	;;#ASMEND
	;;#ASMSTART
	v_dot2_f32_f16 v52, v63, v55, v52
	;;#ASMEND
	;;#ASMSTART
	v_dot2_f32_f16 v52, v64, v56, v52
	;;#ASMEND
	;;#ASMSTART
	v_dot2_f32_f16 v52, v65, v57, v52
	;;#ASMEND
	;;#ASMSTART
	v_dot2_f32_f16 v50, v62, v66, v50
	;;#ASMEND
	;;#ASMSTART
	v_dot2_f32_f16 v50, v63, v67, v50
	;;#ASMEND
	;;#ASMSTART
	v_dot2_f32_f16 v50, v64, v68, v50
	;;#ASMEND
	;;#ASMSTART
	v_dot2_f32_f16 v50, v65, v69, v50
	;;#ASMEND
	ds_read_b128 v[54:57], v34 offset:16
	ds_read_b128 v[58:61], v33 offset:16
	ds_read_b128 v[62:65], v33 offset:8720
	ds_read_b128 v[66:69], v34 offset:272
	s_waitcnt lgkmcnt(2)
	;;#ASMSTART
	v_dot2_f32_f16 v51, v58, v54, v51
	;;#ASMEND
	;;#ASMSTART
	v_dot2_f32_f16 v51, v59, v55, v51
	;;#ASMEND
	;;#ASMSTART
	v_dot2_f32_f16 v51, v60, v56, v51
	;;#ASMEND
	;;#ASMSTART
	v_dot2_f32_f16 v51, v61, v57, v51
	;;#ASMEND
	s_waitcnt lgkmcnt(0)
	;;#ASMSTART
	v_dot2_f32_f16 v49, v58, v66, v49
	;;#ASMEND
	;;#ASMSTART
	v_dot2_f32_f16 v49, v59, v67, v49
	;;#ASMEND
	;;#ASMSTART
	v_dot2_f32_f16 v49, v60, v68, v49
	;;#ASMEND
	;;#ASMSTART
	v_dot2_f32_f16 v49, v61, v69, v49
	;;#ASMEND
	;;#ASMSTART
	v_dot2_f32_f16 v52, v62, v54, v52
	;;#ASMEND
	;;#ASMSTART
	v_dot2_f32_f16 v52, v63, v55, v52
	;;#ASMEND
	;;#ASMSTART
	v_dot2_f32_f16 v52, v64, v56, v52
	;;#ASMEND
	;;#ASMSTART
	v_dot2_f32_f16 v52, v65, v57, v52
	;;#ASMEND
	;;#ASMSTART
	v_dot2_f32_f16 v50, v62, v66, v50
	;;#ASMEND
	;;#ASMSTART
	v_dot2_f32_f16 v50, v63, v67, v50
	;;#ASMEND
	;;#ASMSTART
	v_dot2_f32_f16 v50, v64, v68, v50
	;;#ASMEND
	;;#ASMSTART
	v_dot2_f32_f16 v50, v65, v69, v50
	;;#ASMEND
	ds_read_b128 v[54:57], v34 offset:32
	ds_read_b128 v[58:61], v33 offset:32
	ds_read_b128 v[62:65], v33 offset:8736
	ds_read_b128 v[66:69], v34 offset:288
	s_waitcnt lgkmcnt(2)
	;;#ASMSTART
	v_dot2_f32_f16 v51, v58, v54, v51
	;;#ASMEND
	;;#ASMSTART
	v_dot2_f32_f16 v51, v59, v55, v51
	;;#ASMEND
	;;#ASMSTART
	v_dot2_f32_f16 v51, v60, v56, v51
	;;#ASMEND
	;;#ASMSTART
	v_dot2_f32_f16 v51, v61, v57, v51
	;;#ASMEND
	s_waitcnt lgkmcnt(0)
	;;#ASMSTART
	v_dot2_f32_f16 v49, v58, v66, v49
	;;#ASMEND
	;;#ASMSTART
	v_dot2_f32_f16 v49, v59, v67, v49
	;;#ASMEND
	;; [unrolled: 54-line block ×15, first 2 shown]
	;;#ASMSTART
	v_dot2_f32_f16 v49, v60, v68, v49
	;;#ASMEND
	;;#ASMSTART
	v_dot2_f32_f16 v49, v61, v69, v49
	;;#ASMEND
	;; [unrolled: 3-line block ×9, first 2 shown]
	v_cmp_nlt_f32_e64 s[10:11], |v51|, s24
	;;#ASMSTART
	v_dot2_f32_f16 v50, v65, v69, v50
	;;#ASMEND
                                        ; implicit-def: $vgpr53
	s_and_saveexec_b64 s[36:37], s[10:11]
	s_xor_b64 s[10:11], exec, s[36:37]
	s_cbranch_execz .LBB73_12
; %bb.11:                               ;   in Loop: Header=BB73_10 Depth=1
	v_add_f32_e64 v26, |v51|, |v51|
	v_mul_f32_e32 v27, 0x3fb8aa3b, v26
	v_rndne_f32_e32 v53, v27
	v_sub_f32_e32 v54, v27, v53
	v_fma_f32 v27, v26, s25, -v27
	v_fmac_f32_e32 v27, 0x32a5705f, v26
	v_add_f32_e32 v27, v54, v27
	v_cvt_i32_f32_e32 v53, v53
	v_exp_f32_e32 v27, v27
	v_cmp_ngt_f32_e32 vcc, s26, v26
	v_ldexp_f32 v27, v27, v53
	v_cndmask_b32_e32 v27, 0, v27, vcc
	v_cmp_nlt_f32_e32 vcc, s27, v26
	v_cndmask_b32_e32 v26, v45, v27, vcc
	v_add_f32_e32 v26, 1.0, v26
	v_rcp_f32_e32 v26, v26
	v_fma_f32 v53, v26, -2.0, 1.0
.LBB73_12:                              ;   in Loop: Header=BB73_10 Depth=1
	s_andn2_saveexec_b64 s[10:11], s[10:11]
; %bb.13:                               ;   in Loop: Header=BB73_10 Depth=1
	v_mul_f32_e32 v26, v51, v51
	v_mov_b32_e32 v27, 0x3ca908c9
	v_fmac_f32_e32 v27, 0xbbbac73d, v26
	v_fma_f32 v27, v26, v27, v42
	v_fma_f32 v27, v26, v27, v43
	;; [unrolled: 1-line block ×3, first 2 shown]
	v_mul_f32_e64 v27, |v51|, v27
	v_fma_f32 v53, v26, v27, |v51|
; %bb.14:                               ;   in Loop: Header=BB73_10 Depth=1
	s_or_b64 exec, exec, s[10:11]
	v_add_u32_e32 v26, s6, v6
	v_ashrrev_i32_e32 v27, 31, v26
	v_lshlrev_b64 v[26:27], 1, v[26:27]
	v_mov_b32_e32 v54, s31
	v_add_co_u32_e32 v26, vcc, s30, v26
	v_addc_co_u32_e32 v27, vcc, v54, v27, vcc
	flat_load_ushort v57, v[26:27]
	v_cmp_nlt_f32_e64 s[10:11], |v52|, s24
                                        ; implicit-def: $vgpr54
	s_and_saveexec_b64 s[36:37], s[10:11]
	s_xor_b64 s[10:11], exec, s[36:37]
	s_cbranch_execz .LBB73_16
; %bb.15:                               ;   in Loop: Header=BB73_10 Depth=1
	v_add_f32_e64 v54, |v52|, |v52|
	v_mul_f32_e32 v55, 0x3fb8aa3b, v54
	v_rndne_f32_e32 v56, v55
	v_sub_f32_e32 v58, v55, v56
	v_fma_f32 v55, v54, s25, -v55
	v_fmac_f32_e32 v55, 0x32a5705f, v54
	v_add_f32_e32 v55, v58, v55
	v_cvt_i32_f32_e32 v56, v56
	v_exp_f32_e32 v55, v55
	v_cmp_ngt_f32_e32 vcc, s26, v54
	v_ldexp_f32 v55, v55, v56
	v_cndmask_b32_e32 v55, 0, v55, vcc
	v_cmp_nlt_f32_e32 vcc, s27, v54
	v_cndmask_b32_e32 v54, v45, v55, vcc
	v_add_f32_e32 v54, 1.0, v54
	v_rcp_f32_e32 v54, v54
	v_fma_f32 v54, v54, -2.0, 1.0
.LBB73_16:                              ;   in Loop: Header=BB73_10 Depth=1
	s_andn2_saveexec_b64 s[10:11], s[10:11]
; %bb.17:                               ;   in Loop: Header=BB73_10 Depth=1
	v_mul_f32_e32 v54, v52, v52
	v_mov_b32_e32 v55, 0x3ca908c9
	v_fmac_f32_e32 v55, 0xbbbac73d, v54
	v_fma_f32 v55, v54, v55, v42
	v_fma_f32 v55, v54, v55, v43
	;; [unrolled: 1-line block ×3, first 2 shown]
	v_mul_f32_e64 v55, |v52|, v55
	v_fma_f32 v54, v54, v55, |v52|
; %bb.18:                               ;   in Loop: Header=BB73_10 Depth=1
	s_or_b64 exec, exec, s[10:11]
	flat_load_ushort v64, v[26:27] offset:64
	v_and_b32_e32 v27, 0x60, v7
	v_bfi_b32 v26, s34, v53, v51
	v_add_u32_e32 v51, 32, v27
	v_xor_b32_e32 v56, 16, v7
	v_cmp_lt_i32_e32 vcc, v56, v51
	v_cndmask_b32_e32 v27, v7, v56, vcc
	v_lshlrev_b32_e32 v58, 2, v27
	v_bfi_b32 v27, s34, v54, v52
	s_waitcnt vmcnt(0) lgkmcnt(0)
	v_fma_mix_f32 v26, v26, s0, v57 op_sel_hi:[0,0,1]
	v_add_f32_e32 v53, 0x40051340, v26
	v_cmp_nlt_f32_e64 s[10:11], |v49|, s24
                                        ; implicit-def: $vgpr66
	v_fma_mix_f32 v27, v27, s0, v64 op_sel_hi:[0,0,1]
	v_add_f32_e32 v52, 0x40051340, v27
	v_max3_f32 v53, v2, v53, v52
	ds_bpermute_b32 v54, v58, v53
	v_xor_b32_e32 v52, 8, v7
	v_cmp_lt_i32_e32 vcc, v52, v51
	v_cndmask_b32_e32 v55, v7, v52, vcc
	v_lshlrev_b32_e32 v59, 2, v55
	s_waitcnt lgkmcnt(0)
	v_max_f32_e32 v54, v54, v54
	v_max_f32_e32 v54, v53, v54
	ds_bpermute_b32 v55, v59, v54
	v_xor_b32_e32 v53, 4, v7
	v_cmp_lt_i32_e32 vcc, v53, v51
	v_cndmask_b32_e32 v60, v7, v53, vcc
	v_lshlrev_b32_e32 v61, 2, v60
	s_waitcnt lgkmcnt(0)
	v_max_f32_e32 v55, v55, v55
	v_max_f32_e32 v55, v54, v55
	;; [unrolled: 8-line block ×4, first 2 shown]
	ds_bpermute_b32 v65, v60, v63
	s_and_saveexec_b64 s[36:37], s[10:11]
	s_xor_b64 s[10:11], exec, s[36:37]
	s_cbranch_execz .LBB73_20
; %bb.19:                               ;   in Loop: Header=BB73_10 Depth=1
	v_add_f32_e64 v66, |v49|, |v49|
	v_mul_f32_e32 v67, 0x3fb8aa3b, v66
	v_rndne_f32_e32 v68, v67
	v_sub_f32_e32 v69, v67, v68
	v_fma_f32 v67, v66, s25, -v67
	v_fmac_f32_e32 v67, 0x32a5705f, v66
	v_add_f32_e32 v67, v69, v67
	v_cvt_i32_f32_e32 v68, v68
	v_exp_f32_e32 v67, v67
	v_cmp_ngt_f32_e32 vcc, s26, v66
	v_ldexp_f32 v67, v67, v68
	v_cndmask_b32_e32 v67, 0, v67, vcc
	v_cmp_nlt_f32_e32 vcc, s27, v66
	v_cndmask_b32_e32 v66, v45, v67, vcc
	v_add_f32_e32 v66, 1.0, v66
	v_rcp_f32_e32 v66, v66
	v_fma_f32 v66, v66, -2.0, 1.0
.LBB73_20:                              ;   in Loop: Header=BB73_10 Depth=1
	s_andn2_saveexec_b64 s[10:11], s[10:11]
; %bb.21:                               ;   in Loop: Header=BB73_10 Depth=1
	v_mul_f32_e32 v66, v49, v49
	v_mov_b32_e32 v67, 0x3ca908c9
	v_fmac_f32_e32 v67, 0xbbbac73d, v66
	v_fma_f32 v67, v66, v67, v42
	v_fma_f32 v67, v66, v67, v43
	v_fma_f32 v67, v66, v67, v44
	v_mul_f32_e64 v67, |v49|, v67
	v_fma_f32 v66, v66, v67, |v49|
; %bb.22:                               ;   in Loop: Header=BB73_10 Depth=1
	s_or_b64 exec, exec, s[10:11]
	v_cmp_nlt_f32_e64 s[10:11], |v50|, s24
                                        ; implicit-def: $vgpr67
	s_and_saveexec_b64 s[36:37], s[10:11]
	s_xor_b64 s[10:11], exec, s[36:37]
	s_cbranch_execz .LBB73_24
; %bb.23:                               ;   in Loop: Header=BB73_10 Depth=1
	v_add_f32_e64 v67, |v50|, |v50|
	v_mul_f32_e32 v68, 0x3fb8aa3b, v67
	v_rndne_f32_e32 v69, v68
	v_sub_f32_e32 v70, v68, v69
	v_fma_f32 v68, v67, s25, -v68
	v_fmac_f32_e32 v68, 0x32a5705f, v67
	v_add_f32_e32 v68, v70, v68
	v_cvt_i32_f32_e32 v69, v69
	v_exp_f32_e32 v68, v68
	v_cmp_ngt_f32_e32 vcc, s26, v67
	v_ldexp_f32 v68, v68, v69
	v_cndmask_b32_e32 v68, 0, v68, vcc
	v_cmp_nlt_f32_e32 vcc, s27, v67
	v_cndmask_b32_e32 v67, v45, v68, vcc
	v_add_f32_e32 v67, 1.0, v67
	v_rcp_f32_e32 v67, v67
	v_fma_f32 v67, v67, -2.0, 1.0
.LBB73_24:                              ;   in Loop: Header=BB73_10 Depth=1
	s_andn2_saveexec_b64 s[10:11], s[10:11]
	s_cbranch_execz .LBB73_9
; %bb.25:                               ;   in Loop: Header=BB73_10 Depth=1
	v_mul_f32_e32 v67, v50, v50
	v_mov_b32_e32 v68, 0x3ca908c9
	v_fmac_f32_e32 v68, 0xbbbac73d, v67
	v_fma_f32 v68, v67, v68, v42
	v_fma_f32 v68, v67, v68, v43
	;; [unrolled: 1-line block ×3, first 2 shown]
	v_mul_f32_e64 v68, |v50|, v68
	v_fma_f32 v67, v67, v68, |v50|
	s_branch .LBB73_9
.LBB73_26:
	v_cmp_lt_i32_e32 vcc, v56, v51
	v_cndmask_b32_e32 v6, v7, v56, vcc
	v_lshlrev_b32_e32 v6, 2, v6
	ds_bpermute_b32 v8, v6, v4
	ds_bpermute_b32 v9, v6, v5
	v_cmp_lt_i32_e32 vcc, v52, v51
	v_cndmask_b32_e32 v6, v7, v52, vcc
	v_lshlrev_b32_e32 v6, 2, v6
	v_cmp_lt_i32_e32 vcc, v53, v51
	s_waitcnt lgkmcnt(0)
	v_pk_add_f32 v[4:5], v[4:5], v[8:9]
	ds_bpermute_b32 v8, v6, v4
	ds_bpermute_b32 v9, v6, v5
	v_cndmask_b32_e32 v6, v7, v53, vcc
	v_lshlrev_b32_e32 v6, 2, v6
	v_cmp_lt_i32_e32 vcc, v54, v51
	s_cmp_lg_u64 s[16:17], 0
	s_waitcnt lgkmcnt(0)
	v_pk_add_f32 v[4:5], v[4:5], v[8:9]
	ds_bpermute_b32 v8, v6, v4
	ds_bpermute_b32 v9, v6, v5
	v_cndmask_b32_e32 v6, v7, v54, vcc
	v_lshlrev_b32_e32 v6, 2, v6
	v_cmp_lt_i32_e32 vcc, v55, v51
	s_cselect_b64 s[0:1], -1, 0
	s_waitcnt lgkmcnt(0)
	v_pk_add_f32 v[4:5], v[4:5], v[8:9]
	ds_bpermute_b32 v8, v6, v4
	ds_bpermute_b32 v9, v6, v5
	v_cndmask_b32_e32 v6, v7, v55, vcc
	v_lshlrev_b32_e32 v7, 2, v6
	s_cmp_eq_u32 s7, 0
	s_cselect_b64 s[8:9], -1, 0
	s_waitcnt lgkmcnt(0)
	v_pk_add_f32 v[4:5], v[4:5], v[8:9]
	ds_bpermute_b32 v6, v7, v4
	ds_bpermute_b32 v7, v7, v5
	s_and_b64 s[0:1], s[8:9], s[0:1]
	s_and_b64 vcc, exec, s[0:1]
	s_waitcnt lgkmcnt(0)
	v_pk_add_f32 v[4:5], v[4:5], v[6:7]
	s_cbranch_vccz .LBB73_28
; %bb.27:
	v_add_u32_e32 v6, s29, v25
	v_ashrrev_i32_e32 v7, 31, v6
	v_lshlrev_b64 v[6:7], 2, v[6:7]
	v_mov_b32_e32 v8, s17
	v_add_co_u32_e32 v6, vcc, s16, v6
	v_addc_co_u32_e32 v7, vcc, v8, v7, vcc
	global_load_dwordx2 v[6:7], v[6:7], off
	v_max_f32_e32 v8, v3, v3
	v_max_f32_e32 v10, v2, v2
	s_mov_b32 s0, 0x3fb8aa3b
	s_mov_b32 s1, 0xc2ce8ed0
	s_mov_b32 s6, 0x42b17218
	v_mov_b32_e32 v11, 0x7f800000
	s_waitcnt vmcnt(0)
	v_max_f32_e32 v9, v7, v7
	v_max_f32_e32 v12, v6, v6
	;; [unrolled: 1-line block ×4, first 2 shown]
	v_pk_add_f32 v[2:3], v[2:3], v[8:9] neg_lo:[0,1] neg_hi:[0,1]
	v_mul_f32_e32 v10, 0x3fb8aa3b, v3
	v_pk_add_f32 v[6:7], v[6:7], v[8:9] neg_lo:[0,1] neg_hi:[0,1]
	v_mul_f32_e32 v12, 0x3fb8aa3b, v2
	v_fma_f32 v15, v3, s0, -v10
	v_rndne_f32_e32 v16, v10
	v_mul_f32_e32 v13, 0x3fb8aa3b, v7
	v_fma_f32 v17, v2, s0, -v12
	v_rndne_f32_e32 v18, v12
	v_fmac_f32_e32 v15, 0x32a5705f, v3
	v_sub_f32_e32 v10, v10, v16
	v_mul_f32_e32 v14, 0x3fb8aa3b, v6
	v_fma_f32 v19, v7, s0, -v13
	v_rndne_f32_e32 v20, v13
	v_fmac_f32_e32 v17, 0x32a5705f, v2
	v_sub_f32_e32 v12, v12, v18
	v_add_f32_e32 v10, v10, v15
	v_fma_f32 v21, v6, s0, -v14
	v_rndne_f32_e32 v22, v14
	v_cvt_i32_f32_e32 v16, v16
	v_fmac_f32_e32 v19, 0x32a5705f, v7
	v_sub_f32_e32 v13, v13, v20
	v_add_f32_e32 v12, v12, v17
	v_exp_f32_e32 v10, v10
	v_cvt_i32_f32_e32 v18, v18
	v_fmac_f32_e32 v21, 0x32a5705f, v6
	v_sub_f32_e32 v14, v14, v22
	v_add_f32_e32 v13, v13, v19
	v_exp_f32_e32 v12, v12
	v_cvt_i32_f32_e32 v20, v20
	v_add_f32_e32 v14, v14, v21
	v_exp_f32_e32 v13, v13
	v_cvt_i32_f32_e32 v22, v22
	v_exp_f32_e32 v14, v14
	v_ldexp_f32 v10, v10, v16
	v_cmp_ngt_f32_e32 vcc, s1, v3
	v_ldexp_f32 v12, v12, v18
	v_cndmask_b32_e32 v10, 0, v10, vcc
	v_cmp_ngt_f32_e32 vcc, s1, v2
	v_ldexp_f32 v13, v13, v20
	v_cndmask_b32_e32 v12, 0, v12, vcc
	;; [unrolled: 3-line block ×3, first 2 shown]
	v_cmp_ngt_f32_e32 vcc, s1, v6
	v_cndmask_b32_e32 v14, 0, v14, vcc
	v_cmp_nlt_f32_e32 vcc, s6, v3
	v_cndmask_b32_e32 v3, v11, v10, vcc
	v_cmp_nlt_f32_e32 vcc, s6, v2
	;; [unrolled: 2-line block ×4, first 2 shown]
	v_cvt_f16_f32_e32 v10, v2
	v_cndmask_b32_e32 v6, v11, v14, vcc
	v_cvt_f16_f32_e32 v11, v3
	v_pk_fma_f32 v[4:5], v[4:5], v[2:3], v[6:7]
	v_pk_mul_f16 v48, v10, v48 op_sel_hi:[0,1]
	v_pk_mul_f16 v24, v10, v24 op_sel_hi:[0,1]
	;; [unrolled: 1-line block ×4, first 2 shown]
	v_pk_mov_b32 v[2:3], v[8:9], v[8:9] op_sel:[0,1]
.LBB73_28:
	v_cmp_gt_i32_e32 vcc, s2, v1
	s_and_saveexec_b64 s[0:1], vcc
	s_cbranch_execz .LBB73_37
; %bb.29:
	s_load_dword s6, s[4:5], 0xd4
	v_mov_b32_e32 v6, 1.0
	s_waitcnt lgkmcnt(0)
	s_cmp_lg_u32 s6, 1
	s_cselect_b64 s[0:1], -1, 0
	s_cmp_eq_u32 s6, 1
	s_cselect_b64 s[4:5], -1, 0
	s_and_b64 vcc, exec, s[0:1]
	s_cbranch_vccnz .LBB73_31
; %bb.30:
	v_div_scale_f32 v6, s[8:9], v4, v4, 1.0
	v_rcp_f32_e32 v7, v6
	v_div_scale_f32 v8, vcc, 1.0, v4, 1.0
	v_fma_f32 v9, -v6, v7, 1.0
	v_fmac_f32_e32 v7, v9, v7
	v_mul_f32_e32 v9, v8, v7
	v_fma_f32 v10, -v6, v9, v8
	v_fmac_f32_e32 v9, v10, v7
	v_fma_f32 v6, -v6, v9, v8
	v_div_fmas_f32 v6, v6, v7, v9
	v_div_fixup_f32 v6, v6, v4, 1.0
.LBB73_31:
	s_mul_i32 s33, s33, s2
	v_add_u32_e32 v1, s33, v1
	v_mul_lo_u32 v1, v1, s3
	v_add3_u32 v1, s29, v25, v1
	v_cmp_eq_u32_e32 vcc, 0, v0
	v_mul_lo_u32 v0, s6, v1
	v_add_u32_e32 v0, s7, v0
	v_cvt_f32_f16_sdwa v11, v48 dst_sel:DWORD dst_unused:UNUSED_PAD src0_sel:WORD_1
	v_cvt_f32_f16_e32 v10, v48
	v_cvt_f32_f16_sdwa v13, v24 dst_sel:DWORD dst_unused:UNUSED_PAD src0_sel:WORD_1
	v_cvt_f32_f16_e32 v12, v24
	v_lshl_add_u32 v8, v0, 7, v28
	v_mov_b32_e32 v9, 0
	v_lshlrev_b64 v[8:9], 2, v[8:9]
	s_and_b64 s[0:1], vcc, s[0:1]
	v_mov_b32_e32 v1, s21
	v_add_co_u32_e32 v14, vcc, s20, v8
	v_addc_co_u32_e32 v15, vcc, v1, v9, vcc
	v_pk_mul_f32 v[8:9], v[6:7], v[10:11] op_sel_hi:[0,1]
	v_pk_mul_f32 v[10:11], v[6:7], v[12:13] op_sel_hi:[0,1]
	global_store_dwordx4 v[14:15], v[8:11], off
	s_and_saveexec_b64 s[2:3], s[0:1]
	s_cbranch_execz .LBB73_33
; %bb.32:
	v_ashrrev_i32_e32 v1, 31, v0
	v_lshlrev_b64 v[6:7], 3, v[0:1]
	v_mov_b32_e32 v1, s23
	v_add_co_u32_e32 v6, vcc, s22, v6
	v_addc_co_u32_e32 v7, vcc, v1, v7, vcc
	v_mov_b32_e32 v8, v2
	v_mov_b32_e32 v9, v4
	global_store_dwordx2 v[6:7], v[8:9], off
.LBB73_33:
	s_or_b64 exec, exec, s[2:3]
	s_andn2_b64 vcc, exec, s[4:5]
	v_mov_b32_e32 v2, 1.0
	s_cbranch_vccnz .LBB73_35
; %bb.34:
	v_div_scale_f32 v1, s[2:3], v5, v5, 1.0
	v_rcp_f32_e32 v2, v1
	v_div_scale_f32 v4, vcc, 1.0, v5, 1.0
	v_fma_f32 v6, -v1, v2, 1.0
	v_fmac_f32_e32 v2, v6, v2
	v_mul_f32_e32 v6, v4, v2
	v_fma_f32 v7, -v1, v6, v4
	v_fmac_f32_e32 v6, v7, v2
	v_fma_f32 v1, -v1, v6, v4
	v_div_fmas_f32 v1, v1, v2, v6
	v_div_fixup_f32 v2, v1, v5, 1.0
.LBB73_35:
	v_add_u32_e32 v0, s6, v0
	v_cvt_f32_f16_sdwa v9, v47 dst_sel:DWORD dst_unused:UNUSED_PAD src0_sel:WORD_1
	v_cvt_f32_f16_e32 v8, v47
	v_cvt_f32_f16_sdwa v11, v46 dst_sel:DWORD dst_unused:UNUSED_PAD src0_sel:WORD_1
	v_cvt_f32_f16_e32 v10, v46
	v_lshl_add_u32 v6, v0, 7, v28
	v_mov_b32_e32 v7, 0
	v_lshlrev_b64 v[6:7], 2, v[6:7]
	v_mov_b32_e32 v1, s21
	v_add_co_u32_e32 v12, vcc, s20, v6
	v_addc_co_u32_e32 v13, vcc, v1, v7, vcc
	v_pk_mul_f32 v[6:7], v[2:3], v[8:9] op_sel_hi:[0,1]
	v_pk_mul_f32 v[8:9], v[2:3], v[10:11] op_sel_hi:[0,1]
	global_store_dwordx4 v[12:13], v[6:9], off
	s_and_b64 exec, exec, s[0:1]
	s_cbranch_execz .LBB73_37
; %bb.36:
	v_ashrrev_i32_e32 v1, 31, v0
	v_lshlrev_b64 v[0:1], 3, v[0:1]
	v_mov_b32_e32 v2, s23
	v_add_co_u32_e32 v0, vcc, s22, v0
	v_addc_co_u32_e32 v1, vcc, v2, v1, vcc
	v_mov_b32_e32 v4, v3
	global_store_dwordx2 v[0:1], v[4:5], off
.LBB73_37:
	s_endpgm
	.section	.rodata,"a",@progbits
	.p2align	6, 0x0
	.amdhsa_kernel _ZL15flash_attn_tileILi128ELi128ELi2ELi8ELb1EEvPKcS1_S1_S1_S1_PKiPfP15HIP_vector_typeIfLj2EEffffjfiS5_IjLj3EEiiiiiiiiiiiliiliiiiil
		.amdhsa_group_segment_fixed_size 23552
		.amdhsa_private_segment_fixed_size 0
		.amdhsa_kernarg_size 464
		.amdhsa_user_sgpr_count 6
		.amdhsa_user_sgpr_private_segment_buffer 1
		.amdhsa_user_sgpr_dispatch_ptr 0
		.amdhsa_user_sgpr_queue_ptr 0
		.amdhsa_user_sgpr_kernarg_segment_ptr 1
		.amdhsa_user_sgpr_dispatch_id 0
		.amdhsa_user_sgpr_flat_scratch_init 0
		.amdhsa_user_sgpr_kernarg_preload_length 0
		.amdhsa_user_sgpr_kernarg_preload_offset 0
		.amdhsa_user_sgpr_private_segment_size 0
		.amdhsa_uses_dynamic_stack 0
		.amdhsa_system_sgpr_private_segment_wavefront_offset 0
		.amdhsa_system_sgpr_workgroup_id_x 1
		.amdhsa_system_sgpr_workgroup_id_y 1
		.amdhsa_system_sgpr_workgroup_id_z 1
		.amdhsa_system_sgpr_workgroup_info 0
		.amdhsa_system_vgpr_workitem_id 1
		.amdhsa_next_free_vgpr 82
		.amdhsa_next_free_sgpr 40
		.amdhsa_accum_offset 84
		.amdhsa_reserve_vcc 1
		.amdhsa_reserve_flat_scratch 0
		.amdhsa_float_round_mode_32 0
		.amdhsa_float_round_mode_16_64 0
		.amdhsa_float_denorm_mode_32 3
		.amdhsa_float_denorm_mode_16_64 3
		.amdhsa_dx10_clamp 1
		.amdhsa_ieee_mode 1
		.amdhsa_fp16_overflow 0
		.amdhsa_tg_split 0
		.amdhsa_exception_fp_ieee_invalid_op 0
		.amdhsa_exception_fp_denorm_src 0
		.amdhsa_exception_fp_ieee_div_zero 0
		.amdhsa_exception_fp_ieee_overflow 0
		.amdhsa_exception_fp_ieee_underflow 0
		.amdhsa_exception_fp_ieee_inexact 0
		.amdhsa_exception_int_div_zero 0
	.end_amdhsa_kernel
	.section	.text._ZL15flash_attn_tileILi128ELi128ELi2ELi8ELb1EEvPKcS1_S1_S1_S1_PKiPfP15HIP_vector_typeIfLj2EEffffjfiS5_IjLj3EEiiiiiiiiiiiliiliiiiil,"axG",@progbits,_ZL15flash_attn_tileILi128ELi128ELi2ELi8ELb1EEvPKcS1_S1_S1_S1_PKiPfP15HIP_vector_typeIfLj2EEffffjfiS5_IjLj3EEiiiiiiiiiiiliiliiiiil,comdat
.Lfunc_end73:
	.size	_ZL15flash_attn_tileILi128ELi128ELi2ELi8ELb1EEvPKcS1_S1_S1_S1_PKiPfP15HIP_vector_typeIfLj2EEffffjfiS5_IjLj3EEiiiiiiiiiiiliiliiiiil, .Lfunc_end73-_ZL15flash_attn_tileILi128ELi128ELi2ELi8ELb1EEvPKcS1_S1_S1_S1_PKiPfP15HIP_vector_typeIfLj2EEffffjfiS5_IjLj3EEiiiiiiiiiiiliiliiiiil
                                        ; -- End function
	.section	.AMDGPU.csdata,"",@progbits
; Kernel info:
; codeLenInByte = 10392
; NumSgprs: 44
; NumVgprs: 82
; NumAgprs: 0
; TotalNumVgprs: 82
; ScratchSize: 0
; MemoryBound: 0
; FloatMode: 240
; IeeeMode: 1
; LDSByteSize: 23552 bytes/workgroup (compile time only)
; SGPRBlocks: 5
; VGPRBlocks: 10
; NumSGPRsForWavesPerEU: 44
; NumVGPRsForWavesPerEU: 82
; AccumOffset: 84
; Occupancy: 2
; WaveLimiterHint : 1
; COMPUTE_PGM_RSRC2:SCRATCH_EN: 0
; COMPUTE_PGM_RSRC2:USER_SGPR: 6
; COMPUTE_PGM_RSRC2:TRAP_HANDLER: 0
; COMPUTE_PGM_RSRC2:TGID_X_EN: 1
; COMPUTE_PGM_RSRC2:TGID_Y_EN: 1
; COMPUTE_PGM_RSRC2:TGID_Z_EN: 1
; COMPUTE_PGM_RSRC2:TIDIG_COMP_CNT: 1
; COMPUTE_PGM_RSRC3_GFX90A:ACCUM_OFFSET: 20
; COMPUTE_PGM_RSRC3_GFX90A:TG_SPLIT: 0
	.section	.text._ZL15flash_attn_tileILi128ELi128ELi1ELi8ELb1EEvPKcS1_S1_S1_S1_PKiPfP15HIP_vector_typeIfLj2EEffffjfiS5_IjLj3EEiiiiiiiiiiiliiliiiiil,"axG",@progbits,_ZL15flash_attn_tileILi128ELi128ELi1ELi8ELb1EEvPKcS1_S1_S1_S1_PKiPfP15HIP_vector_typeIfLj2EEffffjfiS5_IjLj3EEiiiiiiiiiiiliiliiiiil,comdat
	.globl	_ZL15flash_attn_tileILi128ELi128ELi1ELi8ELb1EEvPKcS1_S1_S1_S1_PKiPfP15HIP_vector_typeIfLj2EEffffjfiS5_IjLj3EEiiiiiiiiiiiliiliiiiil ; -- Begin function _ZL15flash_attn_tileILi128ELi128ELi1ELi8ELb1EEvPKcS1_S1_S1_S1_PKiPfP15HIP_vector_typeIfLj2EEffffjfiS5_IjLj3EEiiiiiiiiiiiliiliiiiil
	.p2align	8
	.type	_ZL15flash_attn_tileILi128ELi128ELi1ELi8ELb1EEvPKcS1_S1_S1_S1_PKiPfP15HIP_vector_typeIfLj2EEffffjfiS5_IjLj3EEiiiiiiiiiiiliiliiiiil,@function
_ZL15flash_attn_tileILi128ELi128ELi1ELi8ELb1EEvPKcS1_S1_S1_S1_PKiPfP15HIP_vector_typeIfLj2EEffffjfiS5_IjLj3EEiiiiiiiiiiiliiliiiiil: ; @_ZL15flash_attn_tileILi128ELi128ELi1ELi8ELb1EEvPKcS1_S1_S1_S1_PKiPfP15HIP_vector_typeIfLj2EEffffjfiS5_IjLj3EEiiiiiiiiiiiliiliiiiil
; %bb.0:
	s_load_dwordx4 s[0:3], s[4:5], 0x5c
	s_load_dwordx2 s[28:29], s[4:5], 0x80
	s_load_dwordx2 s[34:35], s[4:5], 0xb8
	s_mov_b64 s[30:31], 0
	s_waitcnt lgkmcnt(0)
	s_ashr_i32 s9, s3, 31
	s_lshr_b32 s9, s9, 29
	s_add_i32 s9, s3, s9
	s_ashr_i32 s9, s9, 3
	v_cvt_f32_u32_e32 v1, s9
	s_sub_i32 s10, 0, s9
	v_rcp_iflag_f32_e32 v1, v1
	v_mul_f32_e32 v1, 0x4f7ffffe, v1
	v_cvt_u32_f32_e32 v1, v1
	v_readfirstlane_b32 s11, v1
	s_mul_i32 s10, s10, s11
	s_mul_hi_u32 s10, s11, s10
	s_add_i32 s11, s11, s10
	s_mul_hi_u32 s10, s8, s11
	s_mul_i32 s11, s10, s9
	s_sub_i32 s11, s8, s11
	s_add_i32 s12, s10, 1
	s_sub_i32 s13, s11, s9
	s_cmp_ge_u32 s11, s9
	s_cselect_b32 s10, s12, s10
	s_cselect_b32 s11, s13, s11
	s_add_i32 s12, s10, 1
	s_cmp_ge_u32 s11, s9
	s_cselect_b32 s33, s12, s10
	s_abs_i32 s9, s29
	v_cvt_f32_u32_e32 v1, s9
	s_lshl_b32 s8, s8, 3
	s_mul_i32 s12, s33, s3
	s_xor_b32 s10, s3, s29
	v_rcp_iflag_f32_e32 v1, v1
	s_sub_i32 s13, 0, s9
	s_sub_i32 s29, s8, s12
	s_abs_i32 s11, s3
	v_mul_f32_e32 v1, 0x4f7ffffe, v1
	v_cvt_u32_f32_e32 v1, v1
	s_ashr_i32 s10, s10, 31
	v_readfirstlane_b32 s8, v1
	s_mul_i32 s13, s13, s8
	s_mul_hi_u32 s12, s8, s13
	s_add_i32 s8, s8, s12
	s_mul_hi_u32 s8, s11, s8
	s_mul_i32 s12, s8, s9
	s_sub_i32 s11, s11, s12
	s_add_i32 s13, s8, 1
	s_sub_i32 s12, s11, s9
	s_cmp_ge_u32 s11, s9
	s_cselect_b32 s8, s13, s8
	s_cselect_b32 s11, s12, s11
	s_add_i32 s12, s8, 1
	s_cmp_ge_u32 s11, s9
	s_cselect_b32 s8, s12, s8
	s_xor_b32 s8, s8, s10
	s_sub_i32 s37, s8, s10
	s_abs_i32 s36, s37
	v_cvt_f32_u32_e32 v1, s36
	s_load_dwordx16 s[8:23], s[4:5], 0x0
	v_rcp_iflag_f32_e32 v1, v1
	s_waitcnt lgkmcnt(0)
	s_cmp_eq_u64 s[14:15], 0
	v_mul_f32_e32 v1, 0x4f7ffffe, v1
	v_cvt_u32_f32_e32 v1, v1
	v_readfirstlane_b32 s24, v1
	s_cbranch_scc1 .LBB74_2
; %bb.1:
	s_abs_i32 s25, s34
	v_cvt_f32_u32_e32 v1, s25
	s_sub_i32 s34, 0, s25
	s_abs_i32 s31, s33
	s_ashr_i32 s30, s33, 31
	v_rcp_iflag_f32_e32 v1, v1
	s_load_dwordx2 s[26:27], s[4:5], 0xc8
	v_mul_f32_e32 v1, 0x4f7ffffe, v1
	v_cvt_u32_f32_e32 v1, v1
	v_readfirstlane_b32 s38, v1
	s_mul_i32 s34, s34, s38
	s_mul_hi_u32 s34, s38, s34
	s_add_i32 s38, s38, s34
	s_mul_hi_u32 s34, s31, s38
	s_mul_i32 s34, s34, s25
	s_sub_i32 s31, s31, s34
	s_sub_i32 s34, s31, s25
	s_cmp_ge_u32 s31, s25
	s_cselect_b32 s31, s34, s31
	s_sub_i32 s34, s31, s25
	s_cmp_ge_u32 s31, s25
	s_cselect_b32 s25, s34, s31
	s_xor_b32 s25, s25, s30
	s_sub_i32 s25, s25, s30
	s_ashr_i32 s30, s25, 31
	s_waitcnt lgkmcnt(0)
	s_mul_i32 s27, s25, s27
	s_mul_hi_u32 s31, s25, s26
	s_add_i32 s27, s31, s27
	s_mul_i32 s30, s30, s26
	s_add_i32 s27, s27, s30
	s_mul_i32 s25, s25, s26
	s_add_u32 s30, s14, s25
	s_addc_u32 s31, s15, s27
.LBB74_2:
	s_load_dwordx4 s[40:43], s[4:5], 0x70
	v_bfe_u32 v4, v0, 10, 10
	v_and_b32_e32 v22, 7, v4
	v_lshrrev_b32_e32 v1, 3, v4
	v_add_u32_e32 v1, s6, v1
	s_waitcnt lgkmcnt(0)
	s_mul_i32 s14, s33, s42
	s_ashr_i32 s25, s14, 31
	s_mul_i32 s15, s29, s41
	s_add_u32 s8, s8, s14
	s_addc_u32 s9, s9, s25
	s_ashr_i32 s14, s15, 31
	s_add_u32 s15, s8, s15
	s_addc_u32 s14, s9, s14
	s_ashr_i32 s25, s41, 31
	v_mov_b32_e32 v2, s41
	v_alignbit_b32 v2, s25, v2, 2
	v_mad_u64_u32 v[6:7], s[8:9], v2, v22, 0
	v_mov_b32_e32 v2, v7
	s_lshr_b32 s8, s25, 2
	v_mad_u64_u32 v[2:3], s[8:9], s8, v22, v[2:3]
	v_mov_b32_e32 v7, v2
	v_mul_hi_u32 v2, s0, v1
	v_add_u32_e32 v2, v1, v2
	v_lshrrev_b32_e32 v2, s1, v2
	v_mul_lo_u32 v2, v2, s2
	s_ashr_i32 s8, s40, 31
	v_mov_b32_e32 v3, s40
	v_sub_u32_e32 v2, v1, v2
	v_alignbit_b32 v3, s8, v3, 2
	v_mad_u64_u32 v[8:9], s[0:1], v3, v2, 0
	v_mov_b32_e32 v10, v9
	s_lshr_b32 s0, s8, 2
	v_mad_u64_u32 v[10:11], s[0:1], s0, v2, v[10:11]
	v_lshlrev_b64 v[6:7], 2, v[6:7]
	v_mov_b32_e32 v9, v10
	v_mov_b32_e32 v3, s14
	v_add_co_u32_e32 v5, vcc, s15, v6
	v_addc_co_u32_e32 v3, vcc, v3, v7, vcc
	v_lshlrev_b64 v[6:7], 2, v[8:9]
	v_and_b32_e32 v0, 0x3ff, v0
	v_add_co_u32_e32 v5, vcc, v5, v6
	v_addc_co_u32_e32 v3, vcc, v3, v7, vcc
	v_lshlrev_b32_e32 v6, 4, v0
	v_add_co_u32_e32 v6, vcc, v5, v6
	v_addc_co_u32_e32 v7, vcc, 0, v3, vcc
	global_load_dwordx4 v[6:9], v[6:7], off
	s_load_dword s0, s[4:5], 0x40
	v_lshlrev_b32_e32 v3, 6, v4
	v_lshlrev_b32_e32 v5, 1, v0
	v_add_lshl_u32 v3, v3, v5, 2
	s_cmp_eq_u64 s[18:19], 0
	s_waitcnt vmcnt(0) lgkmcnt(0)
	v_pk_mul_f32 v[6:7], v[6:7], s[0:1] op_sel_hi:[1,0]
	v_pk_mul_f32 v[8:9], v[8:9], s[0:1] op_sel_hi:[1,0]
	v_cvt_f16_f32_e32 v10, v7
	v_cvt_f16_f32_e32 v7, v9
	;; [unrolled: 1-line block ×4, first 2 shown]
	v_pack_b32_f16 v7, v8, v7
	v_pack_b32_f16 v6, v6, v10
	ds_write_b64 v3, v[6:7] offset:17408
	s_waitcnt lgkmcnt(0)
	s_barrier
	s_cbranch_scc1 .LBB74_4
; %bb.3:
	s_load_dword s0, s[4:5], 0xd0
	s_mov_b32 s1, 0
	s_waitcnt lgkmcnt(0)
	s_mul_i32 s0, s0, s33
	s_add_i32 s0, s0, s6
	s_lshl_b64 s[0:1], s[0:1], 2
	s_add_u32 s0, s18, s0
	s_addc_u32 s1, s19, s1
	s_load_dword s28, s[0:1], 0x0
.LBB74_4:
	s_lshl_b32 s6, s7, 6
	s_waitcnt lgkmcnt(0)
	s_cmp_lt_i32 s6, s28
	v_mbcnt_lo_u32_b32 v12, -1, 0
	s_cbranch_scc1 .LBB74_6
; %bb.5:
	v_mbcnt_hi_u32_b32 v3, -1, v12
	v_and_b32_e32 v5, 0x60, v3
	s_mov_b32 s8, 0
	v_add_u32_e32 v47, 32, v5
	v_xor_b32_e32 v21, 16, v3
	v_xor_b32_e32 v46, 8, v3
	;; [unrolled: 1-line block ×5, first 2 shown]
	s_mov_b64 s[0:1], 0
	s_mov_b32 s9, 0xfeffffff
	s_branch .LBB74_7
.LBB74_6:
	s_mov_b64 s[0:1], -1
                                        ; implicit-def: $sgpr9
                                        ; implicit-def: $sgpr8
                                        ; implicit-def: $vgpr3
                                        ; implicit-def: $vgpr47
                                        ; implicit-def: $vgpr21
                                        ; implicit-def: $vgpr46
                                        ; implicit-def: $vgpr48
                                        ; implicit-def: $vgpr49
                                        ; implicit-def: $vgpr50
.LBB74_7:
	v_lshlrev_b32_e32 v23, 2, v0
	s_andn2_b64 vcc, exec, s[0:1]
	v_mov_b32_e32 v20, s9
	v_mov_b32_e32 v51, s8
	;; [unrolled: 1-line block ×4, first 2 shown]
	s_cbranch_vccnz .LBB74_19
; %bb.8:
	s_sub_i32 s0, 0, s36
	s_mul_i32 s0, s0, s24
	s_mul_hi_u32 s0, s24, s0
	s_abs_i32 s19, s29
	s_add_i32 s24, s24, s0
	s_mul_hi_u32 s34, s19, s24
	s_load_dwordx4 s[24:27], s[4:5], 0x98
	s_load_dword s14, s[4:5], 0x54
	s_load_dwordx2 s[0:1], s[4:5], 0x8c
	s_ashr_i32 s38, s29, 31
	s_ashr_i32 s37, s37, 31
	s_waitcnt lgkmcnt(0)
	s_ashr_i32 s15, s26, 2
	s_ashr_i32 s26, s35, 1
	;; [unrolled: 1-line block ×4, first 2 shown]
	s_mul_i32 s25, s33, s25
	s_mul_hi_u32 s35, s33, s24
	s_add_i32 s25, s35, s25
	s_mul_i32 s35, s0, s24
	s_add_i32 s25, s25, s35
	s_mul_i32 s24, s33, s24
	s_add_u32 s10, s10, s24
	s_addc_u32 s11, s11, s25
	s_mul_i32 s25, s34, s36
	s_sub_i32 s19, s19, s25
	s_xor_b32 s24, s38, s37
	s_add_i32 s25, s34, 1
	s_sub_i32 s35, s19, s36
	s_cmp_ge_u32 s19, s36
	s_cselect_b32 s25, s25, s34
	s_cselect_b32 s19, s35, s19
	s_add_i32 s34, s25, 1
	s_cmp_ge_u32 s19, s36
	s_load_dwordx2 s[8:9], s[4:5], 0xa8
	s_cselect_b32 s19, s34, s25
	s_xor_b32 s19, s19, s24
	s_sub_i32 s19, s19, s24
	s_mul_i32 s1, s19, s1
	s_ashr_i32 s24, s1, 31
	s_add_u32 s10, s10, s1
	s_waitcnt lgkmcnt(0)
	s_mul_i32 s1, s33, s9
	s_mul_hi_u32 s9, s33, s8
	s_addc_u32 s11, s11, s24
	s_add_i32 s1, s9, s1
	s_mul_i32 s0, s0, s8
	s_add_i32 s1, s1, s0
	s_mul_i32 s0, s33, s8
	s_add_u32 s0, s12, s0
	s_mul_i32 s19, s19, s27
	s_addc_u32 s1, s13, s1
	s_ashr_i32 s8, s19, 31
	v_lshrrev_b32_e32 v3, 4, v0
	v_and_b32_e32 v6, 60, v23
	s_add_u32 s12, s0, s19
	v_lshl_add_u32 v5, v4, 1, v3
	v_lshlrev_b32_e32 v7, 2, v6
	s_movk_i32 s0, 0x110
	s_addc_u32 s13, s1, s8
	v_mad_u32_u24 v24, v5, s0, v7
	v_mul_lo_u32 v8, s18, v5
	s_lshl_b32 s0, s18, 4
	v_add_u32_e32 v10, s0, v8
	v_add_u32_e32 v14, s0, v10
	v_mov_b32_e32 v3, 0x4400
	v_add_u32_e32 v16, s0, v14
	v_lshl_add_u32 v28, v4, 8, v3
	v_mad_u64_u32 v[2:3], s[0:1], v2, s26, v[0:1]
	v_mul_lo_u32 v18, s15, v5
	s_lshl_b32 s0, s15, 4
	v_add_u32_e32 v20, s0, v18
	v_add_u32_e32 v46, s0, v20
	v_mov_b32_e32 v3, 0x4c00
	v_add_u32_e32 v48, s0, v46
	v_ashrrev_i32_e32 v9, 31, v8
	v_ashrrev_i32_e32 v11, 31, v10
	;; [unrolled: 1-line block ×4, first 2 shown]
	v_lshl_add_u32 v30, v4, 7, v3
	v_lshl_or_b32 v32, v5, 8, v7
	v_ashrrev_i32_e32 v19, 31, v18
	v_ashrrev_i32_e32 v21, 31, v20
	;; [unrolled: 1-line block ×4, first 2 shown]
	s_add_u32 s0, s4, 0xd0
	v_mov_b32_e32 v42, 0
	v_add_u32_e32 v25, 0x1100, v24
	v_add_u32_e32 v26, 0x2200, v24
	;; [unrolled: 1-line block ×3, first 2 shown]
	v_mul_u32_u24_e32 v29, 0x110, v0
	v_lshl_add_u32 v31, v0, 1, v30
	v_add_u32_e32 v33, 0x1000, v32
	v_add_u32_e32 v34, 0x2000, v32
	;; [unrolled: 1-line block ×3, first 2 shown]
	v_lshlrev_b32_e32 v36, 3, v0
	s_addc_u32 s1, s5, 0
	v_mov_b32_e32 v45, 0xfeffffff
	v_lshlrev_b64 v[4:5], 2, v[8:9]
	v_lshlrev_b32_e32 v37, 2, v6
	v_lshlrev_b64 v[6:7], 2, v[10:11]
	v_lshlrev_b64 v[8:9], 2, v[14:15]
	;; [unrolled: 1-line block ×3, first 2 shown]
	s_mov_b32 s19, 0x3f200000
	s_mov_b32 s24, 0x3fb8aa3b
	;; [unrolled: 1-line block ×4, first 2 shown]
	v_mov_b32_e32 v38, 0xbd5c1c4e
	v_mov_b32_e32 v39, 0x3e088382
	;; [unrolled: 1-line block ×3, first 2 shown]
	s_brev_b32 s27, -2
	v_mbcnt_hi_u32_b32 v3, -1, v12
	v_lshlrev_b64 v[12:13], 2, v[18:19]
	v_lshlrev_b64 v[14:15], 2, v[20:21]
	v_lshlrev_b64 v[16:17], 2, v[46:47]
	v_lshlrev_b64 v[18:19], 2, v[48:49]
	v_mov_b32_e32 v41, 0x7f800000
	v_mov_b32_e32 v43, 0
	;; [unrolled: 1-line block ×3, first 2 shown]
.LBB74_9:                               ; =>This Inner Loop Header: Depth=1
	s_mul_hi_i32 s9, s6, s18
	s_mul_i32 s8, s6, s18
	s_lshl_b64 s[8:9], s[8:9], 2
	s_add_u32 s8, s10, s8
	s_addc_u32 s9, s11, s9
	v_mov_b32_e32 v20, s9
	v_add_co_u32_e32 v21, vcc, s8, v4
	v_addc_co_u32_e32 v46, vcc, v20, v5, vcc
	v_add_co_u32_e32 v20, vcc, v21, v37
	v_addc_co_u32_e32 v21, vcc, 0, v46, vcc
	v_mov_b32_e32 v46, s9
	v_add_co_u32_e32 v47, vcc, s8, v6
	v_addc_co_u32_e32 v46, vcc, v46, v7, vcc
	v_add_co_u32_e32 v54, vcc, v47, v37
	v_addc_co_u32_e32 v55, vcc, 0, v46, vcc
	global_load_dwordx4 v[46:49], v[20:21], off
	global_load_dwordx4 v[50:53], v[54:55], off
	v_mov_b32_e32 v20, s9
	v_add_co_u32_e32 v21, vcc, s8, v8
	v_addc_co_u32_e32 v54, vcc, v20, v9, vcc
	v_add_co_u32_e32 v20, vcc, v21, v37
	v_addc_co_u32_e32 v21, vcc, 0, v54, vcc
	v_mov_b32_e32 v54, s9
	v_add_co_u32_e32 v55, vcc, s8, v10
	v_addc_co_u32_e32 v54, vcc, v54, v11, vcc
	v_add_co_u32_e32 v62, vcc, v55, v37
	v_addc_co_u32_e32 v63, vcc, 0, v54, vcc
	global_load_dwordx4 v[54:57], v[20:21], off
	global_load_dwordx4 v[58:61], v[62:63], off
	s_waitcnt vmcnt(3)
	ds_write_b128 v24, v[46:49]
	s_waitcnt vmcnt(2)
	ds_write_b128 v25, v[50:53]
	;; [unrolled: 2-line block ×4, first 2 shown]
	s_waitcnt lgkmcnt(0)
	s_barrier
	ds_read_b128 v[48:51], v29
	ds_read_b128 v[52:55], v28
	v_mov_b32_e32 v46, 0
	ds_read_b128 v[56:59], v29 offset:8704
	s_waitcnt lgkmcnt(1)
	;;#ASMSTART
	v_dot2_f32_f16 v46, v48, v52, v46
	;;#ASMEND
	;;#ASMSTART
	v_dot2_f32_f16 v46, v49, v53, v46
	;;#ASMEND
	v_mov_b32_e32 v47, 0
	;;#ASMSTART
	v_dot2_f32_f16 v46, v50, v54, v46
	;;#ASMEND
	;;#ASMSTART
	v_dot2_f32_f16 v46, v51, v55, v46
	;;#ASMEND
	s_waitcnt lgkmcnt(0)
	;;#ASMSTART
	v_dot2_f32_f16 v47, v56, v52, v47
	;;#ASMEND
	;;#ASMSTART
	v_dot2_f32_f16 v47, v57, v53, v47
	;;#ASMEND
	;;#ASMSTART
	v_dot2_f32_f16 v47, v58, v54, v47
	;;#ASMEND
	;;#ASMSTART
	v_dot2_f32_f16 v47, v59, v55, v47
	;;#ASMEND
	ds_read_b128 v[48:51], v29 offset:16
	ds_read_b128 v[52:55], v28 offset:16
	ds_read_b128 v[56:59], v29 offset:8720
	s_waitcnt lgkmcnt(1)
	;;#ASMSTART
	v_dot2_f32_f16 v46, v48, v52, v46
	;;#ASMEND
	;;#ASMSTART
	v_dot2_f32_f16 v46, v49, v53, v46
	;;#ASMEND
	;;#ASMSTART
	v_dot2_f32_f16 v46, v50, v54, v46
	;;#ASMEND
	;;#ASMSTART
	v_dot2_f32_f16 v46, v51, v55, v46
	;;#ASMEND
	s_waitcnt lgkmcnt(0)
	;;#ASMSTART
	v_dot2_f32_f16 v47, v56, v52, v47
	;;#ASMEND
	;;#ASMSTART
	v_dot2_f32_f16 v47, v57, v53, v47
	;;#ASMEND
	;;#ASMSTART
	v_dot2_f32_f16 v47, v58, v54, v47
	;;#ASMEND
	;;#ASMSTART
	v_dot2_f32_f16 v47, v59, v55, v47
	;;#ASMEND
	ds_read_b128 v[48:51], v29 offset:32
	ds_read_b128 v[52:55], v28 offset:32
	ds_read_b128 v[56:59], v29 offset:8736
	s_waitcnt lgkmcnt(1)
	;;#ASMSTART
	v_dot2_f32_f16 v46, v48, v52, v46
	;;#ASMEND
	;;#ASMSTART
	v_dot2_f32_f16 v46, v49, v53, v46
	;;#ASMEND
	;; [unrolled: 29-line block ×15, first 2 shown]
	;;#ASMSTART
	v_dot2_f32_f16 v46, v50, v54, v46
	;;#ASMEND
	;;#ASMSTART
	v_dot2_f32_f16 v46, v51, v55, v46
	;;#ASMEND
	s_waitcnt lgkmcnt(0)
	;;#ASMSTART
	v_dot2_f32_f16 v47, v56, v52, v47
	;;#ASMEND
	;;#ASMSTART
	v_dot2_f32_f16 v47, v57, v53, v47
	;;#ASMEND
	;; [unrolled: 3-line block ×3, first 2 shown]
	v_cmp_nlt_f32_e64 s[8:9], |v46|, s19
	;;#ASMSTART
	v_dot2_f32_f16 v47, v59, v55, v47
	;;#ASMEND
                                        ; implicit-def: $vgpr49
	s_and_saveexec_b64 s[34:35], s[8:9]
	s_xor_b64 s[8:9], exec, s[34:35]
	s_cbranch_execz .LBB74_11
; %bb.10:                               ;   in Loop: Header=BB74_9 Depth=1
	v_add_f32_e64 v20, |v46|, |v46|
	v_mul_f32_e32 v21, 0x3fb8aa3b, v20
	v_rndne_f32_e32 v48, v21
	v_sub_f32_e32 v49, v21, v48
	v_fma_f32 v21, v20, s24, -v21
	v_fmac_f32_e32 v21, 0x32a5705f, v20
	v_add_f32_e32 v21, v49, v21
	v_cvt_i32_f32_e32 v48, v48
	v_exp_f32_e32 v21, v21
	v_cmp_ngt_f32_e32 vcc, s25, v20
	v_ldexp_f32 v21, v21, v48
	v_cndmask_b32_e32 v21, 0, v21, vcc
	v_cmp_nlt_f32_e32 vcc, s26, v20
	v_cndmask_b32_e32 v20, v41, v21, vcc
	v_add_f32_e32 v20, 1.0, v20
	v_rcp_f32_e32 v20, v20
	v_fma_f32 v49, v20, -2.0, 1.0
.LBB74_11:                              ;   in Loop: Header=BB74_9 Depth=1
	s_andn2_saveexec_b64 s[8:9], s[8:9]
; %bb.12:                               ;   in Loop: Header=BB74_9 Depth=1
	v_mul_f32_e32 v20, v46, v46
	v_mov_b32_e32 v21, 0x3ca908c9
	v_fmac_f32_e32 v21, 0xbbbac73d, v20
	v_fma_f32 v21, v20, v21, v38
	v_fma_f32 v21, v20, v21, v39
	v_fma_f32 v21, v20, v21, v40
	v_mul_f32_e64 v21, |v46|, v21
	v_fma_f32 v49, v20, v21, |v46|
; %bb.13:                               ;   in Loop: Header=BB74_9 Depth=1
	s_or_b64 exec, exec, s[8:9]
	v_add_u32_e32 v20, s6, v2
	v_ashrrev_i32_e32 v21, 31, v20
	v_lshlrev_b64 v[20:21], 1, v[20:21]
	v_mov_b32_e32 v48, s31
	v_add_co_u32_e32 v20, vcc, s30, v20
	v_addc_co_u32_e32 v21, vcc, v48, v21, vcc
	flat_load_ushort v48, v[20:21]
	v_cmp_nlt_f32_e64 s[8:9], |v47|, s19
                                        ; implicit-def: $vgpr50
	s_and_saveexec_b64 s[34:35], s[8:9]
	s_xor_b64 s[8:9], exec, s[34:35]
	s_cbranch_execz .LBB74_15
; %bb.14:                               ;   in Loop: Header=BB74_9 Depth=1
	v_add_f32_e64 v50, |v47|, |v47|
	v_mul_f32_e32 v51, 0x3fb8aa3b, v50
	v_rndne_f32_e32 v52, v51
	v_sub_f32_e32 v53, v51, v52
	v_fma_f32 v51, v50, s24, -v51
	v_fmac_f32_e32 v51, 0x32a5705f, v50
	v_add_f32_e32 v51, v53, v51
	v_cvt_i32_f32_e32 v52, v52
	v_exp_f32_e32 v51, v51
	v_cmp_ngt_f32_e32 vcc, s25, v50
	v_ldexp_f32 v51, v51, v52
	v_cndmask_b32_e32 v51, 0, v51, vcc
	v_cmp_nlt_f32_e32 vcc, s26, v50
	v_cndmask_b32_e32 v50, v41, v51, vcc
	v_add_f32_e32 v50, 1.0, v50
	v_rcp_f32_e32 v50, v50
	v_fma_f32 v50, v50, -2.0, 1.0
.LBB74_15:                              ;   in Loop: Header=BB74_9 Depth=1
	s_andn2_saveexec_b64 s[8:9], s[8:9]
; %bb.16:                               ;   in Loop: Header=BB74_9 Depth=1
	v_mul_f32_e32 v50, v47, v47
	v_mov_b32_e32 v51, 0x3ca908c9
	v_fmac_f32_e32 v51, 0xbbbac73d, v50
	v_fma_f32 v51, v50, v51, v38
	v_fma_f32 v51, v50, v51, v39
	v_fma_f32 v51, v50, v51, v40
	v_mul_f32_e64 v51, |v47|, v51
	v_fma_f32 v50, v50, v51, |v47|
; %bb.17:                               ;   in Loop: Header=BB74_9 Depth=1
	s_or_b64 exec, exec, s[8:9]
	flat_load_ushort v20, v[20:21] offset:64
	v_bfi_b32 v52, s27, v50, v47
	v_and_b32_e32 v47, 0x60, v3
	s_mul_hi_i32 s9, s6, s15
	s_mul_i32 s8, s6, s15
	v_xor_b32_e32 v21, 16, v3
	v_add_u32_e32 v47, 32, v47
	s_lshl_b64 s[8:9], s[8:9], 2
	v_bfi_b32 v49, s27, v49, v46
	v_xor_b32_e32 v46, 8, v3
	v_cmp_lt_i32_e32 vcc, v21, v47
	s_add_u32 s8, s12, s8
	s_waitcnt vmcnt(0) lgkmcnt(0)
	v_fma_mix_f32 v72, v49, s14, v48 op_sel_hi:[0,0,1]
	v_cndmask_b32_e32 v48, v3, v21, vcc
	v_cmp_lt_i32_e32 vcc, v46, v47
	s_addc_u32 s9, s13, s9
	v_cndmask_b32_e32 v49, v3, v46, vcc
	v_lshlrev_b32_e32 v54, 2, v48
	v_mov_b32_e32 v48, s9
	v_add_co_u32_e32 v55, vcc, s8, v12
	v_addc_co_u32_e32 v56, vcc, v48, v13, vcc
	v_lshlrev_b32_e32 v73, 2, v49
	v_mov_b32_e32 v49, s9
	v_add_co_u32_e32 v57, vcc, s8, v14
	v_addc_co_u32_e32 v58, vcc, v49, v15, vcc
	v_mov_b32_e32 v50, s9
	v_add_co_u32_e32 v59, vcc, s8, v16
	v_addc_co_u32_e32 v60, vcc, v50, v17, vcc
	;; [unrolled: 3-line block ×3, first 2 shown]
	v_add_co_u32_e32 v48, vcc, v55, v37
	v_addc_co_u32_e32 v49, vcc, 0, v56, vcc
	v_add_co_u32_e32 v50, vcc, v57, v37
	v_addc_co_u32_e32 v51, vcc, 0, v58, vcc
	v_add_co_u32_e32 v68, vcc, v59, v37
	v_add_f32_e32 v53, 0x40051340, v72
	v_addc_co_u32_e32 v69, vcc, 0, v60, vcc
	v_add_co_u32_e32 v70, vcc, v61, v37
	s_barrier
	v_addc_co_u32_e32 v71, vcc, 0, v62, vcc
	v_fma_mix_f32 v74, v52, s14, v20 op_sel_hi:[0,0,1]
	v_add_f32_e32 v20, 0x40051340, v74
	v_max3_f32 v20, v45, v53, v20
	ds_bpermute_b32 v75, v54, v20
	global_load_dwordx4 v[52:55], v[48:49], off
	global_load_dwordx4 v[56:59], v[50:51], off
	;; [unrolled: 1-line block ×4, first 2 shown]
	s_waitcnt lgkmcnt(0)
	v_max_f32_e32 v48, v75, v75
	v_max_f32_e32 v20, v20, v48
	ds_bpermute_b32 v49, v73, v20
	v_xor_b32_e32 v48, 4, v3
	v_cmp_lt_i32_e32 vcc, v48, v47
	v_cndmask_b32_e32 v50, v3, v48, vcc
	v_lshlrev_b32_e32 v50, 2, v50
	s_waitcnt lgkmcnt(0)
	v_max_f32_e32 v49, v49, v49
	v_max_f32_e32 v20, v20, v49
	ds_bpermute_b32 v50, v50, v20
	v_xor_b32_e32 v49, 2, v3
	v_cmp_lt_i32_e32 vcc, v49, v47
	v_cndmask_b32_e32 v51, v3, v49, vcc
	v_lshlrev_b32_e32 v51, 2, v51
	;; [unrolled: 8-line block ×3, first 2 shown]
	s_waitcnt lgkmcnt(0)
	v_max_f32_e32 v51, v51, v51
	v_max_f32_e32 v20, v20, v51
	ds_bpermute_b32 v51, v68, v20
	s_waitcnt lgkmcnt(0)
	v_max_f32_e32 v51, v51, v51
	v_max_f32_e32 v20, v20, v51
	v_sub_f32_e32 v51, v72, v20
	v_sub_f32_e32 v68, v74, v20
	v_mul_f32_e32 v69, 0x3fb8aa3b, v51
	v_mul_f32_e32 v70, 0x3fb8aa3b, v68
	v_fma_f32 v72, v51, s24, -v69
	v_rndne_f32_e32 v73, v69
	v_fma_f32 v74, v68, s24, -v70
	v_rndne_f32_e32 v75, v70
	v_fmac_f32_e32 v72, 0x32a5705f, v51
	v_sub_f32_e32 v69, v69, v73
	v_fmac_f32_e32 v74, 0x32a5705f, v68
	v_sub_f32_e32 v70, v70, v75
	v_add_f32_e32 v69, v69, v72
	v_cvt_i32_f32_e32 v73, v73
	v_add_f32_e32 v70, v70, v74
	v_exp_f32_e32 v69, v69
	v_cvt_i32_f32_e32 v75, v75
	v_exp_f32_e32 v70, v70
	v_sub_f32_e32 v45, v45, v20
	v_mul_f32_e32 v71, 0x3fb8aa3b, v45
	v_fma_f32 v76, v45, s24, -v71
	v_rndne_f32_e32 v77, v71
	v_ldexp_f32 v69, v69, v73
	v_cmp_ngt_f32_e32 vcc, s25, v51
	v_fmac_f32_e32 v76, 0x32a5705f, v45
	v_sub_f32_e32 v71, v71, v77
	v_ldexp_f32 v70, v70, v75
	v_cndmask_b32_e32 v69, 0, v69, vcc
	v_cmp_ngt_f32_e32 vcc, s25, v68
	v_add_f32_e32 v71, v71, v76
	v_cndmask_b32_e32 v70, 0, v70, vcc
	v_cmp_nlt_f32_e32 vcc, s26, v51
	v_cvt_i32_f32_e32 v77, v77
	v_exp_f32_e32 v71, v71
	v_cndmask_b32_e32 v51, v41, v69, vcc
	v_cmp_nlt_f32_e32 vcc, s26, v68
	v_cndmask_b32_e32 v68, v41, v70, vcc
	v_cvt_f16_f32_e32 v69, v51
	v_add_f32_e32 v51, v51, v68
	v_cvt_f16_f32_e32 v68, v68
	v_ldexp_f32 v70, v71, v77
	v_cmp_ngt_f32_e32 vcc, s25, v45
	v_cndmask_b32_e32 v70, 0, v70, vcc
	v_cmp_nlt_f32_e32 vcc, s26, v45
	v_cndmask_b32_e32 v45, v41, v70, vcc
	ds_write_b16 v31, v69
	ds_write_b16 v31, v68 offset:64
	s_waitcnt vmcnt(3)
	ds_write_b128 v32, v[52:55]
	s_waitcnt vmcnt(2)
	ds_write_b128 v33, v[56:59]
	;; [unrolled: 2-line block ×4, first 2 shown]
	s_waitcnt lgkmcnt(0)
	s_barrier
	ds_read2_b64 v[52:55], v36 offset1:32
	ds_read_b128 v[56:59], v30
	v_fmac_f32_e32 v51, v44, v45
	v_cvt_f16_f32_e32 v44, v45
	ds_read_b128 v[60:63], v30 offset:16
	ds_read_b128 v[64:67], v30 offset:32
	;; [unrolled: 1-line block ×3, first 2 shown]
	ds_read2_b64 v[72:75], v36 offset0:64 offset1:96
	s_waitcnt lgkmcnt(4)
	v_pk_mul_f16 v45, v52, v56 op_sel_hi:[1,0]
	v_pk_fma_f16 v42, v42, v44, v45 op_sel_hi:[1,0,1]
	v_pk_mul_f16 v45, v53, v56 op_sel_hi:[1,0]
	v_pk_fma_f16 v43, v43, v44, v45 op_sel_hi:[1,0,1]
	v_pk_fma_f16 v42, v54, v56, v42 op_sel:[0,1,0]
	v_pk_fma_f16 v52, v55, v56, v43 op_sel:[0,1,0]
	s_waitcnt lgkmcnt(0)
	v_pk_fma_f16 v53, v72, v57, v42 op_sel_hi:[1,0,1]
	ds_read2_b64 v[42:45], v36 offset0:128 offset1:160
	v_pk_fma_f16 v52, v73, v57, v52 op_sel_hi:[1,0,1]
	v_pk_fma_f16 v56, v74, v57, v53 op_sel:[0,1,0]
	v_pk_fma_f16 v57, v75, v57, v52 op_sel:[0,1,0]
	ds_read2_b64 v[52:55], v36 offset0:192 offset1:224
	s_waitcnt lgkmcnt(1)
	v_pk_fma_f16 v42, v42, v58, v56 op_sel_hi:[1,0,1]
	v_pk_fma_f16 v43, v43, v58, v57 op_sel_hi:[1,0,1]
	v_pk_fma_f16 v42, v44, v58, v42 op_sel:[0,1,0]
	v_add_u32_e32 v57, 0x800, v36
	v_pk_fma_f16 v56, v45, v58, v43 op_sel:[0,1,0]
	s_waitcnt lgkmcnt(0)
	v_pk_fma_f16 v52, v52, v59, v42 op_sel_hi:[1,0,1]
	ds_read2_b64 v[42:45], v57 offset1:32
	v_pk_fma_f16 v53, v53, v59, v56 op_sel_hi:[1,0,1]
	v_pk_fma_f16 v56, v54, v59, v52 op_sel:[0,1,0]
	v_pk_fma_f16 v58, v55, v59, v53 op_sel:[0,1,0]
	ds_read2_b64 v[52:55], v57 offset0:64 offset1:96
	s_waitcnt lgkmcnt(1)
	v_pk_fma_f16 v42, v42, v60, v56 op_sel_hi:[1,0,1]
	v_pk_fma_f16 v43, v43, v60, v58 op_sel_hi:[1,0,1]
	v_pk_fma_f16 v42, v44, v60, v42 op_sel:[0,1,0]
	v_pk_fma_f16 v56, v45, v60, v43 op_sel:[0,1,0]
	s_waitcnt lgkmcnt(0)
	v_pk_fma_f16 v52, v52, v61, v42 op_sel_hi:[1,0,1]
	ds_read2_b64 v[42:45], v57 offset0:128 offset1:160
	v_pk_fma_f16 v53, v53, v61, v56 op_sel_hi:[1,0,1]
	v_pk_fma_f16 v56, v54, v61, v52 op_sel:[0,1,0]
	v_pk_fma_f16 v58, v55, v61, v53 op_sel:[0,1,0]
	ds_read2_b64 v[52:55], v57 offset0:192 offset1:224
	s_waitcnt lgkmcnt(1)
	v_pk_fma_f16 v42, v42, v62, v56 op_sel_hi:[1,0,1]
	v_pk_fma_f16 v43, v43, v62, v58 op_sel_hi:[1,0,1]
	v_pk_fma_f16 v42, v44, v62, v42 op_sel:[0,1,0]
	v_add_u32_e32 v57, 0x1000, v36
	v_pk_fma_f16 v56, v45, v62, v43 op_sel:[0,1,0]
	s_waitcnt lgkmcnt(0)
	v_pk_fma_f16 v52, v52, v63, v42 op_sel_hi:[1,0,1]
	ds_read2_b64 v[42:45], v57 offset1:32
	v_pk_fma_f16 v53, v53, v63, v56 op_sel_hi:[1,0,1]
	v_pk_fma_f16 v56, v54, v63, v52 op_sel:[0,1,0]
	v_pk_fma_f16 v58, v55, v63, v53 op_sel:[0,1,0]
	ds_read2_b64 v[52:55], v57 offset0:64 offset1:96
	s_waitcnt lgkmcnt(1)
	v_pk_fma_f16 v42, v42, v64, v56 op_sel_hi:[1,0,1]
	;; [unrolled: 25-line block ×3, first 2 shown]
	v_pk_fma_f16 v43, v43, v68, v58 op_sel_hi:[1,0,1]
	v_pk_fma_f16 v42, v44, v68, v42 op_sel:[0,1,0]
	v_pk_fma_f16 v56, v45, v68, v43 op_sel:[0,1,0]
	s_waitcnt lgkmcnt(0)
	v_pk_fma_f16 v52, v52, v69, v42 op_sel_hi:[1,0,1]
	ds_read2_b64 v[42:45], v57 offset0:128 offset1:160
	v_pk_fma_f16 v53, v53, v69, v56 op_sel_hi:[1,0,1]
	v_pk_fma_f16 v56, v54, v69, v52 op_sel:[0,1,0]
	v_pk_fma_f16 v58, v55, v69, v53 op_sel:[0,1,0]
	ds_read2_b64 v[52:55], v57 offset0:192 offset1:224
	s_waitcnt lgkmcnt(1)
	v_pk_fma_f16 v42, v42, v70, v56 op_sel_hi:[1,0,1]
	v_pk_fma_f16 v43, v43, v70, v58 op_sel_hi:[1,0,1]
	v_pk_fma_f16 v42, v44, v70, v42 op_sel:[0,1,0]
	v_pk_fma_f16 v43, v45, v70, v43 op_sel:[0,1,0]
	v_add_u32_e32 v64, 0x2000, v36
	s_waitcnt lgkmcnt(0)
	v_pk_fma_f16 v52, v52, v71, v42 op_sel_hi:[1,0,1]
	v_pk_fma_f16 v53, v53, v71, v43 op_sel_hi:[1,0,1]
	ds_read2_b64 v[42:45], v64 offset1:32
	ds_read_b128 v[56:59], v30 offset:64
	v_pk_fma_f16 v65, v54, v71, v52 op_sel:[0,1,0]
	v_pk_fma_f16 v66, v55, v71, v53 op_sel:[0,1,0]
	ds_read2_b64 v[52:55], v64 offset0:64 offset1:96
	ds_read_b128 v[60:63], v30 offset:80
	s_waitcnt lgkmcnt(2)
	v_pk_fma_f16 v42, v42, v56, v65 op_sel_hi:[1,0,1]
	v_pk_fma_f16 v43, v43, v56, v66 op_sel_hi:[1,0,1]
	v_pk_fma_f16 v42, v44, v56, v42 op_sel:[0,1,0]
	v_pk_fma_f16 v56, v45, v56, v43 op_sel:[0,1,0]
	s_waitcnt lgkmcnt(1)
	v_pk_fma_f16 v52, v52, v57, v42 op_sel_hi:[1,0,1]
	ds_read2_b64 v[42:45], v64 offset0:128 offset1:160
	v_pk_fma_f16 v53, v53, v57, v56 op_sel_hi:[1,0,1]
	v_pk_fma_f16 v56, v54, v57, v52 op_sel:[0,1,0]
	v_pk_fma_f16 v57, v55, v57, v53 op_sel:[0,1,0]
	ds_read2_b64 v[52:55], v64 offset0:192 offset1:224
	s_waitcnt lgkmcnt(1)
	v_pk_fma_f16 v42, v42, v58, v56 op_sel_hi:[1,0,1]
	v_pk_fma_f16 v43, v43, v58, v57 op_sel_hi:[1,0,1]
	v_pk_fma_f16 v42, v44, v58, v42 op_sel:[0,1,0]
	v_add_u32_e32 v57, 0x2800, v36
	v_pk_fma_f16 v56, v45, v58, v43 op_sel:[0,1,0]
	s_waitcnt lgkmcnt(0)
	v_pk_fma_f16 v52, v52, v59, v42 op_sel_hi:[1,0,1]
	ds_read2_b64 v[42:45], v57 offset1:32
	v_pk_fma_f16 v53, v53, v59, v56 op_sel_hi:[1,0,1]
	v_pk_fma_f16 v56, v54, v59, v52 op_sel:[0,1,0]
	v_pk_fma_f16 v58, v55, v59, v53 op_sel:[0,1,0]
	ds_read2_b64 v[52:55], v57 offset0:64 offset1:96
	s_waitcnt lgkmcnt(1)
	v_pk_fma_f16 v42, v42, v60, v56 op_sel_hi:[1,0,1]
	v_pk_fma_f16 v43, v43, v60, v58 op_sel_hi:[1,0,1]
	v_pk_fma_f16 v42, v44, v60, v42 op_sel:[0,1,0]
	v_pk_fma_f16 v56, v45, v60, v43 op_sel:[0,1,0]
	s_waitcnt lgkmcnt(0)
	v_pk_fma_f16 v52, v52, v61, v42 op_sel_hi:[1,0,1]
	ds_read2_b64 v[42:45], v57 offset0:128 offset1:160
	v_pk_fma_f16 v53, v53, v61, v56 op_sel_hi:[1,0,1]
	v_pk_fma_f16 v56, v54, v61, v52 op_sel:[0,1,0]
	v_pk_fma_f16 v58, v55, v61, v53 op_sel:[0,1,0]
	ds_read2_b64 v[52:55], v57 offset0:192 offset1:224
	s_waitcnt lgkmcnt(1)
	v_pk_fma_f16 v42, v42, v62, v56 op_sel_hi:[1,0,1]
	v_pk_fma_f16 v43, v43, v62, v58 op_sel_hi:[1,0,1]
	v_pk_fma_f16 v42, v44, v62, v42 op_sel:[0,1,0]
	v_add_u32_e32 v64, 0x3000, v36
	v_pk_fma_f16 v60, v45, v62, v43 op_sel:[0,1,0]
	s_waitcnt lgkmcnt(0)
	v_pk_fma_f16 v52, v52, v63, v42 op_sel_hi:[1,0,1]
	ds_read2_b64 v[42:45], v64 offset1:32
	ds_read_b128 v[56:59], v30 offset:96
	v_pk_fma_f16 v53, v53, v63, v60 op_sel_hi:[1,0,1]
	v_pk_fma_f16 v60, v54, v63, v52 op_sel:[0,1,0]
	v_pk_fma_f16 v65, v55, v63, v53 op_sel:[0,1,0]
	ds_read_b128 v[52:55], v30 offset:112
	s_waitcnt lgkmcnt(1)
	v_pk_fma_f16 v42, v42, v56, v60 op_sel_hi:[1,0,1]
	ds_read2_b64 v[60:63], v64 offset0:64 offset1:96
	v_pk_fma_f16 v43, v43, v56, v65 op_sel_hi:[1,0,1]
	v_pk_fma_f16 v65, v44, v56, v42 op_sel:[0,1,0]
	v_pk_fma_f16 v56, v45, v56, v43 op_sel:[0,1,0]
	ds_read2_b64 v[42:45], v64 offset0:128 offset1:160
	s_waitcnt lgkmcnt(1)
	v_pk_fma_f16 v60, v60, v57, v65 op_sel_hi:[1,0,1]
	v_pk_fma_f16 v56, v61, v57, v56 op_sel_hi:[1,0,1]
	v_pk_fma_f16 v60, v62, v57, v60 op_sel:[0,1,0]
	v_pk_fma_f16 v56, v63, v57, v56 op_sel:[0,1,0]
	s_waitcnt lgkmcnt(0)
	v_pk_fma_f16 v42, v42, v58, v60 op_sel_hi:[1,0,1]
	ds_read2_b64 v[60:63], v64 offset0:192 offset1:224
	v_pk_fma_f16 v43, v43, v58, v56 op_sel_hi:[1,0,1]
	v_add_u32_e32 v64, 0x3800, v36
	v_pk_fma_f16 v56, v44, v58, v42 op_sel:[0,1,0]
	v_pk_fma_f16 v57, v45, v58, v43 op_sel:[0,1,0]
	ds_read2_b64 v[42:45], v64 offset1:32
	s_waitcnt lgkmcnt(1)
	v_pk_fma_f16 v56, v60, v59, v56 op_sel_hi:[1,0,1]
	v_pk_fma_f16 v57, v61, v59, v57 op_sel_hi:[1,0,1]
	v_pk_fma_f16 v56, v62, v59, v56 op_sel:[0,1,0]
	v_pk_fma_f16 v60, v63, v59, v57 op_sel:[0,1,0]
	s_waitcnt lgkmcnt(0)
	v_pk_fma_f16 v42, v42, v52, v56 op_sel_hi:[1,0,1]
	ds_read2_b64 v[56:59], v64 offset0:64 offset1:96
	v_pk_fma_f16 v43, v43, v52, v60 op_sel_hi:[1,0,1]
	v_pk_fma_f16 v60, v44, v52, v42 op_sel:[0,1,0]
	v_pk_fma_f16 v52, v45, v52, v43 op_sel:[0,1,0]
	ds_read2_b64 v[42:45], v64 offset0:128 offset1:160
	s_waitcnt lgkmcnt(1)
	v_pk_fma_f16 v56, v56, v53, v60 op_sel_hi:[1,0,1]
	v_pk_fma_f16 v52, v57, v53, v52 op_sel_hi:[1,0,1]
	v_pk_fma_f16 v56, v58, v53, v56 op_sel:[0,1,0]
	v_pk_fma_f16 v52, v59, v53, v52 op_sel:[0,1,0]
	s_waitcnt lgkmcnt(0)
	v_pk_fma_f16 v42, v42, v54, v56 op_sel_hi:[1,0,1]
	ds_read2_b64 v[56:59], v64 offset0:192 offset1:224
	s_waitcnt lgkmcnt(0)
	s_barrier
	s_load_dword s8, s[0:1], 0x4
	v_pk_fma_f16 v43, v43, v54, v52 op_sel_hi:[1,0,1]
	v_pk_fma_f16 v42, v44, v54, v42 op_sel:[0,1,0]
	v_pk_fma_f16 v43, v45, v54, v43 op_sel:[0,1,0]
	v_pk_fma_f16 v42, v56, v55, v42 op_sel_hi:[1,0,1]
	s_waitcnt lgkmcnt(0)
	s_lshl_b32 s8, s8, 6
	v_pk_fma_f16 v43, v57, v55, v43 op_sel_hi:[1,0,1]
	s_add_i32 s6, s8, s6
	v_pk_fma_f16 v42, v58, v55, v42 op_sel:[0,1,0]
	s_cmp_lt_i32 s6, s28
	v_pk_fma_f16 v43, v59, v55, v43 op_sel:[0,1,0]
	s_cbranch_scc0 .LBB74_19
; %bb.18:                               ;   in Loop: Header=BB74_9 Depth=1
	v_mov_b32_e32 v45, v20
	v_mov_b32_e32 v44, v51
	s_branch .LBB74_9
.LBB74_19:
	v_cmp_lt_i32_e32 vcc, v21, v47
	v_cndmask_b32_e32 v2, v3, v21, vcc
	v_lshlrev_b32_e32 v2, 2, v2
	ds_bpermute_b32 v2, v2, v51
	v_cmp_lt_i32_e32 vcc, v46, v47
	v_cndmask_b32_e32 v4, v3, v46, vcc
	v_lshlrev_b32_e32 v4, 2, v4
	v_cmp_lt_i32_e32 vcc, v48, v47
	s_waitcnt lgkmcnt(0)
	v_add_f32_e32 v2, v51, v2
	ds_bpermute_b32 v4, v4, v2
	v_cndmask_b32_e32 v5, v3, v48, vcc
	v_lshlrev_b32_e32 v5, 2, v5
	v_cmp_lt_i32_e32 vcc, v49, v47
	s_cmp_eq_u64 s[16:17], 0
	s_waitcnt lgkmcnt(0)
	v_add_f32_e32 v2, v2, v4
	ds_bpermute_b32 v4, v5, v2
	v_cndmask_b32_e32 v5, v3, v49, vcc
	v_lshlrev_b32_e32 v5, 2, v5
	v_cmp_lt_i32_e32 vcc, v50, v47
	v_cndmask_b32_e32 v3, v3, v50, vcc
	s_waitcnt lgkmcnt(0)
	v_add_f32_e32 v4, v2, v4
	ds_bpermute_b32 v5, v5, v4
	v_lshlrev_b32_e32 v3, 2, v3
	s_cselect_b64 s[0:1], -1, 0
	s_cmp_lg_u32 s7, 0
	s_cselect_b64 s[8:9], -1, 0
	s_waitcnt lgkmcnt(0)
	v_add_f32_e32 v4, v4, v5
	ds_bpermute_b32 v3, v3, v4
	s_or_b64 s[0:1], s[8:9], s[0:1]
	v_add_u32_e32 v2, s29, v22
	s_and_b64 vcc, exec, s[0:1]
	s_waitcnt lgkmcnt(0)
	v_add_f32_e32 v21, v4, v3
	s_cbranch_vccnz .LBB74_21
; %bb.20:
	v_ashrrev_i32_e32 v3, 31, v2
	v_lshlrev_b64 v[4:5], 2, v[2:3]
	v_mov_b32_e32 v3, s17
	v_add_co_u32_e32 v4, vcc, s16, v4
	v_addc_co_u32_e32 v5, vcc, v3, v5, vcc
	global_load_dword v3, v[4:5], off
	v_max_f32_e32 v4, v20, v20
	s_mov_b32 s0, 0x3fb8aa3b
	s_mov_b32 s1, 0xc2ce8ed0
	s_waitcnt vmcnt(0)
	v_max_f32_e32 v5, v3, v3
	v_max_f32_e32 v4, v4, v5
	v_sub_f32_e32 v5, v20, v4
	v_sub_f32_e32 v3, v3, v4
	v_mul_f32_e32 v6, 0x3fb8aa3b, v5
	v_mul_f32_e32 v7, 0x3fb8aa3b, v3
	v_fma_f32 v8, v5, s0, -v6
	v_rndne_f32_e32 v9, v6
	v_fma_f32 v10, v3, s0, -v7
	v_rndne_f32_e32 v11, v7
	v_fmac_f32_e32 v8, 0x32a5705f, v5
	v_sub_f32_e32 v6, v6, v9
	v_fmac_f32_e32 v10, 0x32a5705f, v3
	v_sub_f32_e32 v7, v7, v11
	v_add_f32_e32 v6, v6, v8
	v_cvt_i32_f32_e32 v9, v9
	v_add_f32_e32 v7, v7, v10
	v_exp_f32_e32 v6, v6
	v_cvt_i32_f32_e32 v11, v11
	v_exp_f32_e32 v7, v7
	v_cmp_ngt_f32_e32 vcc, s1, v5
	v_ldexp_f32 v6, v6, v9
	s_mov_b32 s0, 0x42b17218
	v_ldexp_f32 v7, v7, v11
	v_cndmask_b32_e32 v6, 0, v6, vcc
	v_cmp_ngt_f32_e32 vcc, s1, v3
	v_mov_b32_e32 v8, 0x7f800000
	v_cndmask_b32_e32 v7, 0, v7, vcc
	v_cmp_nlt_f32_e32 vcc, s0, v5
	v_cndmask_b32_e32 v6, v8, v6, vcc
	v_cvt_f16_f32_e32 v9, v6
	v_cmp_nlt_f32_e32 vcc, s0, v3
	v_cndmask_b32_e32 v5, v8, v7, vcc
	v_fmac_f32_e32 v5, v21, v6
	v_pk_mul_f16 v42, v9, v42 op_sel_hi:[0,1]
	v_pk_mul_f16 v43, v9, v43 op_sel_hi:[0,1]
	v_pk_mov_b32 v[20:21], v[4:5], v[4:5] op_sel:[0,1]
	s_branch .LBB74_22
.LBB74_21:
	v_mov_b32_e32 v5, v21
.LBB74_22:
	v_div_scale_f32 v3, s[0:1], v5, v5, 1.0
	v_rcp_f32_e32 v4, v3
	s_load_dword s4, s[4:5], 0xd4
	s_mul_i32 s33, s33, s2
	v_add_u32_e32 v1, s33, v1
	v_fma_f32 v6, -v3, v4, 1.0
	v_fmac_f32_e32 v4, v6, v4
	v_div_scale_f32 v6, vcc, 1.0, v5, 1.0
	v_mul_f32_e32 v7, v6, v4
	v_fma_f32 v8, -v3, v7, v6
	v_fmac_f32_e32 v7, v8, v4
	v_fma_f32 v3, -v3, v7, v6
	s_waitcnt lgkmcnt(0)
	s_cmp_lg_u32 s4, 1
	v_div_fmas_f32 v3, v3, v4, v7
	v_div_fixup_f32 v3, v3, v5, 1.0
	s_cselect_b64 s[0:1], -1, 0
	v_cndmask_b32_e64 v6, v3, 1.0, s[0:1]
	v_mad_u64_u32 v[2:3], s[2:3], v1, s3, v[2:3]
	v_mul_lo_u32 v1, s4, v2
	v_add_u32_e32 v2, s7, v1
	v_lshl_add_u32 v4, v2, 7, v23
	v_mov_b32_e32 v5, 0
	v_lshlrev_b64 v[4:5], 2, v[4:5]
	v_cvt_f32_f16_sdwa v9, v42 dst_sel:DWORD dst_unused:UNUSED_PAD src0_sel:WORD_1
	v_cvt_f32_f16_e32 v8, v42
	v_cvt_f32_f16_sdwa v11, v43 dst_sel:DWORD dst_unused:UNUSED_PAD src0_sel:WORD_1
	v_cvt_f32_f16_e32 v10, v43
	v_mov_b32_e32 v1, s21
	v_add_co_u32_e32 v12, vcc, s20, v4
	v_addc_co_u32_e32 v13, vcc, v1, v5, vcc
	v_cmp_eq_u32_e32 vcc, 0, v0
	v_pk_mul_f32 v[4:5], v[6:7], v[8:9] op_sel_hi:[0,1]
	v_pk_mul_f32 v[6:7], v[6:7], v[10:11] op_sel_hi:[0,1]
	s_and_b64 s[0:1], vcc, s[0:1]
	global_store_dwordx4 v[12:13], v[4:7], off
	s_and_saveexec_b64 s[2:3], s[0:1]
	s_cbranch_execz .LBB74_24
; %bb.23:
	v_ashrrev_i32_e32 v3, 31, v2
	v_lshlrev_b64 v[0:1], 3, v[2:3]
	v_mov_b32_e32 v2, s23
	v_add_co_u32_e32 v0, vcc, s22, v0
	v_addc_co_u32_e32 v1, vcc, v2, v1, vcc
	global_store_dwordx2 v[0:1], v[20:21], off
.LBB74_24:
	s_endpgm
	.section	.rodata,"a",@progbits
	.p2align	6, 0x0
	.amdhsa_kernel _ZL15flash_attn_tileILi128ELi128ELi1ELi8ELb1EEvPKcS1_S1_S1_S1_PKiPfP15HIP_vector_typeIfLj2EEffffjfiS5_IjLj3EEiiiiiiiiiiiliiliiiiil
		.amdhsa_group_segment_fixed_size 20480
		.amdhsa_private_segment_fixed_size 0
		.amdhsa_kernarg_size 464
		.amdhsa_user_sgpr_count 6
		.amdhsa_user_sgpr_private_segment_buffer 1
		.amdhsa_user_sgpr_dispatch_ptr 0
		.amdhsa_user_sgpr_queue_ptr 0
		.amdhsa_user_sgpr_kernarg_segment_ptr 1
		.amdhsa_user_sgpr_dispatch_id 0
		.amdhsa_user_sgpr_flat_scratch_init 0
		.amdhsa_user_sgpr_kernarg_preload_length 0
		.amdhsa_user_sgpr_kernarg_preload_offset 0
		.amdhsa_user_sgpr_private_segment_size 0
		.amdhsa_uses_dynamic_stack 0
		.amdhsa_system_sgpr_private_segment_wavefront_offset 0
		.amdhsa_system_sgpr_workgroup_id_x 1
		.amdhsa_system_sgpr_workgroup_id_y 1
		.amdhsa_system_sgpr_workgroup_id_z 1
		.amdhsa_system_sgpr_workgroup_info 0
		.amdhsa_system_vgpr_workitem_id 1
		.amdhsa_next_free_vgpr 78
		.amdhsa_next_free_sgpr 44
		.amdhsa_accum_offset 80
		.amdhsa_reserve_vcc 1
		.amdhsa_reserve_flat_scratch 0
		.amdhsa_float_round_mode_32 0
		.amdhsa_float_round_mode_16_64 0
		.amdhsa_float_denorm_mode_32 3
		.amdhsa_float_denorm_mode_16_64 3
		.amdhsa_dx10_clamp 1
		.amdhsa_ieee_mode 1
		.amdhsa_fp16_overflow 0
		.amdhsa_tg_split 0
		.amdhsa_exception_fp_ieee_invalid_op 0
		.amdhsa_exception_fp_denorm_src 0
		.amdhsa_exception_fp_ieee_div_zero 0
		.amdhsa_exception_fp_ieee_overflow 0
		.amdhsa_exception_fp_ieee_underflow 0
		.amdhsa_exception_fp_ieee_inexact 0
		.amdhsa_exception_int_div_zero 0
	.end_amdhsa_kernel
	.section	.text._ZL15flash_attn_tileILi128ELi128ELi1ELi8ELb1EEvPKcS1_S1_S1_S1_PKiPfP15HIP_vector_typeIfLj2EEffffjfiS5_IjLj3EEiiiiiiiiiiiliiliiiiil,"axG",@progbits,_ZL15flash_attn_tileILi128ELi128ELi1ELi8ELb1EEvPKcS1_S1_S1_S1_PKiPfP15HIP_vector_typeIfLj2EEffffjfiS5_IjLj3EEiiiiiiiiiiiliiliiiiil,comdat
.Lfunc_end74:
	.size	_ZL15flash_attn_tileILi128ELi128ELi1ELi8ELb1EEvPKcS1_S1_S1_S1_PKiPfP15HIP_vector_typeIfLj2EEffffjfiS5_IjLj3EEiiiiiiiiiiiliiliiiiil, .Lfunc_end74-_ZL15flash_attn_tileILi128ELi128ELi1ELi8ELb1EEvPKcS1_S1_S1_S1_PKiPfP15HIP_vector_typeIfLj2EEffffjfiS5_IjLj3EEiiiiiiiiiiiliiliiiiil
                                        ; -- End function
	.section	.AMDGPU.csdata,"",@progbits
; Kernel info:
; codeLenInByte = 6704
; NumSgprs: 48
; NumVgprs: 78
; NumAgprs: 0
; TotalNumVgprs: 78
; ScratchSize: 0
; MemoryBound: 0
; FloatMode: 240
; IeeeMode: 1
; LDSByteSize: 20480 bytes/workgroup (compile time only)
; SGPRBlocks: 5
; VGPRBlocks: 9
; NumSGPRsForWavesPerEU: 48
; NumVGPRsForWavesPerEU: 78
; AccumOffset: 80
; Occupancy: 3
; WaveLimiterHint : 1
; COMPUTE_PGM_RSRC2:SCRATCH_EN: 0
; COMPUTE_PGM_RSRC2:USER_SGPR: 6
; COMPUTE_PGM_RSRC2:TRAP_HANDLER: 0
; COMPUTE_PGM_RSRC2:TGID_X_EN: 1
; COMPUTE_PGM_RSRC2:TGID_Y_EN: 1
; COMPUTE_PGM_RSRC2:TGID_Z_EN: 1
; COMPUTE_PGM_RSRC2:TIDIG_COMP_CNT: 1
; COMPUTE_PGM_RSRC3_GFX90A:ACCUM_OFFSET: 19
; COMPUTE_PGM_RSRC3_GFX90A:TG_SPLIT: 0
	.section	.text._ZL15flash_attn_tileILi128ELi128ELi16ELi4ELb1EEvPKcS1_S1_S1_S1_PKiPfP15HIP_vector_typeIfLj2EEffffjfiS5_IjLj3EEiiiiiiiiiiiliiliiiiil,"axG",@progbits,_ZL15flash_attn_tileILi128ELi128ELi16ELi4ELb1EEvPKcS1_S1_S1_S1_PKiPfP15HIP_vector_typeIfLj2EEffffjfiS5_IjLj3EEiiiiiiiiiiiliiliiiiil,comdat
	.globl	_ZL15flash_attn_tileILi128ELi128ELi16ELi4ELb1EEvPKcS1_S1_S1_S1_PKiPfP15HIP_vector_typeIfLj2EEffffjfiS5_IjLj3EEiiiiiiiiiiiliiliiiiil ; -- Begin function _ZL15flash_attn_tileILi128ELi128ELi16ELi4ELb1EEvPKcS1_S1_S1_S1_PKiPfP15HIP_vector_typeIfLj2EEffffjfiS5_IjLj3EEiiiiiiiiiiiliiliiiiil
	.p2align	8
	.type	_ZL15flash_attn_tileILi128ELi128ELi16ELi4ELb1EEvPKcS1_S1_S1_S1_PKiPfP15HIP_vector_typeIfLj2EEffffjfiS5_IjLj3EEiiiiiiiiiiiliiliiiiil,@function
_ZL15flash_attn_tileILi128ELi128ELi16ELi4ELb1EEvPKcS1_S1_S1_S1_PKiPfP15HIP_vector_typeIfLj2EEffffjfiS5_IjLj3EEiiiiiiiiiiiliiliiiiil: ; @_ZL15flash_attn_tileILi128ELi128ELi16ELi4ELb1EEvPKcS1_S1_S1_S1_PKiPfP15HIP_vector_typeIfLj2EEffffjfiS5_IjLj3EEiiiiiiiiiiiliiliiiiil
; %bb.0:
	s_load_dwordx4 s[0:3], s[4:5], 0x5c
	s_load_dwordx2 s[30:31], s[4:5], 0x80
	s_load_dwordx2 s[36:37], s[4:5], 0xb8
	s_mov_b64 s[34:35], 0
	s_waitcnt lgkmcnt(0)
	s_ashr_i32 s9, s3, 31
	s_lshr_b32 s9, s9, 30
	s_add_i32 s9, s3, s9
	s_ashr_i32 s9, s9, 2
	v_cvt_f32_u32_e32 v1, s9
	s_sub_i32 s10, 0, s9
	v_rcp_iflag_f32_e32 v1, v1
	v_mul_f32_e32 v1, 0x4f7ffffe, v1
	v_cvt_u32_f32_e32 v1, v1
	v_readfirstlane_b32 s11, v1
	s_mul_i32 s10, s10, s11
	s_mul_hi_u32 s10, s11, s10
	s_add_i32 s11, s11, s10
	s_mul_hi_u32 s10, s8, s11
	s_mul_i32 s11, s10, s9
	s_sub_i32 s11, s8, s11
	s_add_i32 s12, s10, 1
	s_sub_i32 s13, s11, s9
	s_cmp_ge_u32 s11, s9
	s_cselect_b32 s10, s12, s10
	s_cselect_b32 s11, s13, s11
	s_add_i32 s12, s10, 1
	s_cmp_ge_u32 s11, s9
	s_cselect_b32 s33, s12, s10
	s_abs_i32 s9, s31
	v_cvt_f32_u32_e32 v1, s9
	s_lshl_b32 s8, s8, 2
	s_mul_i32 s12, s33, s3
	s_sub_i32 s13, 0, s9
	v_rcp_iflag_f32_e32 v1, v1
	s_sub_i32 s28, s8, s12
	s_abs_i32 s11, s3
	s_xor_b32 s10, s3, s31
	v_mul_f32_e32 v1, 0x4f7ffffe, v1
	v_cvt_u32_f32_e32 v1, v1
	s_ashr_i32 s10, s10, 31
	v_readfirstlane_b32 s8, v1
	s_mul_i32 s13, s13, s8
	s_mul_hi_u32 s12, s8, s13
	s_add_i32 s8, s8, s12
	s_mul_hi_u32 s8, s11, s8
	s_mul_i32 s12, s8, s9
	s_sub_i32 s11, s11, s12
	s_add_i32 s13, s8, 1
	s_sub_i32 s12, s11, s9
	s_cmp_ge_u32 s11, s9
	s_cselect_b32 s8, s13, s8
	s_cselect_b32 s11, s12, s11
	s_add_i32 s12, s8, 1
	s_cmp_ge_u32 s11, s9
	s_cselect_b32 s8, s12, s8
	s_xor_b32 s8, s8, s10
	s_sub_i32 s31, s8, s10
	s_abs_i32 s29, s31
	v_cvt_f32_u32_e32 v1, s29
	s_load_dwordx16 s[8:23], s[4:5], 0x0
	v_rcp_iflag_f32_e32 v1, v1
	s_waitcnt lgkmcnt(0)
	s_cmp_eq_u64 s[14:15], 0
	v_mul_f32_e32 v1, 0x4f7ffffe, v1
	v_cvt_u32_f32_e32 v1, v1
	v_readfirstlane_b32 s38, v1
	s_cbranch_scc1 .LBB75_2
; %bb.1:
	s_abs_i32 s26, s36
	v_cvt_f32_u32_e32 v1, s26
	s_sub_i32 s35, 0, s26
	s_abs_i32 s34, s33
	s_ashr_i32 s27, s33, 31
	v_rcp_iflag_f32_e32 v1, v1
	s_load_dwordx2 s[24:25], s[4:5], 0xc8
	v_mul_f32_e32 v1, 0x4f7ffffe, v1
	v_cvt_u32_f32_e32 v1, v1
	v_readfirstlane_b32 s36, v1
	s_mul_i32 s35, s35, s36
	s_mul_hi_u32 s35, s36, s35
	s_add_i32 s36, s36, s35
	s_mul_hi_u32 s35, s34, s36
	s_mul_i32 s35, s35, s26
	s_sub_i32 s34, s34, s35
	s_sub_i32 s35, s34, s26
	s_cmp_ge_u32 s34, s26
	s_cselect_b32 s34, s35, s34
	s_sub_i32 s35, s34, s26
	s_cmp_ge_u32 s34, s26
	s_cselect_b32 s26, s35, s34
	s_xor_b32 s26, s26, s27
	s_sub_i32 s26, s26, s27
	s_ashr_i32 s27, s26, 31
	s_waitcnt lgkmcnt(0)
	s_mul_i32 s25, s26, s25
	s_mul_hi_u32 s34, s26, s24
	s_add_i32 s25, s34, s25
	s_mul_i32 s27, s27, s24
	s_add_i32 s25, s25, s27
	s_mul_i32 s26, s26, s24
	s_add_u32 s34, s14, s26
	s_addc_u32 s35, s15, s25
.LBB75_2:
	s_load_dwordx4 s[24:27], s[4:5], 0x70
	v_bfe_u32 v17, v0, 10, 10
	s_lshl_b32 s14, s6, 4
	v_lshlrev_b32_e32 v37, 1, v17
	v_add_u32_e32 v39, s14, v37
	s_waitcnt lgkmcnt(0)
	s_mul_i32 s15, s33, s26
	s_ashr_i32 s27, s15, 31
	s_mul_i32 s26, s28, s25
	s_add_u32 s8, s8, s15
	v_and_b32_e32 v38, 0x3ff, v0
	v_mul_hi_u32 v0, v39, s0
	s_addc_u32 s9, s9, s27
	s_ashr_i32 s15, s26, 31
	v_add_u32_e32 v0, v39, v0
	s_add_u32 s36, s8, s26
	v_lshrrev_b32_e32 v0, s1, v0
	s_addc_u32 s15, s9, s15
	s_ashr_i32 s9, s25, 31
	s_mov_b32 s8, s25
	v_mul_lo_u32 v0, v0, s2
	s_lshr_b64 s[26:27], s[8:9], 2
	s_ashr_i32 s8, s24, 31
	v_sub_u32_e32 v18, v39, v0
	v_mov_b32_e32 v0, s24
	v_alignbit_b32 v35, s8, v0, 2
	v_mad_u64_u32 v[0:1], s[40:41], v35, v18, 0
	v_mov_b32_e32 v2, v1
	s_lshr_b32 s8, s8, 2
	v_mad_u64_u32 v[2:3], s[40:41], s8, v18, v[2:3]
	v_mov_b32_e32 v1, v2
	v_lshlrev_b64 v[8:9], 2, v[0:1]
	v_mov_b32_e32 v0, s15
	v_add_co_u32_e32 v1, vcc, s36, v8
	v_addc_co_u32_e32 v0, vcc, v0, v9, vcc
	v_lshlrev_b32_e32 v16, 4, v38
	s_and_b32 s24, s25, -4
	v_add_co_u32_e32 v10, vcc, v1, v16
	s_add_u32 s39, s36, s24
	v_addc_co_u32_e32 v11, vcc, 0, v0, vcc
	s_addc_u32 s40, s15, s9
	v_mov_b32_e32 v0, s40
	v_add_co_u32_e32 v1, vcc, s39, v8
	v_addc_co_u32_e32 v0, vcc, v0, v9, vcc
	s_lshl_b64 s[26:27], s[26:27], 3
	v_add_co_u32_e32 v12, vcc, v1, v16
	s_add_u32 s26, s36, s26
	v_addc_co_u32_e32 v13, vcc, 0, v0, vcc
	s_addc_u32 s27, s15, s27
	global_load_dwordx4 v[0:3], v[10:11], off
	global_load_dwordx4 v[4:7], v[12:13], off
	v_mov_b32_e32 v10, s27
	v_add_co_u32_e32 v11, vcc, s26, v8
	v_addc_co_u32_e32 v10, vcc, v10, v9, vcc
	v_add_co_u32_e32 v20, vcc, v11, v16
	v_addc_co_u32_e32 v21, vcc, 0, v10, vcc
	v_mov_b32_e32 v10, s25
	v_alignbit_b32 v10, s9, v10, 2
	s_lshr_b32 s9, s9, 2
	v_mul_lo_u32 v11, v10, 12
	v_mul_hi_u32 v10, v10, 12
	s_mul_i32 s9, s9, 12
	v_add_u32_e32 v10, s9, v10
	v_mov_b32_e32 v12, s15
	v_add_co_u32_e32 v48, vcc, s36, v11
	v_lshlrev_b32_e32 v19, 3, v17
	v_addc_co_u32_e32 v49, vcc, v12, v10, vcc
	v_add_co_u32_e32 v8, vcc, v48, v8
	v_or_b32_e32 v50, 4, v19
	v_addc_co_u32_e32 v9, vcc, v49, v9, vcc
	v_lshrrev_b32_e32 v34, 2, v50
	v_add_co_u32_e32 v22, vcc, v8, v16
	v_add_u32_e32 v36, s14, v34
	v_addc_co_u32_e32 v23, vcc, 0, v9, vcc
	global_load_dwordx4 v[8:11], v[20:21], off
	global_load_dwordx4 v[12:15], v[22:23], off
	v_mul_hi_u32 v20, v36, s0
	v_add_u32_e32 v20, v36, v20
	v_lshrrev_b32_e32 v20, s1, v20
	v_mul_lo_u32 v20, v20, s2
	v_sub_u32_e32 v23, v36, v20
	v_mad_u64_u32 v[20:21], s[24:25], v35, v23, 0
	v_mov_b32_e32 v22, v21
	v_mad_u64_u32 v[22:23], s[24:25], s8, v23, v[22:23]
	v_mov_b32_e32 v21, v22
	v_lshlrev_b64 v[20:21], 2, v[20:21]
	v_or_b32_e32 v51, 5, v19
	v_mov_b32_e32 v22, s15
	v_add_co_u32_e32 v20, vcc, s36, v20
	v_lshrrev_b32_e32 v32, 2, v51
	v_addc_co_u32_e32 v21, vcc, v22, v21, vcc
	v_add_u32_e32 v33, s14, v32
	v_add_co_u32_e32 v28, vcc, v20, v16
	v_mul_hi_u32 v20, v33, s0
	v_add_u32_e32 v20, v33, v20
	v_lshrrev_b32_e32 v20, s1, v20
	v_mul_lo_u32 v20, v20, s2
	v_sub_u32_e32 v23, v33, v20
	v_addc_co_u32_e32 v29, vcc, 0, v21, vcc
	v_mad_u64_u32 v[20:21], s[24:25], v35, v23, 0
	v_mov_b32_e32 v22, v21
	v_mad_u64_u32 v[22:23], s[24:25], s8, v23, v[22:23]
	v_mov_b32_e32 v21, v22
	v_lshlrev_b64 v[20:21], 2, v[20:21]
	v_mov_b32_e32 v22, s40
	v_add_co_u32_e32 v20, vcc, s39, v20
	v_addc_co_u32_e32 v21, vcc, v22, v21, vcc
	v_add_co_u32_e32 v30, vcc, v20, v16
	v_or_b32_e32 v52, 6, v19
	v_addc_co_u32_e32 v31, vcc, 0, v21, vcc
	global_load_dwordx4 v[20:23], v[28:29], off
	global_load_dwordx4 v[24:27], v[30:31], off
	v_lshrrev_b32_e32 v30, 2, v52
	v_add_u32_e32 v31, s14, v30
	v_mul_hi_u32 v28, v31, s0
	v_add_u32_e32 v28, v31, v28
	v_lshrrev_b32_e32 v28, s1, v28
	v_mul_lo_u32 v28, v28, s2
	v_sub_u32_e32 v41, v31, v28
	v_mad_u64_u32 v[28:29], s[24:25], v35, v41, 0
	v_mov_b32_e32 v40, v29
	v_mad_u64_u32 v[40:41], s[24:25], s8, v41, v[40:41]
	v_mov_b32_e32 v29, v40
	v_lshlrev_b64 v[28:29], 2, v[28:29]
	v_mov_b32_e32 v40, s27
	v_add_co_u32_e32 v28, vcc, s26, v28
	v_addc_co_u32_e32 v29, vcc, v40, v29, vcc
	v_add_co_u32_e32 v28, vcc, v28, v16
	v_addc_co_u32_e32 v29, vcc, 0, v29, vcc
	v_or_b32_e32 v53, 7, v19
	global_load_dwordx4 v[40:43], v[28:29], off
	v_lshrrev_b32_e32 v28, 2, v53
	v_add_u32_e32 v29, s14, v28
	v_mul_hi_u32 v44, v29, s0
	v_add_u32_e32 v44, v29, v44
	v_lshrrev_b32_e32 v44, s1, v44
	v_mul_lo_u32 v44, v44, s2
	v_sub_u32_e32 v47, v29, v44
	v_mad_u64_u32 v[44:45], s[24:25], v35, v47, 0
	v_mov_b32_e32 v46, v45
	v_mad_u64_u32 v[46:47], s[8:9], s8, v47, v[46:47]
	v_mov_b32_e32 v45, v46
	v_lshlrev_b64 v[44:45], 2, v[44:45]
	v_add_co_u32_e32 v35, vcc, v48, v44
	v_addc_co_u32_e32 v45, vcc, v49, v45, vcc
	v_add_co_u32_e32 v44, vcc, v35, v16
	v_addc_co_u32_e32 v45, vcc, 0, v45, vcc
	global_load_dwordx4 v[44:47], v[44:45], off
	s_load_dword s8, s[4:5], 0x40
	v_lshlrev_b32_e32 v35, 1, v38
	s_cmp_eq_u64 s[18:19], 0
	s_waitcnt vmcnt(7) lgkmcnt(0)
	v_pk_mul_f32 v[0:1], v[0:1], s[8:9] op_sel_hi:[1,0]
	v_cvt_f16_f32_e32 v48, v1
	v_cvt_f16_f32_e32 v49, v0
	v_pk_mul_f32 v[0:1], v[2:3], s[8:9] op_sel_hi:[1,0]
	v_cvt_f16_f32_e32 v55, v0
	v_lshlrev_b32_e32 v0, 3, v38
	v_cvt_f16_f32_e32 v54, v1
	v_lshl_or_b32 v56, v17, 11, v0
	s_waitcnt vmcnt(6)
	v_pk_mul_f32 v[0:1], v[4:5], s[8:9] op_sel_hi:[1,0]
	v_pk_mul_f32 v[2:3], v[6:7], s[8:9] op_sel_hi:[1,0]
	v_cvt_f16_f32_e32 v4, v1
	v_cvt_f16_f32_e32 v3, v3
	;; [unrolled: 1-line block ×4, first 2 shown]
	v_pack_b32_f16 v1, v55, v54
	v_pack_b32_f16 v0, v49, v48
	;; [unrolled: 1-line block ×4, first 2 shown]
	ds_write2_b64 v56, v[0:1], v[2:3] offset1:32
	s_waitcnt vmcnt(5)
	v_pk_mul_f32 v[0:1], v[8:9], s[8:9] op_sel_hi:[1,0]
	v_cvt_f16_f32_e32 v4, v1
	v_cvt_f16_f32_e32 v5, v0
	v_pk_mul_f32 v[0:1], v[10:11], s[8:9] op_sel_hi:[1,0]
	v_cvt_f16_f32_e32 v6, v1
	v_cvt_f16_f32_e32 v7, v0
	s_waitcnt vmcnt(4)
	v_pk_mul_f32 v[0:1], v[12:13], s[8:9] op_sel_hi:[1,0]
	v_pk_mul_f32 v[2:3], v[14:15], s[8:9] op_sel_hi:[1,0]
	v_cvt_f16_f32_e32 v8, v1
	v_cvt_f16_f32_e32 v3, v3
	;; [unrolled: 1-line block ×4, first 2 shown]
	v_pack_b32_f16 v1, v7, v6
	v_pack_b32_f16 v0, v5, v4
	;; [unrolled: 1-line block ×4, first 2 shown]
	ds_write2_b64 v56, v[0:1], v[2:3] offset0:64 offset1:96
	s_waitcnt vmcnt(3)
	v_pk_mul_f32 v[0:1], v[20:21], s[8:9] op_sel_hi:[1,0]
	v_pk_mul_f32 v[2:3], v[22:23], s[8:9] op_sel_hi:[1,0]
	v_cvt_f16_f32_e32 v4, v1
	v_cvt_f16_f32_e32 v1, v3
	v_cvt_f16_f32_e32 v2, v2
	v_cvt_f16_f32_e32 v0, v0
	v_lshlrev_b32_e32 v3, 6, v50
	v_add_lshl_u32 v3, v3, v35, 2
	v_pack_b32_f16 v1, v2, v1
	v_pack_b32_f16 v0, v0, v4
	ds_write_b64 v3, v[0:1]
	s_waitcnt vmcnt(2)
	v_pk_mul_f32 v[0:1], v[24:25], s[8:9] op_sel_hi:[1,0]
	v_pk_mul_f32 v[2:3], v[26:27], s[8:9] op_sel_hi:[1,0]
	v_cvt_f16_f32_e32 v4, v1
	v_cvt_f16_f32_e32 v1, v3
	v_cvt_f16_f32_e32 v2, v2
	v_cvt_f16_f32_e32 v0, v0
	v_lshlrev_b32_e32 v3, 6, v51
	v_add_lshl_u32 v3, v3, v35, 2
	v_pack_b32_f16 v1, v2, v1
	v_pack_b32_f16 v0, v0, v4
	ds_write_b64 v3, v[0:1]
	;; [unrolled: 12-line block ×4, first 2 shown]
	s_waitcnt lgkmcnt(0)
	s_barrier
	s_cbranch_scc1 .LBB75_4
; %bb.3:
	s_load_dword s8, s[4:5], 0xd0
	s_mov_b32 s9, 0
	s_waitcnt lgkmcnt(0)
	s_mul_i32 s8, s8, s33
	s_add_i32 s8, s8, s6
	s_lshl_b64 s[8:9], s[8:9], 2
	s_add_u32 s8, s18, s8
	s_addc_u32 s9, s19, s9
	s_load_dword s30, s[8:9], 0x0
.LBB75_4:
	s_lshl_b32 s6, s7, 6
	s_waitcnt lgkmcnt(0)
	s_cmp_lt_i32 s6, s30
	v_mbcnt_lo_u32_b32 v21, -1, 0
	s_cbranch_scc1 .LBB75_6
; %bb.5:
	v_mbcnt_hi_u32_b32 v40, -1, v21
	v_and_b32_e32 v0, 0x60, v40
	s_mov_b32 s15, 0
	v_add_u32_e32 v80, 32, v0
	v_xor_b32_e32 v82, 16, v40
	v_xor_b32_e32 v85, 8, v40
	;; [unrolled: 1-line block ×5, first 2 shown]
	s_mov_b64 s[8:9], 0
	s_mov_b32 s18, 0xfeffffff
	s_branch .LBB75_7
.LBB75_6:
	s_mov_b64 s[8:9], -1
                                        ; implicit-def: $sgpr18
                                        ; implicit-def: $sgpr15
                                        ; implicit-def: $vgpr40
                                        ; implicit-def: $vgpr80
                                        ; implicit-def: $vgpr82
                                        ; implicit-def: $vgpr85
                                        ; implicit-def: $vgpr84
                                        ; implicit-def: $vgpr83
                                        ; implicit-def: $vgpr81
.LBB75_7:
	v_lshlrev_b32_e32 v35, 2, v38
	s_andn2_b64 vcc, exec, s[8:9]
	v_mov_b32_e32 v7, s18
	v_mov_b32_e32 v9, s15
	;; [unrolled: 1-line block ×32, first 2 shown]
	s_cbranch_vccnz .LBB75_75
; %bb.8:
	s_sub_i32 s8, 0, s29
	s_mul_i32 s8, s8, s38
	s_mul_hi_u32 s8, s38, s8
	s_add_i32 s38, s38, s8
	s_load_dwordx4 s[24:27], s[4:5], 0x98
	s_load_dword s8, s[4:5], 0x54
	s_load_dwordx2 s[18:19], s[4:5], 0x8c
	s_abs_i32 s9, s28
	s_ashr_i32 s40, s28, 31
	s_waitcnt lgkmcnt(0)
	s_ashr_i32 s15, s26, 2
	s_ashr_i32 s26, s37, 1
	;; [unrolled: 1-line block ×3, first 2 shown]
	s_mul_i32 s25, s33, s25
	s_mul_hi_u32 s41, s33, s24
	s_add_i32 s25, s41, s25
	s_mul_i32 s41, s37, s24
	s_ashr_i32 s31, s31, 31
	s_ashr_i32 s18, s18, 2
	s_add_i32 s25, s25, s41
	s_mul_i32 s24, s33, s24
	s_mul_hi_u32 s36, s9, s38
	s_add_u32 s10, s10, s24
	s_addc_u32 s11, s11, s25
	s_mul_i32 s25, s36, s29
	s_sub_i32 s9, s9, s25
	s_xor_b32 s24, s40, s31
	s_add_i32 s25, s36, 1
	s_sub_i32 s31, s9, s29
	s_cmp_ge_u32 s9, s29
	s_cselect_b32 s25, s25, s36
	s_cselect_b32 s9, s31, s9
	s_add_i32 s31, s25, 1
	s_cmp_ge_u32 s9, s29
	s_cselect_b32 s9, s31, s25
	s_load_dwordx2 s[38:39], s[4:5], 0xa8
	s_xor_b32 s9, s9, s24
	s_sub_i32 s9, s9, s24
	s_mul_i32 s19, s9, s19
	s_ashr_i32 s24, s19, 31
	s_add_u32 s10, s10, s19
	s_addc_u32 s11, s11, s24
	s_waitcnt lgkmcnt(0)
	s_mul_i32 s19, s33, s39
	s_mul_hi_u32 s24, s33, s38
	s_add_i32 s19, s24, s19
	s_mul_i32 s37, s37, s38
	s_add_i32 s19, s19, s37
	s_mul_i32 s24, s33, s38
	v_lshrrev_b32_e32 v0, 2, v38
	s_add_u32 s12, s12, s24
	s_mul_i32 s9, s9, s27
	v_add_u32_e32 v0, v19, v0
	s_addc_u32 s13, s13, s19
	s_ashr_i32 s19, s9, 31
	v_and_b32_e32 v1, 12, v35
	v_mul_u32_u24_e32 v2, 0x50, v0
	v_mul_lo_u32 v0, s18, v0
	s_add_u32 s9, s12, s9
	v_lshlrev_b32_e32 v3, 2, v1
	v_ashrrev_i32_e32 v1, 31, v0
	s_addc_u32 s12, s13, s19
	s_movk_i32 s13, 0x6000
	v_lshlrev_b64 v[0:1], 2, v[0:1]
	v_add3_u32 v41, v2, v3, s13
	v_mov_b32_e32 v2, s11
	v_add_co_u32_e32 v0, vcc, s10, v0
	v_addc_co_u32_e32 v1, vcc, v2, v1, vcc
	v_add_co_u32_e32 v42, vcc, v0, v3
	v_add3_u32 v0, s14, v37, 1
	v_addc_co_u32_e32 v43, vcc, 0, v1, vcc
	v_mul_hi_u32 v1, s0, v0
	v_add_u32_e32 v1, v0, v1
	v_lshrrev_b32_e32 v1, s1, v1
	v_mul_lo_u32 v1, v1, s2
	v_sub_u32_e32 v0, v0, v1
	v_mul_lo_u32 v47, v0, s26
	v_mov_b32_e32 v0, 0x4000
	v_lshl_add_u32 v48, v17, 10, v0
	v_lshrrev_b32_e32 v0, 4, v38
	v_and_b32_e32 v1, 60, v35
	v_add_u32_e32 v0, v37, v0
	v_lshlrev_b32_e32 v2, 2, v1
	v_lshl_or_b32 v1, v0, 8, v2
	v_mul_lo_u32 v0, s15, v0
	v_add_u32_e32 v49, 0x6000, v1
	v_ashrrev_i32_e32 v1, 31, v0
	v_lshlrev_b64 v[0:1], 2, v[0:1]
	v_mov_b32_e32 v3, s12
	v_add_co_u32_e32 v0, vcc, s9, v0
	v_addc_co_u32_e32 v1, vcc, v3, v1, vcc
	v_add_co_u32_e32 v50, vcc, v0, v2
	v_mov_b32_e32 v0, 0x6000
	s_add_u32 s0, s4, 0xd0
	v_mov_b32_e32 v20, 0xfeffffff
	v_mov_b32_e32 v12, 0
	v_mul_u32_u24_e32 v44, 0x50, v38
	v_lshlrev_b32_e32 v45, 11, v17
	v_mul_lo_u32 v46, v18, s26
	v_addc_co_u32_e32 v51, vcc, 0, v1, vcc
	v_lshl_or_b32 v52, v38, 3, v0
	s_addc_u32 s1, s5, 0
	s_mov_b32 s9, s8
	v_mov_b32_e32 v62, 0
	s_mov_b32 s12, 0x3f200000
	s_mov_b32 s13, 0x3fb8aa3b
	;; [unrolled: 1-line block ×4, first 2 shown]
	v_mov_b32_e32 v53, 0xbd5c1c4e
	v_mov_b32_e32 v54, 0x3e088382
	;; [unrolled: 1-line block ×3, first 2 shown]
	s_brev_b32 s25, -2
	v_mbcnt_hi_u32_b32 v40, -1, v21
	v_add_u32_e32 v56, v48, v16
	v_mov_b32_e32 v57, 0x7f800000
	v_mov_b32_e32 v63, 0
	;; [unrolled: 1-line block ×30, first 2 shown]
.LBB75_9:                               ; =>This Inner Loop Header: Depth=1
	s_mul_hi_i32 s11, s6, s18
	s_mul_i32 s10, s6, s18
	s_lshl_b64 s[10:11], s[10:11], 2
	v_mov_b32_e32 v3, s11
	v_add_co_u32_e32 v2, vcc, s10, v42
	v_addc_co_u32_e32 v3, vcc, v43, v3, vcc
	global_load_dwordx4 v[80:83], v[2:3], off
	v_mov_b32_e32 v4, 0
	v_mov_b32_e32 v5, 0
	;; [unrolled: 1-line block ×16, first 2 shown]
	s_waitcnt vmcnt(0)
	ds_write_b128 v41, v[80:83]
	s_waitcnt lgkmcnt(0)
	s_barrier
	ds_read_b128 v[80:83], v44 offset:24576
	ds_read_b128 v[84:87], v44 offset:27136
	ds_read_b128 v[88:91], v45
	ds_read_b128 v[92:95], v45 offset:256
	ds_read_b128 v[96:99], v45 offset:512
	;; [unrolled: 1-line block ×7, first 2 shown]
	s_waitcnt lgkmcnt(7)
	;;#ASMSTART
	v_dot2_f32_f16 v4, v80, v88, v4
	;;#ASMEND
	;;#ASMSTART
	v_dot2_f32_f16 v4, v81, v89, v4
	;;#ASMEND
	;;#ASMSTART
	v_dot2_f32_f16 v4, v82, v90, v4
	;;#ASMEND
	;;#ASMSTART
	v_dot2_f32_f16 v4, v83, v91, v4
	;;#ASMEND
	s_waitcnt lgkmcnt(6)
	;;#ASMSTART
	v_dot2_f32_f16 v5, v80, v92, v5
	;;#ASMEND
	;;#ASMSTART
	v_dot2_f32_f16 v5, v81, v93, v5
	;;#ASMEND
	;;#ASMSTART
	v_dot2_f32_f16 v5, v82, v94, v5
	;;#ASMEND
	;;#ASMSTART
	v_dot2_f32_f16 v5, v83, v95, v5
	;;#ASMEND
	;; [unrolled: 13-line block ×8, first 2 shown]
	;;#ASMSTART
	v_dot2_f32_f16 v23, v84, v88, v23
	;;#ASMEND
	;;#ASMSTART
	v_dot2_f32_f16 v23, v85, v89, v23
	;;#ASMEND
	;; [unrolled: 3-line block ×32, first 2 shown]
	ds_read_b128 v[80:83], v44 offset:24592
	ds_read_b128 v[84:87], v44 offset:27152
	;; [unrolled: 1-line block ×10, first 2 shown]
	s_waitcnt lgkmcnt(7)
	;;#ASMSTART
	v_dot2_f32_f16 v4, v80, v88, v4
	;;#ASMEND
	;;#ASMSTART
	v_dot2_f32_f16 v4, v81, v89, v4
	;;#ASMEND
	;;#ASMSTART
	v_dot2_f32_f16 v4, v82, v90, v4
	;;#ASMEND
	;;#ASMSTART
	v_dot2_f32_f16 v4, v83, v91, v4
	;;#ASMEND
	s_waitcnt lgkmcnt(6)
	;;#ASMSTART
	v_dot2_f32_f16 v5, v80, v92, v5
	;;#ASMEND
	;;#ASMSTART
	v_dot2_f32_f16 v5, v81, v93, v5
	;;#ASMEND
	;;#ASMSTART
	v_dot2_f32_f16 v5, v82, v94, v5
	;;#ASMEND
	;;#ASMSTART
	v_dot2_f32_f16 v5, v83, v95, v5
	;;#ASMEND
	;; [unrolled: 13-line block ×8, first 2 shown]
	;;#ASMSTART
	v_dot2_f32_f16 v23, v84, v88, v23
	;;#ASMEND
	;;#ASMSTART
	v_dot2_f32_f16 v23, v85, v89, v23
	;;#ASMEND
	;; [unrolled: 3-line block ×32, first 2 shown]
	ds_read_b128 v[80:83], v44 offset:24608
	ds_read_b128 v[84:87], v44 offset:27168
	;; [unrolled: 1-line block ×10, first 2 shown]
	s_waitcnt lgkmcnt(7)
	;;#ASMSTART
	v_dot2_f32_f16 v4, v80, v88, v4
	;;#ASMEND
	;;#ASMSTART
	v_dot2_f32_f16 v4, v81, v89, v4
	;;#ASMEND
	;;#ASMSTART
	v_dot2_f32_f16 v4, v82, v90, v4
	;;#ASMEND
	;;#ASMSTART
	v_dot2_f32_f16 v4, v83, v91, v4
	;;#ASMEND
	s_waitcnt lgkmcnt(6)
	;;#ASMSTART
	v_dot2_f32_f16 v5, v80, v92, v5
	;;#ASMEND
	;;#ASMSTART
	v_dot2_f32_f16 v5, v81, v93, v5
	;;#ASMEND
	;;#ASMSTART
	v_dot2_f32_f16 v5, v82, v94, v5
	;;#ASMEND
	;;#ASMSTART
	v_dot2_f32_f16 v5, v83, v95, v5
	;;#ASMEND
	;; [unrolled: 13-line block ×8, first 2 shown]
	;;#ASMSTART
	v_dot2_f32_f16 v23, v84, v88, v23
	;;#ASMEND
	;;#ASMSTART
	v_dot2_f32_f16 v23, v85, v89, v23
	;;#ASMEND
	;; [unrolled: 3-line block ×32, first 2 shown]
	ds_read_b128 v[80:83], v44 offset:24624
	ds_read_b128 v[84:87], v44 offset:27184
	;; [unrolled: 1-line block ×10, first 2 shown]
	s_waitcnt lgkmcnt(7)
	;;#ASMSTART
	v_dot2_f32_f16 v4, v80, v88, v4
	;;#ASMEND
	;;#ASMSTART
	v_dot2_f32_f16 v4, v81, v89, v4
	;;#ASMEND
	;;#ASMSTART
	v_dot2_f32_f16 v4, v82, v90, v4
	;;#ASMEND
	;;#ASMSTART
	v_dot2_f32_f16 v4, v83, v91, v4
	;;#ASMEND
	s_waitcnt lgkmcnt(6)
	;;#ASMSTART
	v_dot2_f32_f16 v5, v80, v92, v5
	;;#ASMEND
	;;#ASMSTART
	v_dot2_f32_f16 v5, v81, v93, v5
	;;#ASMEND
	;;#ASMSTART
	v_dot2_f32_f16 v5, v82, v94, v5
	;;#ASMEND
	;;#ASMSTART
	v_dot2_f32_f16 v5, v83, v95, v5
	;;#ASMEND
	;; [unrolled: 13-line block ×8, first 2 shown]
	;;#ASMSTART
	v_dot2_f32_f16 v23, v84, v88, v23
	;;#ASMEND
	;;#ASMSTART
	v_dot2_f32_f16 v23, v85, v89, v23
	;;#ASMEND
	;; [unrolled: 3-line block ×32, first 2 shown]
	s_barrier
	global_load_dwordx4 v[80:83], v[2:3], off offset:64
	s_waitcnt vmcnt(0)
	ds_write_b128 v41, v[80:83]
	s_waitcnt lgkmcnt(0)
	s_barrier
	ds_read_b128 v[80:83], v44 offset:24576
	ds_read_b128 v[84:87], v44 offset:27136
	;; [unrolled: 1-line block ×10, first 2 shown]
	s_waitcnt lgkmcnt(7)
	;;#ASMSTART
	v_dot2_f32_f16 v4, v80, v88, v4
	;;#ASMEND
	;;#ASMSTART
	v_dot2_f32_f16 v4, v81, v89, v4
	;;#ASMEND
	;;#ASMSTART
	v_dot2_f32_f16 v4, v82, v90, v4
	;;#ASMEND
	;;#ASMSTART
	v_dot2_f32_f16 v4, v83, v91, v4
	;;#ASMEND
	s_waitcnt lgkmcnt(6)
	;;#ASMSTART
	v_dot2_f32_f16 v5, v80, v92, v5
	;;#ASMEND
	;;#ASMSTART
	v_dot2_f32_f16 v5, v81, v93, v5
	;;#ASMEND
	;;#ASMSTART
	v_dot2_f32_f16 v5, v82, v94, v5
	;;#ASMEND
	;;#ASMSTART
	v_dot2_f32_f16 v5, v83, v95, v5
	;;#ASMEND
	;; [unrolled: 13-line block ×8, first 2 shown]
	;;#ASMSTART
	v_dot2_f32_f16 v23, v84, v88, v23
	;;#ASMEND
	;;#ASMSTART
	v_dot2_f32_f16 v23, v85, v89, v23
	;;#ASMEND
	;; [unrolled: 3-line block ×32, first 2 shown]
	ds_read_b128 v[80:83], v44 offset:24592
	ds_read_b128 v[84:87], v44 offset:27152
	;; [unrolled: 1-line block ×10, first 2 shown]
	s_waitcnt lgkmcnt(7)
	;;#ASMSTART
	v_dot2_f32_f16 v4, v80, v88, v4
	;;#ASMEND
	;;#ASMSTART
	v_dot2_f32_f16 v4, v81, v89, v4
	;;#ASMEND
	;;#ASMSTART
	v_dot2_f32_f16 v4, v82, v90, v4
	;;#ASMEND
	;;#ASMSTART
	v_dot2_f32_f16 v4, v83, v91, v4
	;;#ASMEND
	s_waitcnt lgkmcnt(6)
	;;#ASMSTART
	v_dot2_f32_f16 v5, v80, v92, v5
	;;#ASMEND
	;;#ASMSTART
	v_dot2_f32_f16 v5, v81, v93, v5
	;;#ASMEND
	;;#ASMSTART
	v_dot2_f32_f16 v5, v82, v94, v5
	;;#ASMEND
	;;#ASMSTART
	v_dot2_f32_f16 v5, v83, v95, v5
	;;#ASMEND
	;; [unrolled: 13-line block ×8, first 2 shown]
	;;#ASMSTART
	v_dot2_f32_f16 v23, v84, v88, v23
	;;#ASMEND
	;;#ASMSTART
	v_dot2_f32_f16 v23, v85, v89, v23
	;;#ASMEND
	;; [unrolled: 3-line block ×32, first 2 shown]
	ds_read_b128 v[80:83], v44 offset:24608
	ds_read_b128 v[84:87], v44 offset:27168
	;; [unrolled: 1-line block ×10, first 2 shown]
	s_waitcnt lgkmcnt(7)
	;;#ASMSTART
	v_dot2_f32_f16 v4, v80, v88, v4
	;;#ASMEND
	;;#ASMSTART
	v_dot2_f32_f16 v4, v81, v89, v4
	;;#ASMEND
	;;#ASMSTART
	v_dot2_f32_f16 v4, v82, v90, v4
	;;#ASMEND
	;;#ASMSTART
	v_dot2_f32_f16 v4, v83, v91, v4
	;;#ASMEND
	s_waitcnt lgkmcnt(6)
	;;#ASMSTART
	v_dot2_f32_f16 v5, v80, v92, v5
	;;#ASMEND
	;;#ASMSTART
	v_dot2_f32_f16 v5, v81, v93, v5
	;;#ASMEND
	;;#ASMSTART
	v_dot2_f32_f16 v5, v82, v94, v5
	;;#ASMEND
	;;#ASMSTART
	v_dot2_f32_f16 v5, v83, v95, v5
	;;#ASMEND
	;; [unrolled: 13-line block ×8, first 2 shown]
	;;#ASMSTART
	v_dot2_f32_f16 v23, v84, v88, v23
	;;#ASMEND
	;;#ASMSTART
	v_dot2_f32_f16 v23, v85, v89, v23
	;;#ASMEND
	;; [unrolled: 3-line block ×32, first 2 shown]
	ds_read_b128 v[80:83], v44 offset:24624
	ds_read_b128 v[84:87], v44 offset:27184
	;; [unrolled: 1-line block ×10, first 2 shown]
	s_waitcnt lgkmcnt(7)
	;;#ASMSTART
	v_dot2_f32_f16 v4, v80, v88, v4
	;;#ASMEND
	;;#ASMSTART
	v_dot2_f32_f16 v4, v81, v89, v4
	;;#ASMEND
	;;#ASMSTART
	v_dot2_f32_f16 v4, v82, v90, v4
	;;#ASMEND
	;;#ASMSTART
	v_dot2_f32_f16 v4, v83, v91, v4
	;;#ASMEND
	s_waitcnt lgkmcnt(6)
	;;#ASMSTART
	v_dot2_f32_f16 v5, v80, v92, v5
	;;#ASMEND
	;;#ASMSTART
	v_dot2_f32_f16 v5, v81, v93, v5
	;;#ASMEND
	;;#ASMSTART
	v_dot2_f32_f16 v5, v82, v94, v5
	;;#ASMEND
	;;#ASMSTART
	v_dot2_f32_f16 v5, v83, v95, v5
	;;#ASMEND
	s_waitcnt lgkmcnt(5)
	;;#ASMSTART
	v_dot2_f32_f16 v22, v80, v96, v22
	;;#ASMEND
	;;#ASMSTART
	v_dot2_f32_f16 v22, v81, v97, v22
	;;#ASMEND
	;;#ASMSTART
	v_dot2_f32_f16 v22, v82, v98, v22
	;;#ASMEND
	;;#ASMSTART
	v_dot2_f32_f16 v22, v83, v99, v22
	;;#ASMEND
	s_waitcnt lgkmcnt(4)
	;;#ASMSTART
	v_dot2_f32_f16 v26, v80, v100, v26
	;;#ASMEND
	;;#ASMSTART
	v_dot2_f32_f16 v26, v81, v101, v26
	;;#ASMEND
	;;#ASMSTART
	v_dot2_f32_f16 v26, v82, v102, v26
	;;#ASMEND
	;;#ASMSTART
	v_dot2_f32_f16 v26, v83, v103, v26
	;;#ASMEND
	s_waitcnt lgkmcnt(3)
	;;#ASMSTART
	v_dot2_f32_f16 v24, v80, v104, v24
	;;#ASMEND
	;;#ASMSTART
	v_dot2_f32_f16 v24, v81, v105, v24
	;;#ASMEND
	;;#ASMSTART
	v_dot2_f32_f16 v24, v82, v106, v24
	;;#ASMEND
	;;#ASMSTART
	v_dot2_f32_f16 v24, v83, v107, v24
	;;#ASMEND
	s_waitcnt lgkmcnt(2)
	;;#ASMSTART
	v_dot2_f32_f16 v25, v80, v108, v25
	;;#ASMEND
	;;#ASMSTART
	v_dot2_f32_f16 v25, v81, v109, v25
	;;#ASMEND
	;;#ASMSTART
	v_dot2_f32_f16 v25, v82, v110, v25
	;;#ASMEND
	;;#ASMSTART
	v_dot2_f32_f16 v25, v83, v111, v25
	;;#ASMEND
	s_waitcnt lgkmcnt(1)
	;;#ASMSTART
	v_dot2_f32_f16 v74, v80, v112, v74
	;;#ASMEND
	;;#ASMSTART
	v_dot2_f32_f16 v74, v81, v113, v74
	;;#ASMEND
	;;#ASMSTART
	v_dot2_f32_f16 v74, v82, v114, v74
	;;#ASMEND
	;;#ASMSTART
	v_dot2_f32_f16 v74, v83, v115, v74
	;;#ASMEND
	s_waitcnt lgkmcnt(0)
	;;#ASMSTART
	v_dot2_f32_f16 v6, v80, v116, v6
	;;#ASMEND
	;;#ASMSTART
	v_dot2_f32_f16 v6, v81, v117, v6
	;;#ASMEND
	;;#ASMSTART
	v_dot2_f32_f16 v6, v82, v118, v6
	;;#ASMEND
	;;#ASMSTART
	v_dot2_f32_f16 v6, v83, v119, v6
	;;#ASMEND
	;;#ASMSTART
	v_dot2_f32_f16 v23, v84, v88, v23
	;;#ASMEND
	;;#ASMSTART
	v_dot2_f32_f16 v23, v85, v89, v23
	;;#ASMEND
	;; [unrolled: 3-line block ×32, first 2 shown]
	s_barrier
	global_load_dwordx4 v[80:83], v[2:3], off offset:128
	s_waitcnt vmcnt(0)
	ds_write_b128 v41, v[80:83]
	s_waitcnt lgkmcnt(0)
	s_barrier
	ds_read_b128 v[80:83], v44 offset:24576
	ds_read_b128 v[84:87], v44 offset:27136
	;; [unrolled: 1-line block ×10, first 2 shown]
	s_waitcnt lgkmcnt(7)
	;;#ASMSTART
	v_dot2_f32_f16 v4, v80, v88, v4
	;;#ASMEND
	;;#ASMSTART
	v_dot2_f32_f16 v4, v81, v89, v4
	;;#ASMEND
	;;#ASMSTART
	v_dot2_f32_f16 v4, v82, v90, v4
	;;#ASMEND
	;;#ASMSTART
	v_dot2_f32_f16 v4, v83, v91, v4
	;;#ASMEND
	s_waitcnt lgkmcnt(6)
	;;#ASMSTART
	v_dot2_f32_f16 v5, v80, v92, v5
	;;#ASMEND
	;;#ASMSTART
	v_dot2_f32_f16 v5, v81, v93, v5
	;;#ASMEND
	;;#ASMSTART
	v_dot2_f32_f16 v5, v82, v94, v5
	;;#ASMEND
	;;#ASMSTART
	v_dot2_f32_f16 v5, v83, v95, v5
	;;#ASMEND
	;; [unrolled: 13-line block ×8, first 2 shown]
	;;#ASMSTART
	v_dot2_f32_f16 v23, v84, v88, v23
	;;#ASMEND
	;;#ASMSTART
	v_dot2_f32_f16 v23, v85, v89, v23
	;;#ASMEND
	;; [unrolled: 3-line block ×32, first 2 shown]
	ds_read_b128 v[80:83], v44 offset:24592
	ds_read_b128 v[84:87], v44 offset:27152
	;; [unrolled: 1-line block ×10, first 2 shown]
	s_waitcnt lgkmcnt(7)
	;;#ASMSTART
	v_dot2_f32_f16 v4, v80, v88, v4
	;;#ASMEND
	;;#ASMSTART
	v_dot2_f32_f16 v4, v81, v89, v4
	;;#ASMEND
	;;#ASMSTART
	v_dot2_f32_f16 v4, v82, v90, v4
	;;#ASMEND
	;;#ASMSTART
	v_dot2_f32_f16 v4, v83, v91, v4
	;;#ASMEND
	s_waitcnt lgkmcnt(6)
	;;#ASMSTART
	v_dot2_f32_f16 v5, v80, v92, v5
	;;#ASMEND
	;;#ASMSTART
	v_dot2_f32_f16 v5, v81, v93, v5
	;;#ASMEND
	;;#ASMSTART
	v_dot2_f32_f16 v5, v82, v94, v5
	;;#ASMEND
	;;#ASMSTART
	v_dot2_f32_f16 v5, v83, v95, v5
	;;#ASMEND
	s_waitcnt lgkmcnt(5)
	;;#ASMSTART
	v_dot2_f32_f16 v22, v80, v96, v22
	;;#ASMEND
	;;#ASMSTART
	v_dot2_f32_f16 v22, v81, v97, v22
	;;#ASMEND
	;;#ASMSTART
	v_dot2_f32_f16 v22, v82, v98, v22
	;;#ASMEND
	;;#ASMSTART
	v_dot2_f32_f16 v22, v83, v99, v22
	;;#ASMEND
	s_waitcnt lgkmcnt(4)
	;;#ASMSTART
	v_dot2_f32_f16 v26, v80, v100, v26
	;;#ASMEND
	;;#ASMSTART
	v_dot2_f32_f16 v26, v81, v101, v26
	;;#ASMEND
	;;#ASMSTART
	v_dot2_f32_f16 v26, v82, v102, v26
	;;#ASMEND
	;;#ASMSTART
	v_dot2_f32_f16 v26, v83, v103, v26
	;;#ASMEND
	s_waitcnt lgkmcnt(3)
	;;#ASMSTART
	v_dot2_f32_f16 v24, v80, v104, v24
	;;#ASMEND
	;;#ASMSTART
	v_dot2_f32_f16 v24, v81, v105, v24
	;;#ASMEND
	;;#ASMSTART
	v_dot2_f32_f16 v24, v82, v106, v24
	;;#ASMEND
	;;#ASMSTART
	v_dot2_f32_f16 v24, v83, v107, v24
	;;#ASMEND
	s_waitcnt lgkmcnt(2)
	;;#ASMSTART
	v_dot2_f32_f16 v25, v80, v108, v25
	;;#ASMEND
	;;#ASMSTART
	v_dot2_f32_f16 v25, v81, v109, v25
	;;#ASMEND
	;;#ASMSTART
	v_dot2_f32_f16 v25, v82, v110, v25
	;;#ASMEND
	;;#ASMSTART
	v_dot2_f32_f16 v25, v83, v111, v25
	;;#ASMEND
	s_waitcnt lgkmcnt(1)
	;;#ASMSTART
	v_dot2_f32_f16 v74, v80, v112, v74
	;;#ASMEND
	;;#ASMSTART
	v_dot2_f32_f16 v74, v81, v113, v74
	;;#ASMEND
	;;#ASMSTART
	v_dot2_f32_f16 v74, v82, v114, v74
	;;#ASMEND
	;;#ASMSTART
	v_dot2_f32_f16 v74, v83, v115, v74
	;;#ASMEND
	s_waitcnt lgkmcnt(0)
	;;#ASMSTART
	v_dot2_f32_f16 v6, v80, v116, v6
	;;#ASMEND
	;;#ASMSTART
	v_dot2_f32_f16 v6, v81, v117, v6
	;;#ASMEND
	;;#ASMSTART
	v_dot2_f32_f16 v6, v82, v118, v6
	;;#ASMEND
	;;#ASMSTART
	v_dot2_f32_f16 v6, v83, v119, v6
	;;#ASMEND
	;;#ASMSTART
	v_dot2_f32_f16 v23, v84, v88, v23
	;;#ASMEND
	;;#ASMSTART
	v_dot2_f32_f16 v23, v85, v89, v23
	;;#ASMEND
	;; [unrolled: 3-line block ×32, first 2 shown]
	ds_read_b128 v[80:83], v44 offset:24608
	ds_read_b128 v[84:87], v44 offset:27168
	;; [unrolled: 1-line block ×10, first 2 shown]
	s_waitcnt lgkmcnt(7)
	;;#ASMSTART
	v_dot2_f32_f16 v4, v80, v88, v4
	;;#ASMEND
	;;#ASMSTART
	v_dot2_f32_f16 v4, v81, v89, v4
	;;#ASMEND
	;;#ASMSTART
	v_dot2_f32_f16 v4, v82, v90, v4
	;;#ASMEND
	;;#ASMSTART
	v_dot2_f32_f16 v4, v83, v91, v4
	;;#ASMEND
	s_waitcnt lgkmcnt(6)
	;;#ASMSTART
	v_dot2_f32_f16 v5, v80, v92, v5
	;;#ASMEND
	;;#ASMSTART
	v_dot2_f32_f16 v5, v81, v93, v5
	;;#ASMEND
	;;#ASMSTART
	v_dot2_f32_f16 v5, v82, v94, v5
	;;#ASMEND
	;;#ASMSTART
	v_dot2_f32_f16 v5, v83, v95, v5
	;;#ASMEND
	;; [unrolled: 13-line block ×8, first 2 shown]
	;;#ASMSTART
	v_dot2_f32_f16 v23, v84, v88, v23
	;;#ASMEND
	;;#ASMSTART
	v_dot2_f32_f16 v23, v85, v89, v23
	;;#ASMEND
	;; [unrolled: 3-line block ×32, first 2 shown]
	ds_read_b128 v[80:83], v44 offset:24624
	ds_read_b128 v[84:87], v44 offset:27184
	ds_read_b128 v[88:91], v45 offset:176
	ds_read_b128 v[92:95], v45 offset:432
	ds_read_b128 v[96:99], v45 offset:688
	ds_read_b128 v[100:103], v45 offset:944
	ds_read_b128 v[104:107], v45 offset:1200
	ds_read_b128 v[108:111], v45 offset:1456
	ds_read_b128 v[112:115], v45 offset:1712
	ds_read_b128 v[116:119], v45 offset:1968
	s_waitcnt lgkmcnt(7)
	;;#ASMSTART
	v_dot2_f32_f16 v4, v80, v88, v4
	;;#ASMEND
	;;#ASMSTART
	v_dot2_f32_f16 v4, v81, v89, v4
	;;#ASMEND
	;;#ASMSTART
	v_dot2_f32_f16 v4, v82, v90, v4
	;;#ASMEND
	;;#ASMSTART
	v_dot2_f32_f16 v4, v83, v91, v4
	;;#ASMEND
	s_waitcnt lgkmcnt(6)
	;;#ASMSTART
	v_dot2_f32_f16 v5, v80, v92, v5
	;;#ASMEND
	;;#ASMSTART
	v_dot2_f32_f16 v5, v81, v93, v5
	;;#ASMEND
	;;#ASMSTART
	v_dot2_f32_f16 v5, v82, v94, v5
	;;#ASMEND
	;;#ASMSTART
	v_dot2_f32_f16 v5, v83, v95, v5
	;;#ASMEND
	;; [unrolled: 13-line block ×8, first 2 shown]
	;;#ASMSTART
	v_dot2_f32_f16 v23, v84, v88, v23
	;;#ASMEND
	;;#ASMSTART
	v_dot2_f32_f16 v23, v85, v89, v23
	;;#ASMEND
	;; [unrolled: 3-line block ×32, first 2 shown]
	s_barrier
	global_load_dwordx4 v[80:83], v[2:3], off offset:192
	s_waitcnt vmcnt(0)
	ds_write_b128 v41, v[80:83]
	s_waitcnt lgkmcnt(0)
	s_barrier
	ds_read_b128 v[80:83], v44 offset:24576
	ds_read_b128 v[84:87], v44 offset:27136
	;; [unrolled: 1-line block ×10, first 2 shown]
	s_waitcnt lgkmcnt(7)
	;;#ASMSTART
	v_dot2_f32_f16 v4, v80, v88, v4
	;;#ASMEND
	;;#ASMSTART
	v_dot2_f32_f16 v4, v81, v89, v4
	;;#ASMEND
	;;#ASMSTART
	v_dot2_f32_f16 v4, v82, v90, v4
	;;#ASMEND
	;;#ASMSTART
	v_dot2_f32_f16 v4, v83, v91, v4
	;;#ASMEND
	s_waitcnt lgkmcnt(6)
	;;#ASMSTART
	v_dot2_f32_f16 v5, v80, v92, v5
	;;#ASMEND
	;;#ASMSTART
	v_dot2_f32_f16 v5, v81, v93, v5
	;;#ASMEND
	;;#ASMSTART
	v_dot2_f32_f16 v5, v82, v94, v5
	;;#ASMEND
	;;#ASMSTART
	v_dot2_f32_f16 v5, v83, v95, v5
	;;#ASMEND
	;; [unrolled: 13-line block ×8, first 2 shown]
	;;#ASMSTART
	v_dot2_f32_f16 v23, v84, v88, v23
	;;#ASMEND
	;;#ASMSTART
	v_dot2_f32_f16 v23, v85, v89, v23
	;;#ASMEND
	;; [unrolled: 3-line block ×32, first 2 shown]
	ds_read_b128 v[80:83], v44 offset:24592
	ds_read_b128 v[84:87], v44 offset:27152
	;; [unrolled: 1-line block ×10, first 2 shown]
	s_waitcnt lgkmcnt(7)
	;;#ASMSTART
	v_dot2_f32_f16 v4, v80, v88, v4
	;;#ASMEND
	;;#ASMSTART
	v_dot2_f32_f16 v4, v81, v89, v4
	;;#ASMEND
	;;#ASMSTART
	v_dot2_f32_f16 v4, v82, v90, v4
	;;#ASMEND
	;;#ASMSTART
	v_dot2_f32_f16 v4, v83, v91, v4
	;;#ASMEND
	s_waitcnt lgkmcnt(6)
	;;#ASMSTART
	v_dot2_f32_f16 v5, v80, v92, v5
	;;#ASMEND
	;;#ASMSTART
	v_dot2_f32_f16 v5, v81, v93, v5
	;;#ASMEND
	;;#ASMSTART
	v_dot2_f32_f16 v5, v82, v94, v5
	;;#ASMEND
	;;#ASMSTART
	v_dot2_f32_f16 v5, v83, v95, v5
	;;#ASMEND
	;; [unrolled: 13-line block ×8, first 2 shown]
	;;#ASMSTART
	v_dot2_f32_f16 v23, v84, v88, v23
	;;#ASMEND
	;;#ASMSTART
	v_dot2_f32_f16 v23, v85, v89, v23
	;;#ASMEND
	;; [unrolled: 3-line block ×32, first 2 shown]
	ds_read_b128 v[80:83], v44 offset:24608
	ds_read_b128 v[84:87], v44 offset:27168
	;; [unrolled: 1-line block ×10, first 2 shown]
	s_waitcnt lgkmcnt(7)
	;;#ASMSTART
	v_dot2_f32_f16 v4, v80, v88, v4
	;;#ASMEND
	;;#ASMSTART
	v_dot2_f32_f16 v4, v81, v89, v4
	;;#ASMEND
	;;#ASMSTART
	v_dot2_f32_f16 v4, v82, v90, v4
	;;#ASMEND
	;;#ASMSTART
	v_dot2_f32_f16 v4, v83, v91, v4
	;;#ASMEND
	s_waitcnt lgkmcnt(6)
	;;#ASMSTART
	v_dot2_f32_f16 v5, v80, v92, v5
	;;#ASMEND
	;;#ASMSTART
	v_dot2_f32_f16 v5, v81, v93, v5
	;;#ASMEND
	;;#ASMSTART
	v_dot2_f32_f16 v5, v82, v94, v5
	;;#ASMEND
	;;#ASMSTART
	v_dot2_f32_f16 v5, v83, v95, v5
	;;#ASMEND
	;; [unrolled: 13-line block ×8, first 2 shown]
	;;#ASMSTART
	v_dot2_f32_f16 v23, v84, v88, v23
	;;#ASMEND
	;;#ASMSTART
	v_dot2_f32_f16 v23, v85, v89, v23
	;;#ASMEND
	;; [unrolled: 3-line block ×32, first 2 shown]
	ds_read_b128 v[80:83], v44 offset:24624
	ds_read_b128 v[84:87], v44 offset:27184
	;; [unrolled: 1-line block ×10, first 2 shown]
	s_waitcnt lgkmcnt(7)
	;;#ASMSTART
	v_dot2_f32_f16 v4, v80, v88, v4
	;;#ASMEND
	;;#ASMSTART
	v_dot2_f32_f16 v4, v81, v89, v4
	;;#ASMEND
	;;#ASMSTART
	v_dot2_f32_f16 v4, v82, v90, v4
	;;#ASMEND
	;;#ASMSTART
	v_dot2_f32_f16 v4, v83, v91, v4
	;;#ASMEND
	s_waitcnt lgkmcnt(6)
	;;#ASMSTART
	v_dot2_f32_f16 v5, v80, v92, v5
	;;#ASMEND
	;;#ASMSTART
	v_dot2_f32_f16 v5, v81, v93, v5
	;;#ASMEND
	;;#ASMSTART
	v_dot2_f32_f16 v5, v82, v94, v5
	;;#ASMEND
	;;#ASMSTART
	v_dot2_f32_f16 v5, v83, v95, v5
	;;#ASMEND
	;; [unrolled: 13-line block ×8, first 2 shown]
	;;#ASMSTART
	v_dot2_f32_f16 v23, v84, v88, v23
	;;#ASMEND
	;;#ASMSTART
	v_dot2_f32_f16 v23, v85, v89, v23
	;;#ASMEND
	;; [unrolled: 3-line block ×31, first 2 shown]
	v_cmp_nlt_f32_e64 s[10:11], |v4|, s12
	;;#ASMSTART
	v_dot2_f32_f16 v7, v87, v119, v7
	;;#ASMEND
                                        ; implicit-def: $vgpr80
	s_and_saveexec_b64 s[26:27], s[10:11]
	s_xor_b64 s[10:11], exec, s[26:27]
	s_cbranch_execz .LBB75_11
; %bb.10:                               ;   in Loop: Header=BB75_9 Depth=1
	v_add_f32_e64 v2, |v4|, |v4|
	v_mul_f32_e32 v3, 0x3fb8aa3b, v2
	v_rndne_f32_e32 v80, v3
	v_sub_f32_e32 v81, v3, v80
	v_fma_f32 v3, v2, s13, -v3
	v_fmac_f32_e32 v3, 0x32a5705f, v2
	v_add_f32_e32 v3, v81, v3
	v_cvt_i32_f32_e32 v80, v80
	v_exp_f32_e32 v3, v3
	v_cmp_ngt_f32_e32 vcc, s19, v2
	v_ldexp_f32 v3, v3, v80
	v_cndmask_b32_e32 v3, 0, v3, vcc
	v_cmp_nlt_f32_e32 vcc, s24, v2
	v_cndmask_b32_e32 v2, v57, v3, vcc
	v_add_f32_e32 v2, 1.0, v2
	v_rcp_f32_e32 v2, v2
	v_fma_f32 v80, v2, -2.0, 1.0
.LBB75_11:                              ;   in Loop: Header=BB75_9 Depth=1
	s_andn2_saveexec_b64 s[10:11], s[10:11]
; %bb.12:                               ;   in Loop: Header=BB75_9 Depth=1
	v_mul_f32_e32 v2, v4, v4
	v_mov_b32_e32 v3, 0x3ca908c9
	v_fmac_f32_e32 v3, 0xbbbac73d, v2
	v_fma_f32 v3, v2, v3, v53
	v_fma_f32 v3, v2, v3, v54
	;; [unrolled: 1-line block ×3, first 2 shown]
	v_mul_f32_e64 v3, |v4|, v3
	v_fma_f32 v80, v2, v3, |v4|
; %bb.13:                               ;   in Loop: Header=BB75_9 Depth=1
	s_or_b64 exec, exec, s[10:11]
	v_add_u32_e32 v99, s6, v38
	v_add_u32_e32 v2, v99, v46
	v_ashrrev_i32_e32 v3, 31, v2
	v_lshlrev_b64 v[2:3], 1, v[2:3]
	v_mov_b32_e32 v81, s35
	v_add_co_u32_e32 v2, vcc, s34, v2
	v_addc_co_u32_e32 v3, vcc, v81, v3, vcc
	flat_load_ushort v89, v[2:3]
	v_cmp_nlt_f32_e64 s[10:11], |v23|, s12
                                        ; implicit-def: $vgpr81
	s_and_saveexec_b64 s[26:27], s[10:11]
	s_xor_b64 s[10:11], exec, s[26:27]
	s_cbranch_execz .LBB75_15
; %bb.14:                               ;   in Loop: Header=BB75_9 Depth=1
	v_add_f32_e64 v81, |v23|, |v23|
	v_mul_f32_e32 v82, 0x3fb8aa3b, v81
	v_rndne_f32_e32 v83, v82
	v_sub_f32_e32 v84, v82, v83
	v_fma_f32 v82, v81, s13, -v82
	v_fmac_f32_e32 v82, 0x32a5705f, v81
	v_add_f32_e32 v82, v84, v82
	v_cvt_i32_f32_e32 v83, v83
	v_exp_f32_e32 v82, v82
	v_cmp_ngt_f32_e32 vcc, s19, v81
	v_ldexp_f32 v82, v82, v83
	v_cndmask_b32_e32 v82, 0, v82, vcc
	v_cmp_nlt_f32_e32 vcc, s24, v81
	v_cndmask_b32_e32 v81, v57, v82, vcc
	v_add_f32_e32 v81, 1.0, v81
	v_rcp_f32_e32 v81, v81
	v_fma_f32 v81, v81, -2.0, 1.0
.LBB75_15:                              ;   in Loop: Header=BB75_9 Depth=1
	s_andn2_saveexec_b64 s[10:11], s[10:11]
; %bb.16:                               ;   in Loop: Header=BB75_9 Depth=1
	v_mul_f32_e32 v81, v23, v23
	v_mov_b32_e32 v82, 0x3ca908c9
	v_fmac_f32_e32 v82, 0xbbbac73d, v81
	v_fma_f32 v82, v81, v82, v53
	v_fma_f32 v82, v81, v82, v54
	;; [unrolled: 1-line block ×3, first 2 shown]
	v_mul_f32_e64 v82, |v23|, v82
	v_fma_f32 v81, v81, v82, |v23|
; %bb.17:                               ;   in Loop: Header=BB75_9 Depth=1
	s_or_b64 exec, exec, s[10:11]
	flat_load_ushort v2, v[2:3] offset:64
	v_bfi_b32 v3, s25, v80, v4
	v_and_b32_e32 v4, 0x60, v40
	v_add_u32_e32 v80, 32, v4
	v_xor_b32_e32 v82, 16, v40
	v_cmp_lt_i32_e32 vcc, v82, v80
	v_cndmask_b32_e32 v4, v40, v82, vcc
	v_lshlrev_b32_e32 v95, 2, v4
	v_bfi_b32 v4, s25, v81, v23
	s_waitcnt vmcnt(0) lgkmcnt(0)
	v_fma_mix_f32 v86, v3, s8, v89 op_sel_hi:[0,0,1]
	v_add_f32_e32 v3, 0x40051340, v86
	v_xor_b32_e32 v85, 8, v40
	v_cmp_lt_i32_e32 vcc, v85, v80
	v_cndmask_b32_e32 v81, v40, v85, vcc
	v_lshlrev_b32_e32 v96, 2, v81
	v_xor_b32_e32 v84, 4, v40
	v_cmp_lt_i32_e32 vcc, v84, v80
	v_cndmask_b32_e32 v81, v40, v84, vcc
	v_lshlrev_b32_e32 v94, 2, v81
	;; [unrolled: 4-line block ×4, first 2 shown]
	v_cmp_nlt_f32_e64 s[10:11], |v5|, s12
	v_fma_mix_f32 v4, v4, s8, v2 op_sel_hi:[0,0,1]
	v_add_f32_e32 v23, 0x40051340, v4
	v_max3_f32 v3, v20, v3, v23
	ds_bpermute_b32 v23, v95, v3
	s_waitcnt lgkmcnt(0)
	v_max_f32_e32 v23, v23, v23
	v_max_f32_e32 v3, v3, v23
	ds_bpermute_b32 v23, v96, v3
	s_waitcnt lgkmcnt(0)
	v_max_f32_e32 v23, v23, v23
	v_max_f32_e32 v3, v3, v23
	;; [unrolled: 4-line block ×4, first 2 shown]
	ds_bpermute_b32 v88, v92, v87
                                        ; implicit-def: $vgpr3
	s_and_saveexec_b64 s[26:27], s[10:11]
	s_xor_b64 s[10:11], exec, s[26:27]
	s_cbranch_execz .LBB75_19
; %bb.18:                               ;   in Loop: Header=BB75_9 Depth=1
	v_add_f32_e64 v3, |v5|, |v5|
	v_mul_f32_e32 v23, 0x3fb8aa3b, v3
	v_rndne_f32_e32 v90, v23
	v_sub_f32_e32 v91, v23, v90
	v_fma_f32 v23, v3, s13, -v23
	v_fmac_f32_e32 v23, 0x32a5705f, v3
	v_add_f32_e32 v23, v91, v23
	v_cvt_i32_f32_e32 v90, v90
	v_exp_f32_e32 v23, v23
	v_cmp_ngt_f32_e32 vcc, s19, v3
	v_ldexp_f32 v23, v23, v90
	v_cndmask_b32_e32 v23, 0, v23, vcc
	v_cmp_nlt_f32_e32 vcc, s24, v3
	v_cndmask_b32_e32 v3, v57, v23, vcc
	v_add_f32_e32 v3, 1.0, v3
	v_rcp_f32_e32 v3, v3
	v_fma_f32 v3, v3, -2.0, 1.0
.LBB75_19:                              ;   in Loop: Header=BB75_9 Depth=1
	s_andn2_saveexec_b64 s[10:11], s[10:11]
; %bb.20:                               ;   in Loop: Header=BB75_9 Depth=1
	v_mul_f32_e32 v3, v5, v5
	v_mov_b32_e32 v23, 0x3ca908c9
	v_fmac_f32_e32 v23, 0xbbbac73d, v3
	v_fma_f32 v23, v3, v23, v53
	v_fma_f32 v23, v3, v23, v54
	;; [unrolled: 1-line block ×3, first 2 shown]
	v_mul_f32_e64 v23, |v5|, v23
	v_fma_f32 v3, v3, v23, |v5|
; %bb.21:                               ;   in Loop: Header=BB75_9 Depth=1
	s_or_b64 exec, exec, s[10:11]
	v_cmp_nlt_f32_e64 s[10:11], |v79|, s12
                                        ; implicit-def: $vgpr90
	s_and_saveexec_b64 s[26:27], s[10:11]
	s_xor_b64 s[10:11], exec, s[26:27]
	s_cbranch_execz .LBB75_23
; %bb.22:                               ;   in Loop: Header=BB75_9 Depth=1
	v_add_f32_e64 v23, |v79|, |v79|
	v_mul_f32_e32 v90, 0x3fb8aa3b, v23
	v_rndne_f32_e32 v91, v90
	v_sub_f32_e32 v97, v90, v91
	v_fma_f32 v90, v23, s13, -v90
	v_fmac_f32_e32 v90, 0x32a5705f, v23
	v_add_f32_e32 v90, v97, v90
	v_cvt_i32_f32_e32 v91, v91
	v_exp_f32_e32 v90, v90
	v_cmp_ngt_f32_e32 vcc, s19, v23
	v_ldexp_f32 v90, v90, v91
	v_cndmask_b32_e32 v90, 0, v90, vcc
	v_cmp_nlt_f32_e32 vcc, s24, v23
	v_cndmask_b32_e32 v23, v57, v90, vcc
	v_add_f32_e32 v23, 1.0, v23
	v_rcp_f32_e32 v23, v23
	v_fma_f32 v90, v23, -2.0, 1.0
.LBB75_23:                              ;   in Loop: Header=BB75_9 Depth=1
	s_andn2_saveexec_b64 s[10:11], s[10:11]
; %bb.24:                               ;   in Loop: Header=BB75_9 Depth=1
	v_mul_f32_e32 v23, v79, v79
	v_mov_b32_e32 v90, 0x3ca908c9
	v_fmac_f32_e32 v90, 0xbbbac73d, v23
	v_fma_f32 v90, v23, v90, v53
	v_fma_f32 v90, v23, v90, v54
	;; [unrolled: 1-line block ×3, first 2 shown]
	v_mul_f32_e64 v90, |v79|, v90
	v_fma_f32 v90, v23, v90, |v79|
; %bb.25:                               ;   in Loop: Header=BB75_9 Depth=1
	s_or_b64 exec, exec, s[10:11]
	v_cvt_f32_f16_e32 v89, v89
	v_cvt_f32_f16_e32 v23, v2
	v_bfi_b32 v2, s25, v3, v5
	v_bfi_b32 v3, s25, v90, v79
	v_fma_f32 v79, s8, v2, v89
	v_fma_f32 v5, s8, v3, v23
	v_add_f32_e32 v2, 0x40051340, v79
	v_add_f32_e32 v3, 0x40051340, v5
	v_max3_f32 v2, v21, v2, v3
	ds_bpermute_b32 v3, v95, v2
	v_cmp_nlt_f32_e64 s[10:11], |v22|, s12
	s_waitcnt lgkmcnt(0)
	v_max_f32_e32 v3, v3, v3
	v_max_f32_e32 v2, v2, v3
	ds_bpermute_b32 v3, v96, v2
	s_waitcnt lgkmcnt(0)
	v_max_f32_e32 v3, v3, v3
	v_max_f32_e32 v2, v2, v3
	ds_bpermute_b32 v3, v94, v2
	;; [unrolled: 4-line block ×4, first 2 shown]
                                        ; implicit-def: $vgpr2
	s_and_saveexec_b64 s[26:27], s[10:11]
	s_xor_b64 s[10:11], exec, s[26:27]
	s_cbranch_execz .LBB75_27
; %bb.26:                               ;   in Loop: Header=BB75_9 Depth=1
	v_add_f32_e64 v2, |v22|, |v22|
	v_mul_f32_e32 v3, 0x3fb8aa3b, v2
	v_rndne_f32_e32 v97, v3
	v_sub_f32_e32 v98, v3, v97
	v_fma_f32 v3, v2, s13, -v3
	v_fmac_f32_e32 v3, 0x32a5705f, v2
	v_add_f32_e32 v3, v98, v3
	v_cvt_i32_f32_e32 v97, v97
	v_exp_f32_e32 v3, v3
	v_cmp_ngt_f32_e32 vcc, s19, v2
	v_ldexp_f32 v3, v3, v97
	v_cndmask_b32_e32 v3, 0, v3, vcc
	v_cmp_nlt_f32_e32 vcc, s24, v2
	v_cndmask_b32_e32 v2, v57, v3, vcc
	v_add_f32_e32 v2, 1.0, v2
	v_rcp_f32_e32 v2, v2
	v_fma_f32 v2, v2, -2.0, 1.0
.LBB75_27:                              ;   in Loop: Header=BB75_9 Depth=1
	s_andn2_saveexec_b64 s[10:11], s[10:11]
; %bb.28:                               ;   in Loop: Header=BB75_9 Depth=1
	v_mul_f32_e32 v2, v22, v22
	v_mov_b32_e32 v3, 0x3ca908c9
	v_fmac_f32_e32 v3, 0xbbbac73d, v2
	v_fma_f32 v3, v2, v3, v53
	v_fma_f32 v3, v2, v3, v54
	;; [unrolled: 1-line block ×3, first 2 shown]
	v_mul_f32_e64 v3, |v22|, v3
	v_fma_f32 v2, v2, v3, |v22|
; %bb.29:                               ;   in Loop: Header=BB75_9 Depth=1
	s_or_b64 exec, exec, s[10:11]
	v_cmp_nlt_f32_e64 s[10:11], |v78|, s12
                                        ; implicit-def: $vgpr3
	s_and_saveexec_b64 s[26:27], s[10:11]
	s_xor_b64 s[10:11], exec, s[26:27]
	s_cbranch_execz .LBB75_31
; %bb.30:                               ;   in Loop: Header=BB75_9 Depth=1
	v_add_f32_e64 v3, |v78|, |v78|
	v_mul_f32_e32 v97, 0x3fb8aa3b, v3
	v_rndne_f32_e32 v98, v97
	v_sub_f32_e32 v100, v97, v98
	v_fma_f32 v97, v3, s13, -v97
	v_fmac_f32_e32 v97, 0x32a5705f, v3
	v_add_f32_e32 v97, v100, v97
	v_cvt_i32_f32_e32 v98, v98
	v_exp_f32_e32 v97, v97
	v_cmp_ngt_f32_e32 vcc, s19, v3
	v_ldexp_f32 v97, v97, v98
	v_cndmask_b32_e32 v97, 0, v97, vcc
	v_cmp_nlt_f32_e32 vcc, s24, v3
	v_cndmask_b32_e32 v3, v57, v97, vcc
	v_add_f32_e32 v3, 1.0, v3
	v_rcp_f32_e32 v3, v3
	v_fma_f32 v3, v3, -2.0, 1.0
.LBB75_31:                              ;   in Loop: Header=BB75_9 Depth=1
	s_andn2_saveexec_b64 s[10:11], s[10:11]
; %bb.32:                               ;   in Loop: Header=BB75_9 Depth=1
	v_mul_f32_e32 v3, v78, v78
	v_mov_b32_e32 v97, 0x3ca908c9
	v_fmac_f32_e32 v97, 0xbbbac73d, v3
	v_fma_f32 v97, v3, v97, v53
	v_fma_f32 v97, v3, v97, v54
	;; [unrolled: 1-line block ×3, first 2 shown]
	v_mul_f32_e64 v97, |v78|, v97
	v_fma_f32 v3, v3, v97, |v78|
; %bb.33:                               ;   in Loop: Header=BB75_9 Depth=1
	s_or_b64 exec, exec, s[10:11]
	v_bfi_b32 v2, s25, v2, v22
	v_bfi_b32 v3, s25, v3, v78
	v_fma_f32 v97, s8, v2, v89
	v_fma_f32 v22, s8, v3, v23
	v_add_f32_e32 v2, 0x40051340, v97
	v_add_f32_e32 v3, 0x40051340, v22
	v_max3_f32 v2, v18, v2, v3
	ds_bpermute_b32 v3, v95, v2
	v_cmp_nlt_f32_e64 s[10:11], |v26|, s12
	s_waitcnt lgkmcnt(0)
	v_max_f32_e32 v3, v3, v3
	v_max_f32_e32 v2, v2, v3
	ds_bpermute_b32 v3, v96, v2
	s_waitcnt lgkmcnt(0)
	v_max_f32_e32 v3, v3, v3
	v_max_f32_e32 v2, v2, v3
	ds_bpermute_b32 v3, v94, v2
	;; [unrolled: 4-line block ×4, first 2 shown]
                                        ; implicit-def: $vgpr2
	s_and_saveexec_b64 s[26:27], s[10:11]
	s_xor_b64 s[10:11], exec, s[26:27]
	s_cbranch_execz .LBB75_35
; %bb.34:                               ;   in Loop: Header=BB75_9 Depth=1
	v_add_f32_e64 v2, |v26|, |v26|
	v_mul_f32_e32 v3, 0x3fb8aa3b, v2
	v_rndne_f32_e32 v100, v3
	v_sub_f32_e32 v101, v3, v100
	v_fma_f32 v3, v2, s13, -v3
	v_fmac_f32_e32 v3, 0x32a5705f, v2
	v_add_f32_e32 v3, v101, v3
	v_cvt_i32_f32_e32 v100, v100
	v_exp_f32_e32 v3, v3
	v_cmp_ngt_f32_e32 vcc, s19, v2
	v_ldexp_f32 v3, v3, v100
	v_cndmask_b32_e32 v3, 0, v3, vcc
	v_cmp_nlt_f32_e32 vcc, s24, v2
	v_cndmask_b32_e32 v2, v57, v3, vcc
	v_add_f32_e32 v2, 1.0, v2
	v_rcp_f32_e32 v2, v2
	v_fma_f32 v2, v2, -2.0, 1.0
.LBB75_35:                              ;   in Loop: Header=BB75_9 Depth=1
	s_andn2_saveexec_b64 s[10:11], s[10:11]
; %bb.36:                               ;   in Loop: Header=BB75_9 Depth=1
	v_mul_f32_e32 v2, v26, v26
	v_mov_b32_e32 v3, 0x3ca908c9
	v_fmac_f32_e32 v3, 0xbbbac73d, v2
	v_fma_f32 v3, v2, v3, v53
	v_fma_f32 v3, v2, v3, v54
	;; [unrolled: 1-line block ×3, first 2 shown]
	v_mul_f32_e64 v3, |v26|, v3
	v_fma_f32 v2, v2, v3, |v26|
; %bb.37:                               ;   in Loop: Header=BB75_9 Depth=1
	s_or_b64 exec, exec, s[10:11]
	v_cmp_nlt_f32_e64 s[10:11], |v77|, s12
                                        ; implicit-def: $vgpr3
	s_and_saveexec_b64 s[26:27], s[10:11]
	s_xor_b64 s[10:11], exec, s[26:27]
	s_cbranch_execz .LBB75_39
; %bb.38:                               ;   in Loop: Header=BB75_9 Depth=1
	v_add_f32_e64 v3, |v77|, |v77|
	v_mul_f32_e32 v100, 0x3fb8aa3b, v3
	v_rndne_f32_e32 v101, v100
	v_sub_f32_e32 v102, v100, v101
	v_fma_f32 v100, v3, s13, -v100
	v_fmac_f32_e32 v100, 0x32a5705f, v3
	v_add_f32_e32 v100, v102, v100
	v_cvt_i32_f32_e32 v101, v101
	v_exp_f32_e32 v100, v100
	v_cmp_ngt_f32_e32 vcc, s19, v3
	v_ldexp_f32 v100, v100, v101
	v_cndmask_b32_e32 v100, 0, v100, vcc
	v_cmp_nlt_f32_e32 vcc, s24, v3
	v_cndmask_b32_e32 v3, v57, v100, vcc
	v_add_f32_e32 v3, 1.0, v3
	v_rcp_f32_e32 v3, v3
	v_fma_f32 v3, v3, -2.0, 1.0
.LBB75_39:                              ;   in Loop: Header=BB75_9 Depth=1
	s_andn2_saveexec_b64 s[10:11], s[10:11]
; %bb.40:                               ;   in Loop: Header=BB75_9 Depth=1
	v_mul_f32_e32 v3, v77, v77
	v_mov_b32_e32 v100, 0x3ca908c9
	v_fmac_f32_e32 v100, 0xbbbac73d, v3
	v_fma_f32 v100, v3, v100, v53
	v_fma_f32 v100, v3, v100, v54
	;; [unrolled: 1-line block ×3, first 2 shown]
	v_mul_f32_e64 v100, |v77|, v100
	v_fma_f32 v3, v3, v100, |v77|
; %bb.41:                               ;   in Loop: Header=BB75_9 Depth=1
	s_or_b64 exec, exec, s[10:11]
	v_bfi_b32 v2, s25, v2, v26
	v_bfi_b32 v3, s25, v3, v77
	v_fmac_f32_e32 v89, s8, v2
	v_fmac_f32_e32 v23, s8, v3
	v_add_f32_e32 v2, 0x40051340, v89
	v_add_f32_e32 v3, 0x40051340, v23
	v_max3_f32 v2, v19, v2, v3
	ds_bpermute_b32 v3, v95, v2
	v_cmp_nlt_f32_e64 s[10:11], |v24|, s12
                                        ; implicit-def: $vgpr26
	s_waitcnt lgkmcnt(0)
	v_max_f32_e32 v3, v3, v3
	v_max_f32_e32 v2, v2, v3
	ds_bpermute_b32 v3, v96, v2
	s_waitcnt lgkmcnt(0)
	v_max_f32_e32 v3, v3, v3
	v_max_f32_e32 v2, v2, v3
	ds_bpermute_b32 v3, v94, v2
	;; [unrolled: 4-line block ×4, first 2 shown]
	s_and_saveexec_b64 s[26:27], s[10:11]
	s_xor_b64 s[10:11], exec, s[26:27]
	s_cbranch_execz .LBB75_43
; %bb.42:                               ;   in Loop: Header=BB75_9 Depth=1
	v_add_f32_e64 v2, |v24|, |v24|
	v_mul_f32_e32 v3, 0x3fb8aa3b, v2
	v_rndne_f32_e32 v26, v3
	v_sub_f32_e32 v77, v3, v26
	v_fma_f32 v3, v2, s13, -v3
	v_fmac_f32_e32 v3, 0x32a5705f, v2
	v_add_f32_e32 v3, v77, v3
	v_cvt_i32_f32_e32 v26, v26
	v_exp_f32_e32 v3, v3
	v_cmp_ngt_f32_e32 vcc, s19, v2
	v_ldexp_f32 v3, v3, v26
	v_cndmask_b32_e32 v3, 0, v3, vcc
	v_cmp_nlt_f32_e32 vcc, s24, v2
	v_cndmask_b32_e32 v2, v57, v3, vcc
	v_add_f32_e32 v2, 1.0, v2
	v_rcp_f32_e32 v2, v2
	v_fma_f32 v26, v2, -2.0, 1.0
.LBB75_43:                              ;   in Loop: Header=BB75_9 Depth=1
	s_andn2_saveexec_b64 s[10:11], s[10:11]
; %bb.44:                               ;   in Loop: Header=BB75_9 Depth=1
	v_mul_f32_e32 v2, v24, v24
	v_mov_b32_e32 v3, 0x3ca908c9
	v_fmac_f32_e32 v3, 0xbbbac73d, v2
	v_fma_f32 v3, v2, v3, v53
	v_fma_f32 v3, v2, v3, v54
	;; [unrolled: 1-line block ×3, first 2 shown]
	v_mul_f32_e64 v3, |v24|, v3
	v_fma_f32 v26, v2, v3, |v24|
; %bb.45:                               ;   in Loop: Header=BB75_9 Depth=1
	s_or_b64 exec, exec, s[10:11]
	v_add_u32_e32 v2, v99, v47
	v_ashrrev_i32_e32 v3, 31, v2
	v_lshlrev_b64 v[2:3], 1, v[2:3]
	v_mov_b32_e32 v77, s35
	v_add_co_u32_e32 v2, vcc, s34, v2
	v_addc_co_u32_e32 v3, vcc, v77, v3, vcc
	flat_load_ushort v99, v[2:3]
	v_cmp_nlt_f32_e64 s[10:11], |v76|, s12
                                        ; implicit-def: $vgpr77
	s_and_saveexec_b64 s[26:27], s[10:11]
	s_xor_b64 s[10:11], exec, s[26:27]
	s_cbranch_execz .LBB75_47
; %bb.46:                               ;   in Loop: Header=BB75_9 Depth=1
	v_add_f32_e64 v77, |v76|, |v76|
	v_mul_f32_e32 v100, 0x3fb8aa3b, v77
	v_rndne_f32_e32 v103, v100
	v_sub_f32_e32 v104, v100, v103
	v_fma_f32 v100, v77, s13, -v100
	v_fmac_f32_e32 v100, 0x32a5705f, v77
	v_add_f32_e32 v100, v104, v100
	v_cvt_i32_f32_e32 v103, v103
	v_exp_f32_e32 v100, v100
	v_cmp_ngt_f32_e32 vcc, s19, v77
	v_ldexp_f32 v100, v100, v103
	v_cndmask_b32_e32 v100, 0, v100, vcc
	v_cmp_nlt_f32_e32 vcc, s24, v77
	v_cndmask_b32_e32 v77, v57, v100, vcc
	v_add_f32_e32 v77, 1.0, v77
	v_rcp_f32_e32 v77, v77
	v_fma_f32 v77, v77, -2.0, 1.0
.LBB75_47:                              ;   in Loop: Header=BB75_9 Depth=1
	s_andn2_saveexec_b64 s[10:11], s[10:11]
; %bb.48:                               ;   in Loop: Header=BB75_9 Depth=1
	v_mul_f32_e32 v77, v76, v76
	v_mov_b32_e32 v100, 0x3ca908c9
	v_fmac_f32_e32 v100, 0xbbbac73d, v77
	v_fma_f32 v100, v77, v100, v53
	v_fma_f32 v100, v77, v100, v54
	;; [unrolled: 1-line block ×3, first 2 shown]
	v_mul_f32_e64 v100, |v76|, v100
	v_fma_f32 v77, v77, v100, |v76|
; %bb.49:                               ;   in Loop: Header=BB75_9 Depth=1
	s_or_b64 exec, exec, s[10:11]
	flat_load_ushort v3, v[2:3] offset:64
	v_bfi_b32 v2, s25, v26, v24
	v_bfi_b32 v24, s25, v77, v76
	s_waitcnt vmcnt(0) lgkmcnt(0)
	v_fma_mix_f32 v26, v2, s8, v99 op_sel_hi:[0,0,1]
	v_add_f32_e32 v2, 0x40051340, v26
	v_cmp_nlt_f32_e64 s[10:11], |v25|, s12
                                        ; implicit-def: $vgpr100
	v_fma_mix_f32 v24, v24, s8, v3 op_sel_hi:[0,0,1]
	v_add_f32_e32 v76, 0x40051340, v24
	v_max3_f32 v2, v16, v2, v76
	ds_bpermute_b32 v76, v95, v2
	s_waitcnt lgkmcnt(0)
	v_max_f32_e32 v76, v76, v76
	v_max_f32_e32 v2, v2, v76
	ds_bpermute_b32 v76, v96, v2
	s_waitcnt lgkmcnt(0)
	v_max_f32_e32 v76, v76, v76
	v_max_f32_e32 v2, v2, v76
	;; [unrolled: 4-line block ×4, first 2 shown]
	ds_bpermute_b32 v77, v92, v76
	s_and_saveexec_b64 s[26:27], s[10:11]
	s_xor_b64 s[10:11], exec, s[26:27]
	s_cbranch_execz .LBB75_51
; %bb.50:                               ;   in Loop: Header=BB75_9 Depth=1
	v_add_f32_e64 v2, |v25|, |v25|
	v_mul_f32_e32 v100, 0x3fb8aa3b, v2
	v_rndne_f32_e32 v103, v100
	v_sub_f32_e32 v104, v100, v103
	v_fma_f32 v100, v2, s13, -v100
	v_fmac_f32_e32 v100, 0x32a5705f, v2
	v_add_f32_e32 v100, v104, v100
	v_cvt_i32_f32_e32 v103, v103
	v_exp_f32_e32 v100, v100
	v_cmp_ngt_f32_e32 vcc, s19, v2
	v_ldexp_f32 v100, v100, v103
	v_cndmask_b32_e32 v100, 0, v100, vcc
	v_cmp_nlt_f32_e32 vcc, s24, v2
	v_cndmask_b32_e32 v2, v57, v100, vcc
	v_add_f32_e32 v2, 1.0, v2
	v_rcp_f32_e32 v2, v2
	v_fma_f32 v100, v2, -2.0, 1.0
.LBB75_51:                              ;   in Loop: Header=BB75_9 Depth=1
	s_andn2_saveexec_b64 s[10:11], s[10:11]
; %bb.52:                               ;   in Loop: Header=BB75_9 Depth=1
	v_mul_f32_e32 v2, v25, v25
	v_mov_b32_e32 v100, 0x3ca908c9
	v_fmac_f32_e32 v100, 0xbbbac73d, v2
	v_fma_f32 v100, v2, v100, v53
	v_fma_f32 v100, v2, v100, v54
	;; [unrolled: 1-line block ×3, first 2 shown]
	v_mul_f32_e64 v100, |v25|, v100
	v_fma_f32 v100, v2, v100, |v25|
; %bb.53:                               ;   in Loop: Header=BB75_9 Depth=1
	s_or_b64 exec, exec, s[10:11]
	v_cmp_nlt_f32_e64 s[10:11], |v27|, s12
                                        ; implicit-def: $vgpr103
	s_and_saveexec_b64 s[26:27], s[10:11]
	s_xor_b64 s[10:11], exec, s[26:27]
	s_cbranch_execz .LBB75_55
; %bb.54:                               ;   in Loop: Header=BB75_9 Depth=1
	v_add_f32_e64 v2, |v27|, |v27|
	v_mul_f32_e32 v103, 0x3fb8aa3b, v2
	v_rndne_f32_e32 v104, v103
	v_sub_f32_e32 v105, v103, v104
	v_fma_f32 v103, v2, s13, -v103
	v_fmac_f32_e32 v103, 0x32a5705f, v2
	v_add_f32_e32 v103, v105, v103
	v_cvt_i32_f32_e32 v104, v104
	v_exp_f32_e32 v103, v103
	v_cmp_ngt_f32_e32 vcc, s19, v2
	v_ldexp_f32 v103, v103, v104
	v_cndmask_b32_e32 v103, 0, v103, vcc
	v_cmp_nlt_f32_e32 vcc, s24, v2
	v_cndmask_b32_e32 v2, v57, v103, vcc
	v_add_f32_e32 v2, 1.0, v2
	v_rcp_f32_e32 v2, v2
	v_fma_f32 v103, v2, -2.0, 1.0
.LBB75_55:                              ;   in Loop: Header=BB75_9 Depth=1
	s_andn2_saveexec_b64 s[10:11], s[10:11]
; %bb.56:                               ;   in Loop: Header=BB75_9 Depth=1
	v_mul_f32_e32 v2, v27, v27
	v_mov_b32_e32 v103, 0x3ca908c9
	v_fmac_f32_e32 v103, 0xbbbac73d, v2
	v_fma_f32 v103, v2, v103, v53
	v_fma_f32 v103, v2, v103, v54
	;; [unrolled: 1-line block ×3, first 2 shown]
	v_mul_f32_e64 v103, |v27|, v103
	v_fma_f32 v103, v2, v103, |v27|
; %bb.57:                               ;   in Loop: Header=BB75_9 Depth=1
	s_or_b64 exec, exec, s[10:11]
	v_cvt_f32_f16_e32 v2, v99
	v_cvt_f32_f16_e32 v3, v3
	v_bfi_b32 v25, s25, v100, v25
	v_bfi_b32 v99, s25, v103, v27
	v_fma_f32 v27, s8, v25, v2
	v_fma_f32 v25, s8, v99, v3
	v_add_f32_e32 v100, 0x40051340, v27
	v_add_f32_e32 v99, 0x40051340, v25
	v_max3_f32 v99, v17, v100, v99
	ds_bpermute_b32 v100, v95, v99
	v_cmp_nlt_f32_e64 s[10:11], |v74|, s12
                                        ; implicit-def: $vgpr103
	s_waitcnt lgkmcnt(0)
	v_max_f32_e32 v100, v100, v100
	v_max_f32_e32 v99, v99, v100
	ds_bpermute_b32 v100, v96, v99
	s_waitcnt lgkmcnt(0)
	v_max_f32_e32 v100, v100, v100
	v_max_f32_e32 v99, v99, v100
	ds_bpermute_b32 v100, v94, v99
	;; [unrolled: 4-line block ×4, first 2 shown]
	s_and_saveexec_b64 s[26:27], s[10:11]
	s_xor_b64 s[10:11], exec, s[26:27]
	s_cbranch_execz .LBB75_59
; %bb.58:                               ;   in Loop: Header=BB75_9 Depth=1
	v_add_f32_e64 v103, |v74|, |v74|
	v_mul_f32_e32 v104, 0x3fb8aa3b, v103
	v_rndne_f32_e32 v105, v104
	v_sub_f32_e32 v106, v104, v105
	v_fma_f32 v104, v103, s13, -v104
	v_fmac_f32_e32 v104, 0x32a5705f, v103
	v_add_f32_e32 v104, v106, v104
	v_cvt_i32_f32_e32 v105, v105
	v_exp_f32_e32 v104, v104
	v_cmp_ngt_f32_e32 vcc, s19, v103
	v_ldexp_f32 v104, v104, v105
	v_cndmask_b32_e32 v104, 0, v104, vcc
	v_cmp_nlt_f32_e32 vcc, s24, v103
	v_cndmask_b32_e32 v103, v57, v104, vcc
	v_add_f32_e32 v103, 1.0, v103
	v_rcp_f32_e32 v103, v103
	v_fma_f32 v103, v103, -2.0, 1.0
.LBB75_59:                              ;   in Loop: Header=BB75_9 Depth=1
	s_andn2_saveexec_b64 s[10:11], s[10:11]
; %bb.60:                               ;   in Loop: Header=BB75_9 Depth=1
	v_mul_f32_e32 v103, v74, v74
	v_mov_b32_e32 v104, 0x3ca908c9
	v_fmac_f32_e32 v104, 0xbbbac73d, v103
	v_fma_f32 v104, v103, v104, v53
	v_fma_f32 v104, v103, v104, v54
	;; [unrolled: 1-line block ×3, first 2 shown]
	v_mul_f32_e64 v104, |v74|, v104
	v_fma_f32 v103, v103, v104, |v74|
; %bb.61:                               ;   in Loop: Header=BB75_9 Depth=1
	s_or_b64 exec, exec, s[10:11]
	v_cmp_nlt_f32_e64 s[10:11], |v75|, s12
                                        ; implicit-def: $vgpr104
	s_and_saveexec_b64 s[26:27], s[10:11]
	s_xor_b64 s[10:11], exec, s[26:27]
	s_cbranch_execz .LBB75_63
; %bb.62:                               ;   in Loop: Header=BB75_9 Depth=1
	v_add_f32_e64 v104, |v75|, |v75|
	v_mul_f32_e32 v105, 0x3fb8aa3b, v104
	v_rndne_f32_e32 v106, v105
	v_sub_f32_e32 v107, v105, v106
	v_fma_f32 v105, v104, s13, -v105
	v_fmac_f32_e32 v105, 0x32a5705f, v104
	v_add_f32_e32 v105, v107, v105
	v_cvt_i32_f32_e32 v106, v106
	v_exp_f32_e32 v105, v105
	v_cmp_ngt_f32_e32 vcc, s19, v104
	v_ldexp_f32 v105, v105, v106
	v_cndmask_b32_e32 v105, 0, v105, vcc
	v_cmp_nlt_f32_e32 vcc, s24, v104
	v_cndmask_b32_e32 v104, v57, v105, vcc
	v_add_f32_e32 v104, 1.0, v104
	v_rcp_f32_e32 v104, v104
	v_fma_f32 v104, v104, -2.0, 1.0
.LBB75_63:                              ;   in Loop: Header=BB75_9 Depth=1
	s_andn2_saveexec_b64 s[10:11], s[10:11]
; %bb.64:                               ;   in Loop: Header=BB75_9 Depth=1
	v_mul_f32_e32 v104, v75, v75
	v_mov_b32_e32 v105, 0x3ca908c9
	v_fmac_f32_e32 v105, 0xbbbac73d, v104
	v_fma_f32 v105, v104, v105, v53
	v_fma_f32 v105, v104, v105, v54
	;; [unrolled: 1-line block ×3, first 2 shown]
	v_mul_f32_e64 v105, |v75|, v105
	v_fma_f32 v104, v104, v105, |v75|
; %bb.65:                               ;   in Loop: Header=BB75_9 Depth=1
	s_or_b64 exec, exec, s[10:11]
	v_bfi_b32 v74, s25, v103, v74
	v_fma_f32 v103, s8, v74, v2
	v_bfi_b32 v74, s25, v104, v75
	v_fma_f32 v74, s8, v74, v3
	v_add_f32_e32 v105, 0x40051340, v103
	v_add_f32_e32 v75, 0x40051340, v74
	v_max3_f32 v75, v0, v105, v75
	ds_bpermute_b32 v104, v95, v75
	v_cmp_nlt_f32_e64 s[10:11], |v6|, s12
                                        ; implicit-def: $vgpr105
	s_waitcnt lgkmcnt(0)
	v_max_f32_e32 v104, v104, v104
	v_max_f32_e32 v75, v75, v104
	ds_bpermute_b32 v104, v96, v75
	s_waitcnt lgkmcnt(0)
	v_max_f32_e32 v104, v104, v104
	v_max_f32_e32 v75, v75, v104
	ds_bpermute_b32 v104, v94, v75
	;; [unrolled: 4-line block ×4, first 2 shown]
	s_and_saveexec_b64 s[26:27], s[10:11]
	s_xor_b64 s[10:11], exec, s[26:27]
	s_cbranch_execz .LBB75_67
; %bb.66:                               ;   in Loop: Header=BB75_9 Depth=1
	v_add_f32_e64 v105, |v6|, |v6|
	v_mul_f32_e32 v106, 0x3fb8aa3b, v105
	v_rndne_f32_e32 v107, v106
	v_sub_f32_e32 v108, v106, v107
	v_fma_f32 v106, v105, s13, -v106
	v_fmac_f32_e32 v106, 0x32a5705f, v105
	v_add_f32_e32 v106, v108, v106
	v_cvt_i32_f32_e32 v107, v107
	v_exp_f32_e32 v106, v106
	v_cmp_ngt_f32_e32 vcc, s19, v105
	v_ldexp_f32 v106, v106, v107
	v_cndmask_b32_e32 v106, 0, v106, vcc
	v_cmp_nlt_f32_e32 vcc, s24, v105
	v_cndmask_b32_e32 v105, v57, v106, vcc
	v_add_f32_e32 v105, 1.0, v105
	v_rcp_f32_e32 v105, v105
	v_fma_f32 v105, v105, -2.0, 1.0
.LBB75_67:                              ;   in Loop: Header=BB75_9 Depth=1
	s_andn2_saveexec_b64 s[10:11], s[10:11]
; %bb.68:                               ;   in Loop: Header=BB75_9 Depth=1
	v_mul_f32_e32 v105, v6, v6
	v_mov_b32_e32 v106, 0x3ca908c9
	v_fmac_f32_e32 v106, 0xbbbac73d, v105
	v_fma_f32 v106, v105, v106, v53
	v_fma_f32 v106, v105, v106, v54
	;; [unrolled: 1-line block ×3, first 2 shown]
	v_mul_f32_e64 v106, |v6|, v106
	v_fma_f32 v105, v105, v106, |v6|
; %bb.69:                               ;   in Loop: Header=BB75_9 Depth=1
	s_or_b64 exec, exec, s[10:11]
	v_cmp_nlt_f32_e64 s[10:11], |v7|, s12
                                        ; implicit-def: $vgpr106
	s_and_saveexec_b64 s[26:27], s[10:11]
	s_xor_b64 s[10:11], exec, s[26:27]
	s_cbranch_execz .LBB75_71
; %bb.70:                               ;   in Loop: Header=BB75_9 Depth=1
	v_add_f32_e64 v106, |v7|, |v7|
	v_mul_f32_e32 v107, 0x3fb8aa3b, v106
	v_rndne_f32_e32 v108, v107
	v_sub_f32_e32 v109, v107, v108
	v_fma_f32 v107, v106, s13, -v107
	v_fmac_f32_e32 v107, 0x32a5705f, v106
	v_add_f32_e32 v107, v109, v107
	v_cvt_i32_f32_e32 v108, v108
	v_exp_f32_e32 v107, v107
	v_cmp_ngt_f32_e32 vcc, s19, v106
	v_ldexp_f32 v107, v107, v108
	v_cndmask_b32_e32 v107, 0, v107, vcc
	v_cmp_nlt_f32_e32 vcc, s24, v106
	v_cndmask_b32_e32 v106, v57, v107, vcc
	v_add_f32_e32 v106, 1.0, v106
	v_rcp_f32_e32 v106, v106
	v_fma_f32 v106, v106, -2.0, 1.0
.LBB75_71:                              ;   in Loop: Header=BB75_9 Depth=1
	s_andn2_saveexec_b64 s[10:11], s[10:11]
; %bb.72:                               ;   in Loop: Header=BB75_9 Depth=1
	v_mul_f32_e32 v106, v7, v7
	v_mov_b32_e32 v107, 0x3ca908c9
	v_fmac_f32_e32 v107, 0xbbbac73d, v106
	v_fma_f32 v107, v106, v107, v53
	v_fma_f32 v107, v106, v107, v54
	;; [unrolled: 1-line block ×3, first 2 shown]
	v_mul_f32_e64 v107, |v7|, v107
	v_fma_f32 v106, v106, v107, |v7|
; %bb.73:                               ;   in Loop: Header=BB75_9 Depth=1
	s_or_b64 exec, exec, s[10:11]
	v_bfi_b32 v7, s25, v106, v7
	v_bfi_b32 v6, s25, v105, v6
	v_pk_fma_f32 v[2:3], v[6:7], s[8:9], v[2:3]
	v_add_f32_e32 v6, 0x40051340, v2
	v_add_f32_e32 v7, 0x40051340, v3
	v_max3_f32 v6, v1, v6, v7
	ds_bpermute_b32 v7, v95, v6
	v_max_f32_e32 v75, v75, v75
	s_mul_hi_i32 s11, s6, s15
	s_mul_i32 s10, s6, s15
	s_lshl_b64 s[10:11], s[10:11], 2
	s_waitcnt lgkmcnt(0)
	v_max_f32_e32 v7, v7, v7
	v_max_f32_e32 v7, v6, v7
	ds_bpermute_b32 v95, v96, v7
	v_max_f32_e32 v6, v104, v104
	v_max_f32_e32 v6, v75, v6
	v_sub_f32_e32 v75, v103, v6
	v_cmp_ngt_f32_e32 vcc, s19, v75
	s_waitcnt lgkmcnt(0)
	v_max_f32_e32 v95, v95, v95
	v_max_f32_e32 v7, v7, v95
	ds_bpermute_b32 v94, v94, v7
	v_mul_f32_e32 v95, 0x3fb8aa3b, v75
	v_fma_f32 v96, v75, s13, -v95
	v_rndne_f32_e32 v103, v95
	v_fmac_f32_e32 v96, 0x32a5705f, v75
	s_waitcnt lgkmcnt(0)
	v_max_f32_e32 v94, v94, v94
	v_max_f32_e32 v7, v7, v94
	ds_bpermute_b32 v93, v93, v7
	v_sub_f32_e32 v94, v95, v103
	v_add_f32_e32 v94, v94, v96
	v_cvt_i32_f32_e32 v95, v103
	v_exp_f32_e32 v94, v94
	s_waitcnt lgkmcnt(0)
	v_max_f32_e32 v93, v93, v93
	v_max_f32_e32 v7, v7, v93
	ds_bpermute_b32 v92, v92, v7
	v_ldexp_f32 v93, v94, v95
	v_cndmask_b32_e32 v93, 0, v93, vcc
	v_cmp_nlt_f32_e32 vcc, s24, v75
	s_waitcnt lgkmcnt(0)
	v_max_f32_e32 v92, v92, v92
	v_max_f32_e32 v7, v7, v92
	v_sub_f32_e32 v92, v74, v6
	v_mul_f32_e32 v74, 0x3fb8aa3b, v92
	v_fma_f32 v94, v92, s13, -v74
	v_rndne_f32_e32 v95, v74
	v_fmac_f32_e32 v94, 0x32a5705f, v92
	v_sub_f32_e32 v74, v74, v95
	v_add_f32_e32 v74, v74, v94
	v_exp_f32_e32 v96, v74
	v_cvt_i32_f32_e32 v95, v95
	v_cndmask_b32_e32 v94, v57, v93, vcc
	v_cmp_ngt_f32_e32 vcc, s19, v92
	v_pk_add_f32 v[0:1], v[0:1], v[6:7] neg_lo:[0,1] neg_hi:[0,1]
	v_ldexp_f32 v75, v96, v95
	v_cndmask_b32_e32 v75, 0, v75, vcc
	v_cmp_nlt_f32_e32 vcc, s24, v92
	v_mul_f32_e32 v92, 0x3fb8aa3b, v1
	v_fma_f32 v93, v1, s13, -v92
	v_rndne_f32_e32 v95, v92
	v_fmac_f32_e32 v93, 0x32a5705f, v1
	v_sub_f32_e32 v92, v92, v95
	v_add_f32_e32 v92, v92, v93
	v_cvt_i32_f32_e32 v93, v95
	v_mul_f32_e32 v95, 0x3fb8aa3b, v0
	v_fma_f32 v96, v0, s13, -v95
	v_rndne_f32_e32 v103, v95
	v_fmac_f32_e32 v96, 0x32a5705f, v0
	v_sub_f32_e32 v95, v95, v103
	v_exp_f32_e32 v92, v92
	v_add_f32_e32 v95, v95, v96
	v_exp_f32_e32 v95, v95
	v_cvt_i32_f32_e32 v96, v103
	v_cndmask_b32_e32 v104, v57, v75, vcc
	v_ldexp_f32 v92, v92, v93
	v_cmp_ngt_f32_e32 vcc, s19, v1
	v_cndmask_b32_e32 v93, 0, v92, vcc
	v_ldexp_f32 v92, v95, v96
	v_cmp_ngt_f32_e32 vcc, s19, v0
	v_cndmask_b32_e32 v92, 0, v92, vcc
	v_cmp_nlt_f32_e32 vcc, s24, v0
	v_cndmask_b32_e32 v0, v57, v92, vcc
	v_mov_b32_e32 v92, v7
	v_pk_add_f32 v[2:3], v[2:3], v[92:93] op_sel_hi:[1,0] neg_lo:[0,1] neg_hi:[0,1]
	v_mul_f32_e32 v92, 0x3fb8aa3b, v3
	v_fma_f32 v96, v3, s13, -v92
	v_rndne_f32_e32 v103, v92
	v_fmac_f32_e32 v96, 0x32a5705f, v3
	v_sub_f32_e32 v92, v92, v103
	v_add_f32_e32 v92, v92, v96
	v_cvt_f16_f32_e32 v95, v0
	v_exp_f32_e32 v96, v92
	v_cvt_i32_f32_e32 v103, v103
	v_cmp_nlt_f32_e32 vcc, s24, v1
	v_cndmask_b32_e32 v1, v57, v93, vcc
	v_mul_f32_e32 v93, 0x3fb8aa3b, v2
	v_pk_mul_f16 v92, v95, v66 op_sel_hi:[0,1]
	v_pk_mul_f16 v66, v95, v67 op_sel_hi:[0,1]
	v_ldexp_f32 v67, v96, v103
	v_fma_f32 v95, v2, s13, -v93
	v_rndne_f32_e32 v96, v93
	v_fmac_f32_e32 v95, 0x32a5705f, v2
	v_sub_f32_e32 v93, v93, v96
	v_add_f32_e32 v93, v93, v95
	v_exp_f32_e32 v93, v93
	v_cvt_i32_f32_e32 v95, v96
	v_cmp_ngt_f32_e32 vcc, s19, v3
	v_cndmask_b32_e32 v67, 0, v67, vcc
	v_cmp_nlt_f32_e32 vcc, s24, v3
	v_cndmask_b32_e32 v105, v57, v67, vcc
	v_ldexp_f32 v3, v93, v95
	v_cmp_ngt_f32_e32 vcc, s19, v2
	v_cndmask_b32_e32 v3, 0, v3, vcc
	v_cmp_nlt_f32_e32 vcc, s24, v2
	v_cndmask_b32_e32 v95, v57, v3, vcc
	v_pk_add_f32 v[2:3], v[94:95], v[104:105]
	v_cvt_f16_f32_e32 v96, v1
	v_pk_fma_f32 v[8:9], v[8:9], v[0:1], v[2:3]
	v_max_f32_e32 v0, v98, v98
	v_max_f32_e32 v1, v78, v78
	v_max_f32_e32 v2, v1, v0
	v_max_f32_e32 v0, v102, v102
	v_max_f32_e32 v1, v101, v101
	v_max_f32_e32 v3, v1, v0
	v_max_f32_e32 v0, v91, v91
	v_max_f32_e32 v1, v90, v90
	v_max_f32_e32 v1, v1, v0
	v_max_f32_e32 v0, v88, v88
	v_max_f32_e32 v78, v87, v87
	v_max_f32_e32 v0, v78, v0
	v_sub_f32_e32 v78, v97, v2
	v_mul_f32_e32 v87, 0x3fb8aa3b, v78
	v_fma_f32 v88, v78, s13, -v87
	v_rndne_f32_e32 v90, v87
	v_fmac_f32_e32 v88, 0x32a5705f, v78
	v_sub_f32_e32 v87, v87, v90
	v_add_f32_e32 v87, v87, v88
	v_exp_f32_e32 v87, v87
	v_cvt_i32_f32_e32 v88, v90
	v_sub_f32_e32 v90, v79, v1
	v_sub_f32_e32 v79, v89, v3
	v_cmp_ngt_f32_e32 vcc, s19, v78
	v_ldexp_f32 v87, v87, v88
	v_mul_f32_e32 v88, 0x3fb8aa3b, v79
	v_fma_f32 v89, v79, s13, -v88
	v_rndne_f32_e32 v91, v88
	v_fmac_f32_e32 v89, 0x32a5705f, v79
	v_sub_f32_e32 v88, v88, v91
	v_add_f32_e32 v88, v88, v89
	v_exp_f32_e32 v88, v88
	v_cvt_i32_f32_e32 v89, v91
	v_cndmask_b32_e32 v87, 0, v87, vcc
	v_cmp_nlt_f32_e32 vcc, s24, v78
	v_cndmask_b32_e32 v78, v57, v87, vcc
	v_ldexp_f32 v87, v88, v89
	v_mul_f32_e32 v88, 0x3fb8aa3b, v90
	v_fma_f32 v89, v90, s13, -v88
	v_rndne_f32_e32 v91, v88
	v_fmac_f32_e32 v89, 0x32a5705f, v90
	v_sub_f32_e32 v88, v88, v91
	v_add_f32_e32 v88, v88, v89
	v_exp_f32_e32 v88, v88
	v_cvt_i32_f32_e32 v89, v91
	v_cmp_ngt_f32_e32 vcc, s19, v79
	v_sub_f32_e32 v86, v86, v0
	v_cndmask_b32_e32 v87, 0, v87, vcc
	v_cmp_nlt_f32_e32 vcc, s24, v79
	v_cndmask_b32_e32 v79, v57, v87, vcc
	v_ldexp_f32 v87, v88, v89
	v_mul_f32_e32 v88, 0x3fb8aa3b, v86
	v_fma_f32 v89, v86, s13, -v88
	v_rndne_f32_e32 v91, v88
	v_fmac_f32_e32 v89, 0x32a5705f, v86
	v_sub_f32_e32 v88, v88, v91
	v_add_f32_e32 v88, v88, v89
	v_exp_f32_e32 v88, v88
	v_cvt_i32_f32_e32 v89, v91
	v_pk_add_f32 v[4:5], v[4:5], v[0:1] neg_lo:[0,1] neg_hi:[0,1]
	v_cmp_ngt_f32_e32 vcc, s19, v90
	v_cndmask_b32_e32 v87, 0, v87, vcc
	v_ldexp_f32 v88, v88, v89
	v_mul_f32_e32 v89, 0x3fb8aa3b, v5
	v_cmp_nlt_f32_e32 vcc, s24, v90
	v_fma_f32 v90, v5, s13, -v89
	v_rndne_f32_e32 v91, v89
	v_fmac_f32_e32 v90, 0x32a5705f, v5
	v_sub_f32_e32 v89, v89, v91
	v_add_f32_e32 v89, v89, v90
	v_exp_f32_e32 v89, v89
	v_cvt_i32_f32_e32 v90, v91
	v_cndmask_b32_e32 v87, v57, v87, vcc
	v_cmp_ngt_f32_e32 vcc, s19, v86
	v_cndmask_b32_e32 v88, 0, v88, vcc
	v_cmp_nlt_f32_e32 vcc, s24, v86
	v_cndmask_b32_e32 v86, v57, v88, vcc
	v_ldexp_f32 v88, v89, v90
	v_mul_f32_e32 v89, 0x3fb8aa3b, v4
	v_fma_f32 v90, v4, s13, -v89
	v_rndne_f32_e32 v91, v89
	v_fmac_f32_e32 v90, 0x32a5705f, v4
	v_sub_f32_e32 v89, v89, v91
	v_add_f32_e32 v89, v89, v90
	v_exp_f32_e32 v89, v89
	v_cvt_i32_f32_e32 v90, v91
	v_cmp_ngt_f32_e32 vcc, s19, v5
	v_cndmask_b32_e32 v88, 0, v88, vcc
	v_cmp_nlt_f32_e32 vcc, s24, v5
	v_cndmask_b32_e32 v5, v57, v88, vcc
	v_ldexp_f32 v88, v89, v90
	v_cmp_ngt_f32_e32 vcc, s19, v4
	v_cndmask_b32_e32 v88, 0, v88, vcc
	v_cmp_nlt_f32_e32 vcc, s24, v4
	v_cndmask_b32_e32 v4, v57, v88, vcc
	v_pk_add_f32 v[20:21], v[20:21], v[0:1] neg_lo:[0,1] neg_hi:[0,1]
	v_cvt_f16_f32_e32 v90, v4
	v_pk_add_f32 v[88:89], v[86:87], v[4:5]
	v_mul_f32_e32 v4, 0x3fb8aa3b, v21
	v_cvt_f16_f32_e32 v74, v94
	v_fma_f32 v91, v21, s13, -v4
	v_rndne_f32_e32 v94, v4
	v_fmac_f32_e32 v91, 0x32a5705f, v21
	v_sub_f32_e32 v4, v4, v94
	v_add_f32_e32 v4, v4, v91
	v_cvt_i32_f32_e32 v91, v94
	v_mul_f32_e32 v94, 0x3fb8aa3b, v20
	v_cvt_f16_f32_e32 v67, v95
	v_pk_mul_f16 v63, v96, v63 op_sel_hi:[0,1]
	v_pk_mul_f16 v62, v96, v62 op_sel_hi:[0,1]
	v_fma_f32 v95, v20, s13, -v94
	v_rndne_f32_e32 v96, v94
	v_fmac_f32_e32 v95, 0x32a5705f, v20
	v_sub_f32_e32 v94, v94, v96
	v_exp_f32_e32 v4, v4
	v_add_f32_e32 v94, v94, v95
	v_exp_f32_e32 v94, v94
	v_cvt_i32_f32_e32 v95, v96
	v_ldexp_f32 v4, v4, v91
	v_cmp_ngt_f32_e32 vcc, s19, v21
	v_cndmask_b32_e32 v4, 0, v4, vcc
	v_ldexp_f32 v91, v94, v95
	v_cmp_ngt_f32_e32 vcc, s19, v20
	v_cndmask_b32_e32 v91, 0, v91, vcc
	v_cmp_nlt_f32_e32 vcc, s24, v20
	v_cndmask_b32_e32 v20, v57, v91, vcc
	v_cmp_nlt_f32_e32 vcc, s24, v21
	v_cndmask_b32_e32 v21, v57, v4, vcc
	v_cvt_f16_f32_e32 v91, v20
	v_cvt_f16_f32_e32 v4, v21
	v_pk_fma_f32 v[12:13], v[12:13], v[20:21], v[88:89]
	v_cvt_f16_f32_e32 v88, v5
	v_pk_mul_f16 v72, v91, v72 op_sel_hi:[0,1]
	v_pk_mul_f16 v73, v91, v73 op_sel_hi:[0,1]
	v_pk_mul_f16 v89, v4, v71 op_sel_hi:[0,1]
	v_pk_mul_f16 v91, v4, v70 op_sel_hi:[0,1]
	v_pk_add_f32 v[4:5], v[22:23], v[2:3] neg_lo:[0,1] neg_hi:[0,1]
	v_mul_f32_e32 v20, 0x3fb8aa3b, v5
	v_fma_f32 v21, v5, s13, -v20
	v_rndne_f32_e32 v22, v20
	v_fmac_f32_e32 v21, 0x32a5705f, v5
	v_sub_f32_e32 v20, v20, v22
	v_add_f32_e32 v20, v20, v21
	v_exp_f32_e32 v20, v20
	v_cvt_i32_f32_e32 v21, v22
	v_cmp_ngt_f32_e32 vcc, s19, v5
	v_cvt_f16_f32_e32 v70, v87
	v_cvt_f16_f32_e32 v71, v86
	v_ldexp_f32 v20, v20, v21
	v_mul_f32_e32 v21, 0x3fb8aa3b, v4
	v_fma_f32 v22, v4, s13, -v21
	v_rndne_f32_e32 v23, v21
	v_fmac_f32_e32 v22, 0x32a5705f, v4
	v_sub_f32_e32 v21, v21, v23
	v_add_f32_e32 v21, v21, v22
	v_exp_f32_e32 v22, v21
	v_cvt_i32_f32_e32 v23, v23
	v_cndmask_b32_e32 v20, 0, v20, vcc
	v_cmp_nlt_f32_e32 vcc, s24, v5
	v_cndmask_b32_e32 v21, v57, v20, vcc
	v_ldexp_f32 v5, v22, v23
	v_cmp_ngt_f32_e32 vcc, s19, v4
	v_cndmask_b32_e32 v5, 0, v5, vcc
	v_cmp_nlt_f32_e32 vcc, s24, v4
	v_cndmask_b32_e32 v20, v57, v5, vcc
	v_pk_add_f32 v[4:5], v[18:19], v[2:3] neg_lo:[0,1] neg_hi:[0,1]
	v_cvt_f16_f32_e32 v94, v20
	v_pk_add_f32 v[18:19], v[78:79], v[20:21]
	v_mul_f32_e32 v20, 0x3fb8aa3b, v5
	v_fma_f32 v22, v5, s13, -v20
	v_rndne_f32_e32 v23, v20
	v_fmac_f32_e32 v22, 0x32a5705f, v5
	v_sub_f32_e32 v20, v20, v23
	v_add_f32_e32 v20, v20, v22
	v_cvt_i32_f32_e32 v22, v23
	v_mul_f32_e32 v23, 0x3fb8aa3b, v4
	v_cvt_f16_f32_e32 v86, v79
	v_cvt_f16_f32_e32 v87, v78
	v_fma_f32 v78, v4, s13, -v23
	v_rndne_f32_e32 v79, v23
	v_fmac_f32_e32 v78, 0x32a5705f, v4
	v_sub_f32_e32 v23, v23, v79
	v_exp_f32_e32 v20, v20
	v_add_f32_e32 v23, v23, v78
	v_exp_f32_e32 v23, v23
	v_cvt_i32_f32_e32 v78, v79
	v_ldexp_f32 v20, v20, v22
	v_cmp_ngt_f32_e32 vcc, s19, v5
	v_cndmask_b32_e32 v20, 0, v20, vcc
	v_ldexp_f32 v22, v23, v78
	v_cmp_ngt_f32_e32 vcc, s19, v4
	v_cndmask_b32_e32 v22, 0, v22, vcc
	v_cmp_nlt_f32_e32 vcc, s24, v4
	v_cndmask_b32_e32 v4, v57, v22, vcc
	v_cmp_nlt_f32_e32 vcc, s24, v5
	v_cvt_f16_f32_e32 v22, v4
	v_cndmask_b32_e32 v5, v57, v20, vcc
	v_pk_fma_f32 v[14:15], v[14:15], v[4:5], v[18:19]
	v_cvt_f16_f32_e32 v18, v5
	v_max_f32_e32 v4, v100, v100
	v_max_f32_e32 v5, v99, v99
	;; [unrolled: 1-line block ×6, first 2 shown]
	v_pk_mul_f16 v78, v22, v69 op_sel_hi:[0,1]
	v_pk_mul_f16 v79, v22, v68 op_sel_hi:[0,1]
	v_pk_add_f32 v[22:23], v[26:27], v[4:5] neg_lo:[0,1] neg_hi:[0,1]
	v_mul_f32_e32 v19, 0x3fb8aa3b, v23
	v_fma_f32 v20, v23, s13, -v19
	v_rndne_f32_e32 v26, v19
	v_fmac_f32_e32 v20, 0x32a5705f, v23
	v_sub_f32_e32 v19, v19, v26
	v_add_f32_e32 v19, v19, v20
	v_exp_f32_e32 v19, v19
	v_cvt_i32_f32_e32 v20, v26
	v_pk_mul_f16 v64, v18, v64 op_sel_hi:[0,1]
	v_pk_mul_f16 v65, v18, v65 op_sel_hi:[0,1]
	v_cvt_f16_f32_e32 v26, v21
	v_ldexp_f32 v18, v19, v20
	v_mul_f32_e32 v19, 0x3fb8aa3b, v22
	v_fma_f32 v20, v22, s13, -v19
	v_rndne_f32_e32 v21, v19
	v_fmac_f32_e32 v20, 0x32a5705f, v22
	v_sub_f32_e32 v19, v19, v21
	v_add_f32_e32 v19, v19, v20
	v_exp_f32_e32 v19, v19
	v_cvt_i32_f32_e32 v20, v21
	v_cmp_ngt_f32_e32 vcc, s19, v23
	v_cndmask_b32_e32 v18, 0, v18, vcc
	v_cmp_nlt_f32_e32 vcc, s24, v23
	v_cndmask_b32_e32 v23, v57, v18, vcc
	v_ldexp_f32 v27, v19, v20
	v_mov_b32_e32 v19, s11
	v_add_co_u32_e32 v18, vcc, s10, v50
	v_addc_co_u32_e32 v19, vcc, v51, v19, vcc
	s_barrier
	global_load_dwordx4 v[18:21], v[18:19], off
	v_pk_add_f32 v[24:25], v[24:25], v[4:5] neg_lo:[0,1] neg_hi:[0,1]
	v_mul_f32_e32 v68, 0x3fb8aa3b, v25
	v_fma_f32 v69, v25, s13, -v68
	v_rndne_f32_e32 v76, v68
	v_fmac_f32_e32 v69, 0x32a5705f, v25
	v_sub_f32_e32 v68, v68, v76
	v_add_f32_e32 v68, v68, v69
	v_exp_f32_e32 v68, v68
	v_cvt_i32_f32_e32 v69, v76
	v_cmp_ngt_f32_e32 vcc, s19, v22
	v_cndmask_b32_e32 v27, 0, v27, vcc
	v_cmp_nlt_f32_e32 vcc, s24, v22
	v_ldexp_f32 v68, v68, v69
	v_mul_f32_e32 v69, 0x3fb8aa3b, v24
	v_fma_f32 v77, v24, s13, -v69
	v_rndne_f32_e32 v95, v69
	v_fmac_f32_e32 v77, 0x32a5705f, v24
	v_sub_f32_e32 v69, v69, v95
	v_add_f32_e32 v69, v69, v77
	v_exp_f32_e32 v69, v69
	v_cvt_i32_f32_e32 v77, v95
	v_cndmask_b32_e32 v22, v57, v27, vcc
	v_cmp_ngt_f32_e32 vcc, s19, v25
	v_cndmask_b32_e32 v68, 0, v68, vcc
	v_cmp_nlt_f32_e32 vcc, s24, v25
	v_pk_add_f32 v[16:17], v[16:17], v[4:5] neg_lo:[0,1] neg_hi:[0,1]
	v_cndmask_b32_e32 v25, v57, v68, vcc
	v_ldexp_f32 v68, v69, v77
	v_mul_f32_e32 v69, 0x3fb8aa3b, v17
	v_fma_f32 v77, v17, s13, -v69
	v_rndne_f32_e32 v95, v69
	v_fmac_f32_e32 v77, 0x32a5705f, v17
	v_sub_f32_e32 v69, v69, v95
	v_add_f32_e32 v69, v69, v77
	v_cvt_i32_f32_e32 v77, v95
	v_mul_f32_e32 v95, 0x3fb8aa3b, v16
	v_fma_f32 v96, v16, s13, -v95
	v_rndne_f32_e32 v97, v95
	v_fmac_f32_e32 v96, 0x32a5705f, v16
	v_sub_f32_e32 v95, v95, v97
	v_add_f32_e32 v95, v95, v96
	v_exp_f32_e32 v69, v69
	v_exp_f32_e32 v95, v95
	v_cvt_i32_f32_e32 v96, v97
	v_cmp_ngt_f32_e32 vcc, s19, v24
	v_cndmask_b32_e32 v68, 0, v68, vcc
	v_cmp_nlt_f32_e32 vcc, s24, v24
	v_cndmask_b32_e32 v24, v57, v68, vcc
	v_ldexp_f32 v69, v69, v77
	v_ldexp_f32 v77, v95, v96
	v_cmp_ngt_f32_e32 vcc, s19, v16
	v_cndmask_b32_e32 v77, 0, v77, vcc
	v_cmp_nlt_f32_e32 vcc, s24, v16
	v_cndmask_b32_e32 v16, v57, v77, vcc
	v_cvt_f16_f32_e32 v77, v16
	v_cvt_f16_f32_e32 v27, v23
	;; [unrolled: 1-line block ×6, first 2 shown]
	v_cmp_ngt_f32_e32 vcc, s19, v17
	v_pk_mul_f16 v95, v77, v60 op_sel_hi:[0,1]
	v_pk_mul_f16 v77, v77, v61 op_sel_hi:[0,1]
	v_cvt_f16_f32_e32 v61, v25
	v_cndmask_b32_e32 v69, 0, v69, vcc
	v_cmp_nlt_f32_e32 vcc, s24, v17
	v_cndmask_b32_e32 v17, v57, v69, vcc
	v_pk_add_f32 v[22:23], v[22:23], v[24:25]
	v_pk_fma_f32 v[10:11], v[10:11], v[16:17], v[22:23]
	v_pack_b32_f16 v25, v74, v67
	v_pack_b32_f16 v24, v76, v27
	;; [unrolled: 1-line block ×4, first 2 shown]
	v_cvt_f16_f32_e32 v60, v17
	ds_write_b128 v56, v[22:25]
	v_pack_b32_f16 v25, v75, v93
	v_pack_b32_f16 v24, v68, v61
	;; [unrolled: 1-line block ×4, first 2 shown]
	ds_write_b128 v56, v[22:25] offset:512
	s_waitcnt vmcnt(0)
	ds_write_b128 v49, v[18:21]
	s_waitcnt lgkmcnt(0)
	s_barrier
	ds_read2_b64 v[16:19], v52 offset1:32
	ds_read_b128 v[20:23], v48
	v_pk_mul_f16 v96, v60, v59 op_sel_hi:[0,1]
	v_pk_mul_f16 v67, v60, v58 op_sel_hi:[0,1]
	ds_read_b128 v[24:27], v48 offset:16
	ds_read_b128 v[58:61], v48 offset:32
	;; [unrolled: 1-line block ×3, first 2 shown]
	s_or_b32 s10, s6, 16
	s_waitcnt lgkmcnt(3)
	v_pk_fma_f16 v72, v16, v20, v72 op_sel_hi:[1,0,1]
	v_pk_fma_f16 v74, v16, v20, v89 op_sel:[0,1,0]
	v_pk_fma_f16 v75, v16, v21, v78 op_sel_hi:[1,0,1]
	v_pk_fma_f16 v64, v16, v21, v64 op_sel:[0,1,0]
	;; [unrolled: 2-line block ×8, first 2 shown]
	s_waitcnt lgkmcnt(2)
	v_pk_fma_f16 v62, v18, v24, v72 op_sel_hi:[1,0,1]
	v_pk_fma_f16 v72, v18, v24, v74 op_sel:[0,1,0]
	v_pk_fma_f16 v74, v18, v25, v75 op_sel_hi:[1,0,1]
	v_pk_fma_f16 v64, v18, v25, v64 op_sel:[0,1,0]
	;; [unrolled: 2-line block ×6, first 2 shown]
	ds_read2_b64 v[20:23], v52 offset0:64 offset1:96
	v_pk_fma_f16 v65, v19, v26, v65 op_sel_hi:[1,0,1]
	v_pk_fma_f16 v26, v19, v26, v67 op_sel:[0,1,0]
	v_pk_fma_f16 v66, v19, v27, v66 op_sel_hi:[1,0,1]
	v_pk_fma_f16 v17, v19, v27, v17 op_sel:[0,1,0]
	s_waitcnt lgkmcnt(0)
	v_pk_fma_f16 v19, v20, v58, v62 op_sel_hi:[1,0,1]
	v_pk_fma_f16 v27, v20, v58, v72 op_sel:[0,1,0]
	v_pk_fma_f16 v62, v20, v59, v74 op_sel_hi:[1,0,1]
	v_pk_fma_f16 v64, v20, v59, v64 op_sel:[0,1,0]
	;; [unrolled: 2-line block ×12, first 2 shown]
	v_pk_fma_f16 v73, v23, v68, v18 op_sel_hi:[1,0,1]
	v_pk_fma_f16 v74, v23, v69, v24 op_sel_hi:[1,0,1]
	v_pk_fma_f16 v69, v23, v69, v25 op_sel:[0,1,0]
	ds_read2_b64 v[16:19], v52 offset0:128 offset1:160
	ds_read_b128 v[24:27], v48 offset:64
	v_pk_fma_f16 v68, v23, v68, v20 op_sel:[0,1,0]
	v_pk_fma_f16 v58, v23, v70, v58 op_sel_hi:[1,0,1]
	v_pk_fma_f16 v59, v23, v70, v59 op_sel:[0,1,0]
	v_pk_fma_f16 v60, v23, v71, v60 op_sel_hi:[1,0,1]
	v_pk_fma_f16 v70, v23, v71, v21 op_sel:[0,1,0]
	ds_read_b128 v[20:23], v48 offset:80
	s_waitcnt lgkmcnt(1)
	v_pk_fma_f16 v61, v16, v24, v61 op_sel_hi:[1,0,1]
	v_pk_fma_f16 v63, v16, v24, v63 op_sel:[0,1,0]
	v_pk_fma_f16 v62, v16, v25, v62 op_sel_hi:[1,0,1]
	v_pk_fma_f16 v64, v16, v25, v64 op_sel:[0,1,0]
	;; [unrolled: 2-line block ×4, first 2 shown]
	v_pk_fma_f16 v58, v17, v26, v58 op_sel_hi:[1,0,1]
	v_pk_fma_f16 v65, v16, v26, v65 op_sel_hi:[1,0,1]
	v_pk_fma_f16 v66, v16, v26, v66 op_sel:[0,1,0]
	v_pk_fma_f16 v67, v16, v27, v67 op_sel_hi:[1,0,1]
	v_pk_fma_f16 v16, v16, v27, v72 op_sel:[0,1,0]
	v_pk_fma_f16 v69, v17, v26, v59 op_sel:[0,1,0]
	v_pk_fma_f16 v72, v17, v27, v60 op_sel_hi:[1,0,1]
	v_pk_fma_f16 v17, v17, v27, v70 op_sel:[0,1,0]
	s_waitcnt lgkmcnt(0)
	v_pk_fma_f16 v70, v18, v20, v61 op_sel_hi:[1,0,1]
	v_pk_fma_f16 v63, v18, v20, v63 op_sel:[0,1,0]
	v_pk_fma_f16 v62, v18, v21, v62 op_sel_hi:[1,0,1]
	v_pk_fma_f16 v64, v18, v21, v64 op_sel:[0,1,0]
	;; [unrolled: 2-line block ×4, first 2 shown]
	v_pk_fma_f16 v74, v19, v22, v58 op_sel_hi:[1,0,1]
	ds_read2_b64 v[24:27], v52 offset0:192 offset1:224
	ds_read_b128 v[58:61], v48 offset:96
	v_pk_fma_f16 v65, v18, v22, v65 op_sel_hi:[1,0,1]
	v_pk_fma_f16 v66, v18, v22, v66 op_sel:[0,1,0]
	v_pk_fma_f16 v67, v18, v23, v67 op_sel_hi:[1,0,1]
	v_pk_fma_f16 v73, v18, v23, v16 op_sel:[0,1,0]
	v_pk_fma_f16 v22, v19, v22, v69 op_sel:[0,1,0]
	v_pk_fma_f16 v69, v19, v23, v72 op_sel_hi:[1,0,1]
	v_pk_fma_f16 v23, v19, v23, v17 op_sel:[0,1,0]
	ds_read_b128 v[16:19], v48 offset:112
	s_waitcnt lgkmcnt(1)
	v_pk_fma_f16 v70, v24, v58, v70 op_sel_hi:[1,0,1]
	v_pk_fma_f16 v63, v24, v58, v63 op_sel:[0,1,0]
	v_pk_fma_f16 v71, v25, v58, v71 op_sel_hi:[1,0,1]
	v_pk_fma_f16 v20, v25, v58, v20 op_sel:[0,1,0]
	;; [unrolled: 2-line block ×6, first 2 shown]
	v_pk_fma_f16 v59, v25, v60, v74 op_sel_hi:[1,0,1]
	s_waitcnt lgkmcnt(0)
	v_pk_fma_f16 v70, v26, v16, v70 op_sel_hi:[1,0,1]
	v_pk_fma_f16 v63, v26, v16, v63 op_sel:[0,1,0]
	v_pk_fma_f16 v71, v27, v16, v71 op_sel_hi:[1,0,1]
	v_pk_fma_f16 v73, v27, v16, v20 op_sel:[0,1,0]
	v_add_u32_e32 v16, 0x800, v52
	v_pk_fma_f16 v68, v25, v60, v22 op_sel:[0,1,0]
	v_pk_fma_f16 v69, v25, v61, v69 op_sel_hi:[1,0,1]
	v_pk_fma_f16 v25, v25, v61, v23 op_sel:[0,1,0]
	v_pk_fma_f16 v62, v26, v17, v62 op_sel_hi:[1,0,1]
	;; [unrolled: 2-line block ×4, first 2 shown]
	ds_read2_b64 v[20:23], v16 offset1:32
	ds_read_b128 v[58:61], v48 offset:128
	v_pk_fma_f16 v65, v26, v18, v65 op_sel_hi:[1,0,1]
	v_pk_fma_f16 v66, v26, v18, v66 op_sel:[0,1,0]
	v_pk_fma_f16 v67, v26, v19, v67 op_sel_hi:[1,0,1]
	v_pk_fma_f16 v72, v26, v19, v24 op_sel:[0,1,0]
	v_pk_fma_f16 v18, v27, v18, v68 op_sel:[0,1,0]
	v_pk_fma_f16 v68, v27, v19, v69 op_sel_hi:[1,0,1]
	v_pk_fma_f16 v19, v27, v19, v25 op_sel:[0,1,0]
	ds_read_b128 v[24:27], v48 offset:144
	s_waitcnt lgkmcnt(1)
	v_pk_fma_f16 v69, v20, v58, v70 op_sel_hi:[1,0,1]
	v_pk_fma_f16 v63, v20, v58, v63 op_sel:[0,1,0]
	v_pk_fma_f16 v62, v20, v59, v62 op_sel_hi:[1,0,1]
	v_pk_fma_f16 v64, v20, v59, v64 op_sel:[0,1,0]
	;; [unrolled: 2-line block ×8, first 2 shown]
	s_waitcnt lgkmcnt(0)
	v_pk_fma_f16 v74, v22, v27, v20 op_sel:[0,1,0]
	v_pk_fma_f16 v75, v23, v24, v58 op_sel:[0,1,0]
	v_pk_fma_f16 v76, v23, v26, v59 op_sel_hi:[1,0,1]
	ds_read2_b64 v[18:21], v16 offset0:64 offset1:96
	ds_read_b128 v[58:61], v48 offset:160
	s_mul_hi_i32 s11, s10, s15
	s_mul_i32 s10, s10, s15
	v_pk_fma_f16 v69, v22, v24, v69 op_sel_hi:[1,0,1]
	v_pk_fma_f16 v63, v22, v24, v63 op_sel:[0,1,0]
	v_pk_fma_f16 v62, v22, v25, v62 op_sel_hi:[1,0,1]
	v_pk_fma_f16 v64, v22, v25, v64 op_sel:[0,1,0]
	;; [unrolled: 2-line block ×3, first 2 shown]
	v_pk_fma_f16 v67, v22, v27, v67 op_sel_hi:[1,0,1]
	v_pk_fma_f16 v70, v23, v24, v70 op_sel_hi:[1,0,1]
	;; [unrolled: 1-line block ×3, first 2 shown]
	v_pk_fma_f16 v17, v23, v25, v17 op_sel:[0,1,0]
	v_pk_fma_f16 v26, v23, v26, v72 op_sel:[0,1,0]
	v_pk_fma_f16 v68, v23, v27, v68 op_sel_hi:[1,0,1]
	v_pk_fma_f16 v27, v23, v27, v73 op_sel:[0,1,0]
	s_lshl_b64 s[10:11], s[10:11], 2
	s_waitcnt lgkmcnt(0)
	v_pk_fma_f16 v78, v18, v58, v69 op_sel_hi:[1,0,1]
	v_pk_fma_f16 v79, v18, v58, v63 op_sel:[0,1,0]
	v_pk_fma_f16 v94, v18, v59, v62 op_sel_hi:[1,0,1]
	v_pk_fma_f16 v95, v18, v59, v64 op_sel:[0,1,0]
	;; [unrolled: 2-line block ×8, first 2 shown]
	v_mov_b32_e32 v19, s11
	v_add_co_u32_e32 v18, vcc, s10, v50
	v_addc_co_u32_e32 v19, vcc, v51, v19, vcc
	ds_read_b128 v[22:25], v48 offset:176
	ds_read2_b64 v[58:61], v16 offset0:128 offset1:160
	ds_read_b128 v[62:65], v48 offset:192
	ds_read_b128 v[66:69], v48 offset:208
	ds_read2_b64 v[70:73], v16 offset0:192 offset1:224
	ds_read_b128 v[74:77], v48 offset:224
	ds_read_b128 v[86:89], v48 offset:240
	s_waitcnt lgkmcnt(0)
	s_barrier
	global_load_dwordx4 v[90:93], v[18:19], off
	v_pk_fma_f16 v18, v20, v22, v78 op_sel_hi:[1,0,1]
	v_pk_fma_f16 v19, v20, v22, v79 op_sel:[0,1,0]
	v_pk_fma_f16 v78, v20, v23, v94 op_sel_hi:[1,0,1]
	v_pk_fma_f16 v79, v20, v23, v95 op_sel:[0,1,0]
	;; [unrolled: 2-line block ×39, first 2 shown]
	v_pk_fma_f16 v26, v73, v89, v26 op_sel_hi:[1,0,1]
	s_waitcnt vmcnt(0)
	ds_write_b128 v49, v[90:93]
	s_waitcnt lgkmcnt(0)
	s_barrier
	ds_read2_b64 v[18:21], v52 offset1:32
	ds_read_b128 v[22:25], v48 offset:256
	v_pk_fma_f16 v73, v73, v89, v63 op_sel:[0,1,0]
	ds_read_b128 v[58:61], v48 offset:272
	ds_read_b128 v[62:65], v48 offset:288
	;; [unrolled: 1-line block ×3, first 2 shown]
	s_or_b32 s10, s6, 32
	s_mul_hi_i32 s11, s10, s15
	s_waitcnt lgkmcnt(3)
	v_pk_fma_f16 v70, v18, v22, v70 op_sel_hi:[1,0,1]
	v_pk_fma_f16 v71, v18, v22, v71 op_sel:[0,1,0]
	v_pk_fma_f16 v74, v18, v23, v74 op_sel_hi:[1,0,1]
	v_pk_fma_f16 v27, v18, v23, v27 op_sel:[0,1,0]
	;; [unrolled: 2-line block ×8, first 2 shown]
	s_waitcnt lgkmcnt(2)
	v_pk_fma_f16 v70, v20, v58, v70 op_sel_hi:[1,0,1]
	v_pk_fma_f16 v71, v20, v58, v71 op_sel:[0,1,0]
	v_pk_fma_f16 v73, v20, v59, v74 op_sel_hi:[1,0,1]
	v_pk_fma_f16 v27, v20, v59, v27 op_sel:[0,1,0]
	;; [unrolled: 2-line block ×5, first 2 shown]
	ds_read2_b64 v[22:25], v52 offset0:64 offset1:96
	v_pk_fma_f16 v72, v21, v59, v78 op_sel_hi:[1,0,1]
	v_pk_fma_f16 v17, v21, v59, v17 op_sel:[0,1,0]
	v_pk_fma_f16 v59, v21, v60, v79 op_sel_hi:[1,0,1]
	v_pk_fma_f16 v60, v21, v60, v86 op_sel:[0,1,0]
	;; [unrolled: 2-line block ×3, first 2 shown]
	s_waitcnt lgkmcnt(0)
	v_pk_fma_f16 v21, v22, v62, v70 op_sel_hi:[1,0,1]
	v_pk_fma_f16 v61, v22, v62, v71 op_sel:[0,1,0]
	v_pk_fma_f16 v70, v22, v63, v73 op_sel_hi:[1,0,1]
	v_pk_fma_f16 v27, v22, v63, v27 op_sel:[0,1,0]
	v_pk_fma_f16 v71, v22, v64, v74 op_sel_hi:[1,0,1]
	v_pk_fma_f16 v73, v22, v64, v75 op_sel:[0,1,0]
	v_pk_fma_f16 v74, v22, v65, v76 op_sel_hi:[1,0,1]
	v_pk_fma_f16 v18, v22, v65, v18 op_sel:[0,1,0]
	v_pk_fma_f16 v20, v23, v62, v20 op_sel_hi:[1,0,1]
	v_pk_fma_f16 v22, v23, v62, v58 op_sel:[0,1,0]
	v_pk_fma_f16 v58, v23, v63, v72 op_sel_hi:[1,0,1]
	v_pk_fma_f16 v17, v23, v63, v17 op_sel:[0,1,0]
	v_pk_fma_f16 v59, v23, v64, v59 op_sel_hi:[1,0,1]
	v_pk_fma_f16 v62, v23, v64, v60 op_sel:[0,1,0]
	v_pk_fma_f16 v26, v23, v65, v26 op_sel_hi:[1,0,1]
	v_pk_fma_f16 v23, v23, v65, v19 op_sel:[0,1,0]
	v_pk_fma_f16 v63, v24, v66, v21 op_sel_hi:[1,0,1]
	v_pk_fma_f16 v64, v24, v66, v61 op_sel:[0,1,0]
	v_pk_fma_f16 v65, v24, v67, v70 op_sel_hi:[1,0,1]
	v_pk_fma_f16 v27, v24, v67, v27 op_sel:[0,1,0]
	v_pk_fma_f16 v70, v24, v68, v71 op_sel_hi:[1,0,1]
	v_pk_fma_f16 v71, v24, v68, v73 op_sel:[0,1,0]
	v_pk_fma_f16 v72, v24, v69, v74 op_sel_hi:[1,0,1]
	v_pk_fma_f16 v73, v24, v69, v18 op_sel:[0,1,0]
	v_pk_fma_f16 v74, v25, v66, v20 op_sel_hi:[1,0,1]
	v_pk_fma_f16 v75, v25, v67, v58 op_sel_hi:[1,0,1]
	v_pk_fma_f16 v17, v25, v67, v17 op_sel:[0,1,0]
	v_pk_fma_f16 v67, v25, v68, v59 op_sel_hi:[1,0,1]
	ds_read2_b64 v[18:21], v52 offset0:128 offset1:160
	ds_read_b128 v[58:61], v48 offset:320
	v_pk_fma_f16 v66, v25, v66, v22 op_sel:[0,1,0]
	v_pk_fma_f16 v62, v25, v68, v62 op_sel:[0,1,0]
	v_pk_fma_f16 v26, v25, v69, v26 op_sel_hi:[1,0,1]
	v_pk_fma_f16 v68, v25, v69, v23 op_sel:[0,1,0]
	ds_read_b128 v[22:25], v48 offset:336
	s_waitcnt lgkmcnt(1)
	v_pk_fma_f16 v63, v18, v58, v63 op_sel_hi:[1,0,1]
	v_pk_fma_f16 v64, v18, v58, v64 op_sel:[0,1,0]
	v_pk_fma_f16 v65, v18, v59, v65 op_sel_hi:[1,0,1]
	v_pk_fma_f16 v27, v18, v59, v27 op_sel:[0,1,0]
	;; [unrolled: 2-line block ×3, first 2 shown]
	v_pk_fma_f16 v71, v18, v61, v72 op_sel_hi:[1,0,1]
	v_pk_fma_f16 v72, v19, v58, v74 op_sel_hi:[1,0,1]
	v_pk_fma_f16 v58, v19, v58, v66 op_sel:[0,1,0]
	v_pk_fma_f16 v66, v19, v59, v75 op_sel_hi:[1,0,1]
	v_pk_fma_f16 v17, v19, v59, v17 op_sel:[0,1,0]
	;; [unrolled: 2-line block ×3, first 2 shown]
	v_pk_fma_f16 v67, v19, v60, v62 op_sel:[0,1,0]
	v_pk_fma_f16 v26, v19, v61, v26 op_sel_hi:[1,0,1]
	v_pk_fma_f16 v19, v19, v61, v68 op_sel:[0,1,0]
	s_waitcnt lgkmcnt(0)
	v_pk_fma_f16 v68, v20, v22, v63 op_sel_hi:[1,0,1]
	v_pk_fma_f16 v73, v20, v22, v64 op_sel:[0,1,0]
	v_pk_fma_f16 v74, v20, v23, v65 op_sel_hi:[1,0,1]
	v_pk_fma_f16 v27, v20, v23, v27 op_sel:[0,1,0]
	;; [unrolled: 2-line block ×4, first 2 shown]
	v_pk_fma_f16 v23, v21, v24, v59 op_sel_hi:[1,0,1]
	ds_read2_b64 v[58:61], v52 offset0:192 offset1:224
	ds_read_b128 v[62:65], v48 offset:352
	v_pk_fma_f16 v69, v20, v24, v69 op_sel_hi:[1,0,1]
	v_pk_fma_f16 v70, v20, v24, v70 op_sel:[0,1,0]
	v_pk_fma_f16 v71, v20, v25, v71 op_sel_hi:[1,0,1]
	v_pk_fma_f16 v75, v20, v25, v18 op_sel:[0,1,0]
	v_pk_fma_f16 v24, v21, v24, v67 op_sel:[0,1,0]
	v_pk_fma_f16 v26, v21, v25, v26 op_sel_hi:[1,0,1]
	v_pk_fma_f16 v25, v21, v25, v19 op_sel:[0,1,0]
	ds_read_b128 v[18:21], v48 offset:368
	s_waitcnt lgkmcnt(1)
	v_pk_fma_f16 v67, v58, v62, v68 op_sel_hi:[1,0,1]
	v_pk_fma_f16 v68, v58, v62, v73 op_sel:[0,1,0]
	v_pk_fma_f16 v73, v58, v63, v74 op_sel_hi:[1,0,1]
	v_pk_fma_f16 v27, v58, v63, v27 op_sel:[0,1,0]
	;; [unrolled: 2-line block ×5, first 2 shown]
	v_pk_fma_f16 v62, v59, v63, v66 op_sel_hi:[1,0,1]
	v_pk_fma_f16 v23, v59, v64, v23 op_sel_hi:[1,0,1]
	v_pk_fma_f16 v17, v59, v63, v17 op_sel:[0,1,0]
	v_pk_fma_f16 v66, v59, v64, v24 op_sel:[0,1,0]
	v_pk_fma_f16 v26, v59, v65, v26 op_sel_hi:[1,0,1]
	v_pk_fma_f16 v59, v59, v65, v25 op_sel:[0,1,0]
	s_waitcnt lgkmcnt(0)
	v_pk_fma_f16 v67, v60, v18, v67 op_sel_hi:[1,0,1]
	v_pk_fma_f16 v68, v60, v18, v68 op_sel:[0,1,0]
	v_pk_fma_f16 v73, v60, v19, v73 op_sel_hi:[1,0,1]
	v_pk_fma_f16 v27, v60, v19, v27 op_sel:[0,1,0]
	;; [unrolled: 2-line block ×5, first 2 shown]
	v_pk_fma_f16 v74, v61, v19, v62 op_sel_hi:[1,0,1]
	v_pk_fma_f16 v75, v61, v20, v23 op_sel_hi:[1,0,1]
	ds_read2_b64 v[22:25], v16 offset1:32
	ds_read_b128 v[62:65], v48 offset:384
	v_pk_fma_f16 v17, v61, v19, v17 op_sel:[0,1,0]
	v_pk_fma_f16 v66, v61, v20, v66 op_sel:[0,1,0]
	v_pk_fma_f16 v26, v61, v21, v26 op_sel_hi:[1,0,1]
	v_pk_fma_f16 v59, v61, v21, v59 op_sel:[0,1,0]
	ds_read_b128 v[18:21], v48 offset:400
	s_waitcnt lgkmcnt(1)
	v_pk_fma_f16 v61, v22, v62, v67 op_sel_hi:[1,0,1]
	v_pk_fma_f16 v67, v22, v62, v68 op_sel:[0,1,0]
	v_pk_fma_f16 v68, v22, v63, v73 op_sel_hi:[1,0,1]
	v_pk_fma_f16 v27, v22, v63, v27 op_sel:[0,1,0]
	;; [unrolled: 2-line block ×8, first 2 shown]
	s_waitcnt lgkmcnt(0)
	v_pk_fma_f16 v72, v24, v18, v61 op_sel_hi:[1,0,1]
	v_pk_fma_f16 v67, v24, v18, v67 op_sel:[0,1,0]
	v_pk_fma_f16 v68, v24, v19, v68 op_sel_hi:[1,0,1]
	v_pk_fma_f16 v27, v24, v19, v27 op_sel:[0,1,0]
	;; [unrolled: 2-line block ×5, first 2 shown]
	v_pk_fma_f16 v74, v25, v19, v62 op_sel_hi:[1,0,1]
	v_pk_fma_f16 v75, v25, v20, v63 op_sel_hi:[1,0,1]
	ds_read2_b64 v[58:61], v16 offset0:64 offset1:96
	ds_read_b128 v[62:65], v48 offset:416
	s_mul_i32 s10, s10, s15
	v_pk_fma_f16 v26, v25, v21, v26 op_sel_hi:[1,0,1]
	s_lshl_b64 s[10:11], s[10:11], 2
	v_pk_fma_f16 v17, v25, v19, v17 op_sel:[0,1,0]
	s_waitcnt lgkmcnt(0)
	v_pk_fma_f16 v95, v58, v63, v27 op_sel:[0,1,0]
	v_pk_fma_f16 v104, v59, v65, v26 op_sel_hi:[1,0,1]
	v_mov_b32_e32 v27, s11
	v_add_co_u32_e32 v26, vcc, s10, v50
	v_pk_fma_f16 v66, v25, v20, v66 op_sel:[0,1,0]
	v_pk_fma_f16 v23, v25, v21, v23 op_sel:[0,1,0]
	v_addc_co_u32_e32 v27, vcc, v51, v27, vcc
	ds_read_b128 v[18:21], v48 offset:432
	v_pk_fma_f16 v78, v58, v62, v72 op_sel_hi:[1,0,1]
	v_pk_fma_f16 v79, v58, v62, v67 op_sel:[0,1,0]
	v_pk_fma_f16 v94, v58, v63, v68 op_sel_hi:[1,0,1]
	v_pk_fma_f16 v96, v58, v64, v69 op_sel_hi:[1,0,1]
	v_pk_fma_f16 v97, v58, v64, v70 op_sel:[0,1,0]
	v_pk_fma_f16 v98, v58, v65, v71 op_sel_hi:[1,0,1]
	v_pk_fma_f16 v58, v58, v65, v22 op_sel:[0,1,0]
	;; [unrolled: 2-line block ×5, first 2 shown]
	v_pk_fma_f16 v59, v59, v65, v23 op_sel:[0,1,0]
	ds_read2_b64 v[22:25], v16 offset0:128 offset1:160
	ds_read_b128 v[62:65], v48 offset:448
	ds_read_b128 v[66:69], v48 offset:464
	ds_read2_b64 v[70:73], v16 offset0:192 offset1:224
	ds_read_b128 v[74:77], v48 offset:480
	ds_read_b128 v[86:89], v48 offset:496
	s_waitcnt lgkmcnt(0)
	s_barrier
	global_load_dwordx4 v[90:93], v[26:27], off
	v_pk_fma_f16 v26, v60, v18, v78 op_sel_hi:[1,0,1]
	v_pk_fma_f16 v27, v60, v18, v79 op_sel:[0,1,0]
	v_pk_fma_f16 v78, v60, v19, v94 op_sel_hi:[1,0,1]
	v_pk_fma_f16 v79, v60, v19, v95 op_sel:[0,1,0]
	v_pk_fma_f16 v94, v60, v20, v96 op_sel_hi:[1,0,1]
	v_pk_fma_f16 v95, v60, v20, v97 op_sel:[0,1,0]
	v_pk_fma_f16 v96, v60, v21, v98 op_sel_hi:[1,0,1]
	v_pk_fma_f16 v58, v60, v21, v58 op_sel:[0,1,0]
	v_pk_fma_f16 v60, v61, v18, v99 op_sel_hi:[1,0,1]
	v_pk_fma_f16 v18, v61, v18, v100 op_sel:[0,1,0]
	v_pk_fma_f16 v97, v61, v19, v101 op_sel_hi:[1,0,1]
	v_pk_fma_f16 v17, v61, v19, v17 op_sel:[0,1,0]
	v_pk_fma_f16 v19, v61, v20, v102 op_sel_hi:[1,0,1]
	v_pk_fma_f16 v20, v61, v20, v103 op_sel:[0,1,0]
	v_pk_fma_f16 v98, v61, v21, v104 op_sel_hi:[1,0,1]
	v_pk_fma_f16 v21, v61, v21, v59 op_sel:[0,1,0]
	v_pk_fma_f16 v26, v22, v62, v26 op_sel_hi:[1,0,1]
	v_pk_fma_f16 v27, v22, v62, v27 op_sel:[0,1,0]
	v_pk_fma_f16 v59, v22, v63, v78 op_sel_hi:[1,0,1]
	v_pk_fma_f16 v61, v22, v63, v79 op_sel:[0,1,0]
	v_pk_fma_f16 v78, v22, v64, v94 op_sel_hi:[1,0,1]
	v_pk_fma_f16 v79, v22, v64, v95 op_sel:[0,1,0]
	v_pk_fma_f16 v94, v22, v65, v96 op_sel_hi:[1,0,1]
	v_pk_fma_f16 v22, v22, v65, v58 op_sel:[0,1,0]
	v_pk_fma_f16 v58, v23, v62, v60 op_sel_hi:[1,0,1]
	v_pk_fma_f16 v18, v23, v62, v18 op_sel:[0,1,0]
	v_pk_fma_f16 v60, v23, v63, v97 op_sel_hi:[1,0,1]
	v_pk_fma_f16 v17, v23, v63, v17 op_sel:[0,1,0]
	v_pk_fma_f16 v19, v23, v64, v19 op_sel_hi:[1,0,1]
	v_pk_fma_f16 v20, v23, v64, v20 op_sel:[0,1,0]
	v_pk_fma_f16 v62, v23, v65, v98 op_sel_hi:[1,0,1]
	v_pk_fma_f16 v21, v23, v65, v21 op_sel:[0,1,0]
	v_pk_fma_f16 v23, v24, v66, v26 op_sel_hi:[1,0,1]
	v_pk_fma_f16 v26, v24, v66, v27 op_sel:[0,1,0]
	v_pk_fma_f16 v27, v24, v67, v59 op_sel_hi:[1,0,1]
	v_pk_fma_f16 v59, v24, v67, v61 op_sel:[0,1,0]
	v_pk_fma_f16 v61, v24, v68, v78 op_sel_hi:[1,0,1]
	v_pk_fma_f16 v63, v24, v68, v79 op_sel:[0,1,0]
	v_pk_fma_f16 v64, v24, v69, v94 op_sel_hi:[1,0,1]
	v_pk_fma_f16 v22, v24, v69, v22 op_sel:[0,1,0]
	v_pk_fma_f16 v24, v25, v66, v58 op_sel_hi:[1,0,1]
	v_pk_fma_f16 v18, v25, v66, v18 op_sel:[0,1,0]
	v_pk_fma_f16 v58, v25, v67, v60 op_sel_hi:[1,0,1]
	v_pk_fma_f16 v17, v25, v67, v17 op_sel:[0,1,0]
	v_pk_fma_f16 v19, v25, v68, v19 op_sel_hi:[1,0,1]
	v_pk_fma_f16 v20, v25, v68, v20 op_sel:[0,1,0]
	v_pk_fma_f16 v60, v25, v69, v62 op_sel_hi:[1,0,1]
	v_pk_fma_f16 v21, v25, v69, v21 op_sel:[0,1,0]
	v_pk_fma_f16 v23, v70, v74, v23 op_sel_hi:[1,0,1]
	v_pk_fma_f16 v25, v70, v74, v26 op_sel:[0,1,0]
	v_pk_fma_f16 v26, v70, v75, v27 op_sel_hi:[1,0,1]
	v_pk_fma_f16 v27, v70, v75, v59 op_sel:[0,1,0]
	v_pk_fma_f16 v59, v70, v76, v61 op_sel_hi:[1,0,1]
	v_pk_fma_f16 v61, v70, v76, v63 op_sel:[0,1,0]
	v_pk_fma_f16 v62, v70, v77, v64 op_sel_hi:[1,0,1]
	v_pk_fma_f16 v22, v70, v77, v22 op_sel:[0,1,0]
	v_pk_fma_f16 v24, v71, v74, v24 op_sel_hi:[1,0,1]
	v_pk_fma_f16 v18, v71, v74, v18 op_sel:[0,1,0]
	v_pk_fma_f16 v58, v71, v75, v58 op_sel_hi:[1,0,1]
	v_pk_fma_f16 v17, v71, v75, v17 op_sel:[0,1,0]
	v_pk_fma_f16 v19, v71, v76, v19 op_sel_hi:[1,0,1]
	v_pk_fma_f16 v20, v71, v76, v20 op_sel:[0,1,0]
	v_pk_fma_f16 v60, v71, v77, v60 op_sel_hi:[1,0,1]
	v_pk_fma_f16 v63, v71, v77, v21 op_sel:[0,1,0]
	v_pk_fma_f16 v70, v72, v86, v23 op_sel_hi:[1,0,1]
	v_pk_fma_f16 v71, v72, v86, v25 op_sel:[0,1,0]
	v_pk_fma_f16 v26, v72, v87, v26 op_sel_hi:[1,0,1]
	v_pk_fma_f16 v27, v72, v87, v27 op_sel:[0,1,0]
	v_pk_fma_f16 v74, v72, v88, v59 op_sel_hi:[1,0,1]
	v_pk_fma_f16 v75, v72, v88, v61 op_sel:[0,1,0]
	v_pk_fma_f16 v76, v72, v89, v62 op_sel_hi:[1,0,1]
	v_pk_fma_f16 v72, v72, v89, v22 op_sel:[0,1,0]
	v_pk_fma_f16 v77, v73, v86, v24 op_sel_hi:[1,0,1]
	v_pk_fma_f16 v78, v73, v86, v18 op_sel:[0,1,0]
	v_pk_fma_f16 v79, v73, v87, v58 op_sel_hi:[1,0,1]
	v_pk_fma_f16 v17, v73, v87, v17 op_sel:[0,1,0]
	v_pk_fma_f16 v86, v73, v88, v19 op_sel_hi:[1,0,1]
	v_pk_fma_f16 v87, v73, v88, v20 op_sel:[0,1,0]
	v_pk_fma_f16 v88, v73, v89, v60 op_sel_hi:[1,0,1]
	s_waitcnt vmcnt(0)
	ds_write_b128 v49, v[90:93]
	s_waitcnt lgkmcnt(0)
	s_barrier
	ds_read2_b64 v[18:21], v52 offset1:32
	ds_read_b128 v[22:25], v48 offset:512
	v_pk_fma_f16 v73, v73, v89, v63 op_sel:[0,1,0]
	ds_read_b128 v[58:61], v48 offset:528
	ds_read_b128 v[62:65], v48 offset:544
	;; [unrolled: 1-line block ×3, first 2 shown]
	s_or_b32 s10, s6, 48
	s_mul_hi_i32 s11, s10, s15
	s_waitcnt lgkmcnt(3)
	v_pk_fma_f16 v70, v18, v22, v70 op_sel_hi:[1,0,1]
	v_pk_fma_f16 v71, v18, v22, v71 op_sel:[0,1,0]
	v_pk_fma_f16 v26, v18, v23, v26 op_sel_hi:[1,0,1]
	v_pk_fma_f16 v27, v18, v23, v27 op_sel:[0,1,0]
	;; [unrolled: 2-line block ×8, first 2 shown]
	s_waitcnt lgkmcnt(2)
	v_pk_fma_f16 v70, v20, v58, v70 op_sel_hi:[1,0,1]
	v_pk_fma_f16 v71, v20, v58, v71 op_sel:[0,1,0]
	v_pk_fma_f16 v26, v20, v59, v26 op_sel_hi:[1,0,1]
	v_pk_fma_f16 v27, v20, v59, v27 op_sel:[0,1,0]
	;; [unrolled: 2-line block ×5, first 2 shown]
	ds_read2_b64 v[22:25], v52 offset0:64 offset1:96
	v_pk_fma_f16 v72, v21, v59, v77 op_sel_hi:[1,0,1]
	v_pk_fma_f16 v17, v21, v59, v17 op_sel:[0,1,0]
	v_pk_fma_f16 v59, v21, v60, v78 op_sel_hi:[1,0,1]
	v_pk_fma_f16 v60, v21, v60, v79 op_sel:[0,1,0]
	;; [unrolled: 2-line block ×3, first 2 shown]
	s_waitcnt lgkmcnt(0)
	v_pk_fma_f16 v21, v22, v62, v70 op_sel_hi:[1,0,1]
	v_pk_fma_f16 v61, v22, v62, v71 op_sel:[0,1,0]
	v_pk_fma_f16 v26, v22, v63, v26 op_sel_hi:[1,0,1]
	v_pk_fma_f16 v27, v22, v63, v27 op_sel:[0,1,0]
	;; [unrolled: 2-line block ×11, first 2 shown]
	v_pk_fma_f16 v74, v25, v66, v20 op_sel_hi:[1,0,1]
	v_pk_fma_f16 v75, v25, v67, v58 op_sel_hi:[1,0,1]
	v_pk_fma_f16 v17, v25, v67, v17 op_sel:[0,1,0]
	v_pk_fma_f16 v67, v25, v68, v59 op_sel_hi:[1,0,1]
	ds_read2_b64 v[18:21], v52 offset0:128 offset1:160
	ds_read_b128 v[58:61], v48 offset:576
	v_pk_fma_f16 v70, v24, v68, v70 op_sel_hi:[1,0,1]
	v_pk_fma_f16 v71, v24, v68, v71 op_sel:[0,1,0]
	v_pk_fma_f16 v66, v25, v66, v22 op_sel:[0,1,0]
	;; [unrolled: 1-line block ×3, first 2 shown]
	v_pk_fma_f16 v63, v25, v69, v63 op_sel_hi:[1,0,1]
	v_pk_fma_f16 v68, v25, v69, v23 op_sel:[0,1,0]
	ds_read_b128 v[22:25], v48 offset:592
	s_waitcnt lgkmcnt(1)
	v_pk_fma_f16 v64, v18, v58, v64 op_sel_hi:[1,0,1]
	v_pk_fma_f16 v65, v18, v58, v65 op_sel:[0,1,0]
	v_pk_fma_f16 v26, v18, v59, v26 op_sel_hi:[1,0,1]
	v_pk_fma_f16 v27, v18, v59, v27 op_sel:[0,1,0]
	v_pk_fma_f16 v69, v18, v60, v70 op_sel_hi:[1,0,1]
	v_pk_fma_f16 v70, v18, v60, v71 op_sel:[0,1,0]
	v_pk_fma_f16 v71, v18, v61, v72 op_sel_hi:[1,0,1]
	v_pk_fma_f16 v72, v19, v58, v74 op_sel_hi:[1,0,1]
	v_pk_fma_f16 v58, v19, v58, v66 op_sel:[0,1,0]
	v_pk_fma_f16 v66, v19, v59, v75 op_sel_hi:[1,0,1]
	v_pk_fma_f16 v17, v19, v59, v17 op_sel:[0,1,0]
	;; [unrolled: 2-line block ×3, first 2 shown]
	v_pk_fma_f16 v67, v19, v60, v62 op_sel:[0,1,0]
	v_pk_fma_f16 v73, v19, v61, v63 op_sel_hi:[1,0,1]
	v_pk_fma_f16 v19, v19, v61, v68 op_sel:[0,1,0]
	s_waitcnt lgkmcnt(0)
	v_pk_fma_f16 v68, v20, v22, v64 op_sel_hi:[1,0,1]
	v_pk_fma_f16 v74, v20, v22, v65 op_sel:[0,1,0]
	v_pk_fma_f16 v26, v20, v23, v26 op_sel_hi:[1,0,1]
	v_pk_fma_f16 v27, v20, v23, v27 op_sel:[0,1,0]
	v_pk_fma_f16 v72, v21, v22, v72 op_sel_hi:[1,0,1]
	v_pk_fma_f16 v22, v21, v22, v58 op_sel:[0,1,0]
	v_pk_fma_f16 v66, v21, v23, v66 op_sel_hi:[1,0,1]
	v_pk_fma_f16 v17, v21, v23, v17 op_sel:[0,1,0]
	v_pk_fma_f16 v23, v21, v24, v59 op_sel_hi:[1,0,1]
	ds_read2_b64 v[58:61], v52 offset0:192 offset1:224
	ds_read_b128 v[62:65], v48 offset:608
	v_pk_fma_f16 v69, v20, v24, v69 op_sel_hi:[1,0,1]
	v_pk_fma_f16 v70, v20, v24, v70 op_sel:[0,1,0]
	v_pk_fma_f16 v71, v20, v25, v71 op_sel_hi:[1,0,1]
	v_pk_fma_f16 v75, v20, v25, v18 op_sel:[0,1,0]
	v_pk_fma_f16 v24, v21, v24, v67 op_sel:[0,1,0]
	v_pk_fma_f16 v67, v21, v25, v73 op_sel_hi:[1,0,1]
	v_pk_fma_f16 v25, v21, v25, v19 op_sel:[0,1,0]
	ds_read_b128 v[18:21], v48 offset:624
	s_waitcnt lgkmcnt(1)
	v_pk_fma_f16 v68, v58, v62, v68 op_sel_hi:[1,0,1]
	v_pk_fma_f16 v73, v58, v62, v74 op_sel:[0,1,0]
	v_pk_fma_f16 v26, v58, v63, v26 op_sel_hi:[1,0,1]
	v_pk_fma_f16 v27, v58, v63, v27 op_sel:[0,1,0]
	;; [unrolled: 2-line block ×5, first 2 shown]
	v_pk_fma_f16 v62, v59, v63, v66 op_sel_hi:[1,0,1]
	v_pk_fma_f16 v23, v59, v64, v23 op_sel_hi:[1,0,1]
	v_pk_fma_f16 v17, v59, v63, v17 op_sel:[0,1,0]
	v_pk_fma_f16 v66, v59, v64, v24 op_sel:[0,1,0]
	v_pk_fma_f16 v67, v59, v65, v67 op_sel_hi:[1,0,1]
	v_pk_fma_f16 v59, v59, v65, v25 op_sel:[0,1,0]
	s_waitcnt lgkmcnt(0)
	v_pk_fma_f16 v68, v60, v18, v68 op_sel_hi:[1,0,1]
	v_pk_fma_f16 v73, v60, v18, v73 op_sel:[0,1,0]
	v_pk_fma_f16 v26, v60, v19, v26 op_sel_hi:[1,0,1]
	v_pk_fma_f16 v27, v60, v19, v27 op_sel:[0,1,0]
	;; [unrolled: 2-line block ×5, first 2 shown]
	v_pk_fma_f16 v74, v61, v19, v62 op_sel_hi:[1,0,1]
	v_pk_fma_f16 v75, v61, v20, v23 op_sel_hi:[1,0,1]
	ds_read2_b64 v[22:25], v16 offset1:32
	ds_read_b128 v[62:65], v48 offset:640
	v_pk_fma_f16 v17, v61, v19, v17 op_sel:[0,1,0]
	v_pk_fma_f16 v66, v61, v20, v66 op_sel:[0,1,0]
	v_pk_fma_f16 v67, v61, v21, v67 op_sel_hi:[1,0,1]
	v_pk_fma_f16 v59, v61, v21, v59 op_sel:[0,1,0]
	ds_read_b128 v[18:21], v48 offset:656
	s_waitcnt lgkmcnt(1)
	v_pk_fma_f16 v61, v22, v62, v68 op_sel_hi:[1,0,1]
	v_pk_fma_f16 v68, v22, v62, v73 op_sel:[0,1,0]
	v_pk_fma_f16 v26, v22, v63, v26 op_sel_hi:[1,0,1]
	v_pk_fma_f16 v27, v22, v63, v27 op_sel:[0,1,0]
	;; [unrolled: 2-line block ×8, first 2 shown]
	s_waitcnt lgkmcnt(0)
	v_pk_fma_f16 v72, v24, v18, v61 op_sel_hi:[1,0,1]
	v_pk_fma_f16 v68, v24, v18, v68 op_sel:[0,1,0]
	v_pk_fma_f16 v26, v24, v19, v26 op_sel_hi:[1,0,1]
	v_pk_fma_f16 v27, v24, v19, v27 op_sel:[0,1,0]
	;; [unrolled: 2-line block ×5, first 2 shown]
	v_pk_fma_f16 v74, v25, v19, v62 op_sel_hi:[1,0,1]
	v_pk_fma_f16 v75, v25, v20, v63 op_sel_hi:[1,0,1]
	ds_read2_b64 v[58:61], v16 offset0:64 offset1:96
	ds_read_b128 v[62:65], v48 offset:672
	s_mul_i32 s10, s10, s15
	s_lshl_b64 s[10:11], s[10:11], 2
	v_pk_fma_f16 v17, v25, v19, v17 op_sel:[0,1,0]
	v_pk_fma_f16 v66, v25, v20, v66 op_sel:[0,1,0]
	s_waitcnt lgkmcnt(0)
	v_pk_fma_f16 v94, v58, v63, v26 op_sel_hi:[1,0,1]
	v_pk_fma_f16 v95, v58, v63, v27 op_sel:[0,1,0]
	v_mov_b32_e32 v27, s11
	v_add_co_u32_e32 v26, vcc, s10, v50
	v_pk_fma_f16 v67, v25, v21, v67 op_sel_hi:[1,0,1]
	v_pk_fma_f16 v23, v25, v21, v23 op_sel:[0,1,0]
	v_addc_co_u32_e32 v27, vcc, v51, v27, vcc
	ds_read_b128 v[18:21], v48 offset:688
	v_pk_fma_f16 v78, v58, v62, v72 op_sel_hi:[1,0,1]
	v_pk_fma_f16 v79, v58, v62, v68 op_sel:[0,1,0]
	v_pk_fma_f16 v96, v58, v64, v69 op_sel_hi:[1,0,1]
	v_pk_fma_f16 v97, v58, v64, v70 op_sel:[0,1,0]
	;; [unrolled: 2-line block ×7, first 2 shown]
	ds_read2_b64 v[22:25], v16 offset0:128 offset1:160
	ds_read_b128 v[62:65], v48 offset:704
	ds_read_b128 v[66:69], v48 offset:720
	ds_read2_b64 v[70:73], v16 offset0:192 offset1:224
	ds_read_b128 v[74:77], v48 offset:736
	ds_read_b128 v[86:89], v48 offset:752
	s_waitcnt lgkmcnt(0)
	s_barrier
	global_load_dwordx4 v[90:93], v[26:27], off
	v_pk_fma_f16 v26, v60, v18, v78 op_sel_hi:[1,0,1]
	v_pk_fma_f16 v27, v60, v18, v79 op_sel:[0,1,0]
	v_pk_fma_f16 v78, v60, v19, v94 op_sel_hi:[1,0,1]
	v_pk_fma_f16 v79, v60, v19, v95 op_sel:[0,1,0]
	;; [unrolled: 2-line block ×39, first 2 shown]
	v_pk_fma_f16 v88, v73, v89, v60 op_sel_hi:[1,0,1]
	s_waitcnt vmcnt(0)
	ds_write_b128 v49, v[90:93]
	s_waitcnt lgkmcnt(0)
	s_barrier
	ds_read2_b64 v[18:21], v52 offset1:32
	ds_read_b128 v[22:25], v48 offset:768
	v_pk_fma_f16 v73, v73, v89, v63 op_sel:[0,1,0]
	ds_read_b128 v[58:61], v48 offset:784
	ds_read_b128 v[62:65], v48 offset:800
	;; [unrolled: 1-line block ×3, first 2 shown]
	s_waitcnt lgkmcnt(3)
	v_pk_fma_f16 v70, v18, v22, v70 op_sel_hi:[1,0,1]
	v_pk_fma_f16 v71, v18, v22, v71 op_sel:[0,1,0]
	v_pk_fma_f16 v26, v18, v23, v26 op_sel_hi:[1,0,1]
	v_pk_fma_f16 v27, v18, v23, v27 op_sel:[0,1,0]
	;; [unrolled: 2-line block ×8, first 2 shown]
	s_waitcnt lgkmcnt(2)
	v_pk_fma_f16 v70, v20, v58, v70 op_sel_hi:[1,0,1]
	v_pk_fma_f16 v71, v20, v58, v71 op_sel:[0,1,0]
	v_pk_fma_f16 v26, v20, v59, v26 op_sel_hi:[1,0,1]
	v_pk_fma_f16 v27, v20, v59, v27 op_sel:[0,1,0]
	;; [unrolled: 2-line block ×5, first 2 shown]
	ds_read2_b64 v[22:25], v52 offset0:64 offset1:96
	v_pk_fma_f16 v72, v21, v59, v77 op_sel_hi:[1,0,1]
	v_pk_fma_f16 v17, v21, v59, v17 op_sel:[0,1,0]
	v_pk_fma_f16 v59, v21, v60, v78 op_sel_hi:[1,0,1]
	v_pk_fma_f16 v60, v21, v60, v79 op_sel:[0,1,0]
	;; [unrolled: 2-line block ×3, first 2 shown]
	s_waitcnt lgkmcnt(0)
	v_pk_fma_f16 v21, v22, v62, v70 op_sel_hi:[1,0,1]
	v_pk_fma_f16 v61, v22, v62, v71 op_sel:[0,1,0]
	v_pk_fma_f16 v26, v22, v63, v26 op_sel_hi:[1,0,1]
	v_pk_fma_f16 v27, v22, v63, v27 op_sel:[0,1,0]
	;; [unrolled: 2-line block ×11, first 2 shown]
	v_pk_fma_f16 v74, v25, v66, v20 op_sel_hi:[1,0,1]
	v_pk_fma_f16 v75, v25, v67, v58 op_sel_hi:[1,0,1]
	v_pk_fma_f16 v17, v25, v67, v17 op_sel:[0,1,0]
	v_pk_fma_f16 v67, v25, v68, v59 op_sel_hi:[1,0,1]
	ds_read2_b64 v[18:21], v52 offset0:128 offset1:160
	ds_read_b128 v[58:61], v48 offset:832
	v_pk_fma_f16 v70, v24, v68, v70 op_sel_hi:[1,0,1]
	v_pk_fma_f16 v71, v24, v68, v71 op_sel:[0,1,0]
	v_pk_fma_f16 v66, v25, v66, v22 op_sel:[0,1,0]
	;; [unrolled: 1-line block ×3, first 2 shown]
	v_pk_fma_f16 v63, v25, v69, v63 op_sel_hi:[1,0,1]
	v_pk_fma_f16 v68, v25, v69, v23 op_sel:[0,1,0]
	ds_read_b128 v[22:25], v48 offset:848
	s_waitcnt lgkmcnt(1)
	v_pk_fma_f16 v64, v18, v58, v64 op_sel_hi:[1,0,1]
	v_pk_fma_f16 v65, v18, v58, v65 op_sel:[0,1,0]
	v_pk_fma_f16 v26, v18, v59, v26 op_sel_hi:[1,0,1]
	v_pk_fma_f16 v27, v18, v59, v27 op_sel:[0,1,0]
	;; [unrolled: 2-line block ×3, first 2 shown]
	v_pk_fma_f16 v71, v18, v61, v72 op_sel_hi:[1,0,1]
	v_pk_fma_f16 v72, v19, v58, v74 op_sel_hi:[1,0,1]
	v_pk_fma_f16 v58, v19, v58, v66 op_sel:[0,1,0]
	v_pk_fma_f16 v66, v19, v59, v75 op_sel_hi:[1,0,1]
	v_pk_fma_f16 v17, v19, v59, v17 op_sel:[0,1,0]
	;; [unrolled: 2-line block ×3, first 2 shown]
	v_pk_fma_f16 v67, v19, v60, v62 op_sel:[0,1,0]
	v_pk_fma_f16 v73, v19, v61, v63 op_sel_hi:[1,0,1]
	v_pk_fma_f16 v19, v19, v61, v68 op_sel:[0,1,0]
	s_waitcnt lgkmcnt(0)
	v_pk_fma_f16 v68, v20, v22, v64 op_sel_hi:[1,0,1]
	v_pk_fma_f16 v74, v20, v22, v65 op_sel:[0,1,0]
	v_pk_fma_f16 v26, v20, v23, v26 op_sel_hi:[1,0,1]
	v_pk_fma_f16 v27, v20, v23, v27 op_sel:[0,1,0]
	;; [unrolled: 2-line block ×4, first 2 shown]
	v_pk_fma_f16 v23, v21, v24, v59 op_sel_hi:[1,0,1]
	ds_read2_b64 v[58:61], v52 offset0:192 offset1:224
	ds_read_b128 v[62:65], v48 offset:864
	v_pk_fma_f16 v69, v20, v24, v69 op_sel_hi:[1,0,1]
	v_pk_fma_f16 v70, v20, v24, v70 op_sel:[0,1,0]
	v_pk_fma_f16 v71, v20, v25, v71 op_sel_hi:[1,0,1]
	v_pk_fma_f16 v75, v20, v25, v18 op_sel:[0,1,0]
	v_pk_fma_f16 v24, v21, v24, v67 op_sel:[0,1,0]
	v_pk_fma_f16 v67, v21, v25, v73 op_sel_hi:[1,0,1]
	v_pk_fma_f16 v25, v21, v25, v19 op_sel:[0,1,0]
	ds_read_b128 v[18:21], v48 offset:880
	s_waitcnt lgkmcnt(1)
	v_pk_fma_f16 v68, v58, v62, v68 op_sel_hi:[1,0,1]
	v_pk_fma_f16 v73, v58, v62, v74 op_sel:[0,1,0]
	v_pk_fma_f16 v26, v58, v63, v26 op_sel_hi:[1,0,1]
	v_pk_fma_f16 v27, v58, v63, v27 op_sel:[0,1,0]
	;; [unrolled: 2-line block ×5, first 2 shown]
	v_pk_fma_f16 v62, v59, v63, v66 op_sel_hi:[1,0,1]
	v_pk_fma_f16 v23, v59, v64, v23 op_sel_hi:[1,0,1]
	v_pk_fma_f16 v17, v59, v63, v17 op_sel:[0,1,0]
	v_pk_fma_f16 v66, v59, v64, v24 op_sel:[0,1,0]
	v_pk_fma_f16 v67, v59, v65, v67 op_sel_hi:[1,0,1]
	v_pk_fma_f16 v59, v59, v65, v25 op_sel:[0,1,0]
	s_waitcnt lgkmcnt(0)
	v_pk_fma_f16 v68, v60, v18, v68 op_sel_hi:[1,0,1]
	v_pk_fma_f16 v73, v60, v18, v73 op_sel:[0,1,0]
	v_pk_fma_f16 v26, v60, v19, v26 op_sel_hi:[1,0,1]
	v_pk_fma_f16 v27, v60, v19, v27 op_sel:[0,1,0]
	;; [unrolled: 2-line block ×5, first 2 shown]
	v_pk_fma_f16 v74, v61, v19, v62 op_sel_hi:[1,0,1]
	v_pk_fma_f16 v75, v61, v20, v23 op_sel_hi:[1,0,1]
	ds_read2_b64 v[22:25], v16 offset1:32
	ds_read_b128 v[62:65], v48 offset:896
	v_pk_fma_f16 v17, v61, v19, v17 op_sel:[0,1,0]
	v_pk_fma_f16 v66, v61, v20, v66 op_sel:[0,1,0]
	v_pk_fma_f16 v67, v61, v21, v67 op_sel_hi:[1,0,1]
	v_pk_fma_f16 v59, v61, v21, v59 op_sel:[0,1,0]
	ds_read_b128 v[18:21], v48 offset:912
	s_waitcnt lgkmcnt(1)
	v_pk_fma_f16 v61, v22, v62, v68 op_sel_hi:[1,0,1]
	v_pk_fma_f16 v68, v22, v62, v73 op_sel:[0,1,0]
	v_pk_fma_f16 v26, v22, v63, v26 op_sel_hi:[1,0,1]
	v_pk_fma_f16 v27, v22, v63, v27 op_sel:[0,1,0]
	;; [unrolled: 2-line block ×8, first 2 shown]
	s_waitcnt lgkmcnt(0)
	v_pk_fma_f16 v72, v24, v18, v61 op_sel_hi:[1,0,1]
	v_pk_fma_f16 v68, v24, v18, v68 op_sel:[0,1,0]
	v_pk_fma_f16 v26, v24, v19, v26 op_sel_hi:[1,0,1]
	v_pk_fma_f16 v27, v24, v19, v27 op_sel:[0,1,0]
	;; [unrolled: 2-line block ×5, first 2 shown]
	v_pk_fma_f16 v74, v25, v19, v62 op_sel_hi:[1,0,1]
	v_pk_fma_f16 v75, v25, v20, v63 op_sel_hi:[1,0,1]
	ds_read2_b64 v[58:61], v16 offset0:64 offset1:96
	ds_read_b128 v[62:65], v48 offset:928
	v_pk_fma_f16 v17, v25, v19, v17 op_sel:[0,1,0]
	v_pk_fma_f16 v66, v25, v20, v66 op_sel:[0,1,0]
	v_pk_fma_f16 v67, v25, v21, v67 op_sel_hi:[1,0,1]
	v_pk_fma_f16 v23, v25, v21, v23 op_sel:[0,1,0]
	ds_read_b128 v[18:21], v48 offset:944
	s_waitcnt lgkmcnt(1)
	v_pk_fma_f16 v25, v58, v62, v72 op_sel_hi:[1,0,1]
	v_pk_fma_f16 v68, v58, v62, v68 op_sel:[0,1,0]
	v_pk_fma_f16 v26, v58, v63, v26 op_sel_hi:[1,0,1]
	v_pk_fma_f16 v27, v58, v63, v27 op_sel:[0,1,0]
	;; [unrolled: 2-line block ×8, first 2 shown]
	s_waitcnt lgkmcnt(0)
	v_pk_fma_f16 v72, v60, v18, v25 op_sel_hi:[1,0,1]
	v_pk_fma_f16 v68, v60, v18, v68 op_sel:[0,1,0]
	v_pk_fma_f16 v26, v60, v19, v26 op_sel_hi:[1,0,1]
	v_pk_fma_f16 v27, v60, v19, v27 op_sel:[0,1,0]
	;; [unrolled: 2-line block ×4, first 2 shown]
	v_pk_fma_f16 v73, v61, v18, v24 op_sel_hi:[1,0,1]
	v_pk_fma_f16 v74, v61, v19, v62 op_sel_hi:[1,0,1]
	;; [unrolled: 1-line block ×3, first 2 shown]
	ds_read2_b64 v[22:25], v16 offset0:128 offset1:160
	ds_read_b128 v[62:65], v48 offset:960
	v_pk_fma_f16 v58, v61, v18, v58 op_sel:[0,1,0]
	v_pk_fma_f16 v17, v61, v19, v17 op_sel:[0,1,0]
	;; [unrolled: 1-line block ×3, first 2 shown]
	v_pk_fma_f16 v67, v61, v21, v67 op_sel_hi:[1,0,1]
	v_pk_fma_f16 v59, v61, v21, v59 op_sel:[0,1,0]
	ds_read_b128 v[18:21], v48 offset:976
	s_waitcnt lgkmcnt(1)
	v_pk_fma_f16 v61, v22, v62, v72 op_sel_hi:[1,0,1]
	v_pk_fma_f16 v68, v22, v62, v68 op_sel:[0,1,0]
	v_pk_fma_f16 v26, v22, v63, v26 op_sel_hi:[1,0,1]
	v_pk_fma_f16 v27, v22, v63, v27 op_sel:[0,1,0]
	;; [unrolled: 2-line block ×8, first 2 shown]
	s_waitcnt lgkmcnt(0)
	v_pk_fma_f16 v65, v24, v18, v61 op_sel_hi:[1,0,1]
	v_pk_fma_f16 v67, v24, v18, v68 op_sel:[0,1,0]
	v_pk_fma_f16 v26, v24, v19, v26 op_sel_hi:[1,0,1]
	v_pk_fma_f16 v27, v24, v19, v27 op_sel:[0,1,0]
	;; [unrolled: 2-line block ×6, first 2 shown]
	v_pk_fma_f16 v63, v25, v20, v63 op_sel_hi:[1,0,1]
	ds_read2_b64 v[16:19], v16 offset0:192 offset1:224
	ds_read_b128 v[58:61], v48 offset:992
	v_pk_fma_f16 v64, v25, v20, v64 op_sel:[0,1,0]
	v_pk_fma_f16 v66, v25, v21, v66 op_sel_hi:[1,0,1]
	v_pk_fma_f16 v25, v25, v21, v23 op_sel:[0,1,0]
	ds_read_b128 v[20:23], v48 offset:1008
	s_waitcnt lgkmcnt(0)
	s_barrier
	s_load_dword s10, s[0:1], 0x4
	v_pk_fma_f16 v65, v16, v58, v65 op_sel_hi:[1,0,1]
	v_pk_fma_f16 v67, v16, v58, v67 op_sel:[0,1,0]
	v_pk_fma_f16 v26, v16, v59, v26 op_sel_hi:[1,0,1]
	v_pk_fma_f16 v27, v16, v59, v27 op_sel:[0,1,0]
	s_waitcnt lgkmcnt(0)
	s_lshl_b32 s10, s10, 6
	v_pk_fma_f16 v68, v16, v60, v68 op_sel_hi:[1,0,1]
	v_pk_fma_f16 v74, v16, v60, v69 op_sel:[0,1,0]
	v_pk_fma_f16 v70, v16, v61, v70 op_sel_hi:[1,0,1]
	v_pk_fma_f16 v16, v16, v61, v24 op_sel:[0,1,0]
	;; [unrolled: 2-line block ×6, first 2 shown]
	s_add_i32 s6, s10, s6
	v_pk_fma_f16 v72, v18, v20, v65 op_sel_hi:[1,0,1]
	v_pk_fma_f16 v71, v18, v20, v67 op_sel:[0,1,0]
	v_pk_fma_f16 v69, v18, v21, v26 op_sel_hi:[1,0,1]
	v_pk_fma_f16 v64, v18, v21, v27 op_sel:[0,1,0]
	;; [unrolled: 2-line block ×7, first 2 shown]
	v_pk_fma_f16 v67, v19, v23, v78 op_sel_hi:[1,0,1]
	s_cmp_ge_i32 s6, s30
	v_pk_fma_f16 v62, v19, v23, v17 op_sel:[0,1,0]
	s_cbranch_scc1 .LBB75_75
; %bb.74:                               ;   in Loop: Header=BB75_9 Depth=1
	v_mov_b32_e32 v20, v0
	v_mov_b32_e32 v21, v1
	;; [unrolled: 1-line block ×8, first 2 shown]
	s_branch .LBB75_9
.LBB75_75:
	v_cmp_lt_i32_e32 vcc, v82, v80
	v_cndmask_b32_e32 v16, v40, v82, vcc
	v_cmp_lt_i32_e32 vcc, v85, v80
	v_cndmask_b32_e32 v18, v40, v85, vcc
	v_cmp_lt_i32_e32 vcc, v84, v80
	v_lshlrev_b32_e32 v21, 2, v16
	v_lshlrev_b32_e32 v24, 2, v18
	v_cndmask_b32_e32 v18, v40, v84, vcc
	v_lshlrev_b32_e32 v25, 2, v18
	ds_bpermute_b32 v18, v21, v14
	ds_bpermute_b32 v19, v21, v15
	;; [unrolled: 1-line block ×6, first 2 shown]
	s_waitcnt lgkmcnt(4)
	v_pk_add_f32 v[14:15], v[14:15], v[18:19]
	ds_bpermute_b32 v18, v24, v14
	ds_bpermute_b32 v19, v24, v15
	v_cmp_lt_i32_e32 vcc, v83, v80
	s_waitcnt lgkmcnt(4)
	v_pk_add_f32 v[12:13], v[12:13], v[16:17]
	v_cndmask_b32_e32 v20, v40, v83, vcc
	v_cmp_lt_i32_e32 vcc, v81, v80
	s_waitcnt lgkmcnt(0)
	v_pk_add_f32 v[14:15], v[14:15], v[18:19]
	ds_bpermute_b32 v18, v25, v14
	ds_bpermute_b32 v19, v25, v15
	v_pk_add_f32 v[8:9], v[8:9], v[22:23]
	ds_bpermute_b32 v16, v24, v12
	ds_bpermute_b32 v17, v24, v13
	v_lshlrev_b32_e32 v26, 2, v20
	s_waitcnt lgkmcnt(2)
	v_pk_add_f32 v[14:15], v[14:15], v[18:19]
	ds_bpermute_b32 v18, v21, v10
	ds_bpermute_b32 v19, v21, v11
	v_cndmask_b32_e32 v20, v40, v81, vcc
	ds_bpermute_b32 v22, v24, v8
	ds_bpermute_b32 v23, v24, v9
	v_lshlrev_b32_e32 v27, 2, v20
	s_waitcnt lgkmcnt(2)
	v_pk_add_f32 v[10:11], v[10:11], v[18:19]
	ds_bpermute_b32 v18, v24, v10
	ds_bpermute_b32 v19, v24, v11
	;; [unrolled: 1-line block ×4, first 2 shown]
	v_pk_add_f32 v[12:13], v[12:13], v[16:17]
	s_waitcnt lgkmcnt(4)
	v_pk_add_f32 v[8:9], v[8:9], v[22:23]
	s_waitcnt lgkmcnt(2)
	v_pk_add_f32 v[10:11], v[10:11], v[18:19]
	ds_bpermute_b32 v16, v25, v12
	ds_bpermute_b32 v17, v25, v13
	s_waitcnt lgkmcnt(2)
	v_pk_add_f32 v[14:15], v[14:15], v[20:21]
	ds_bpermute_b32 v18, v25, v10
	ds_bpermute_b32 v19, v25, v11
	;; [unrolled: 1-line block ×4, first 2 shown]
	s_waitcnt lgkmcnt(4)
	v_pk_add_f32 v[12:13], v[12:13], v[16:17]
	ds_bpermute_b32 v16, v26, v12
	s_waitcnt lgkmcnt(3)
	v_pk_add_f32 v[10:11], v[10:11], v[18:19]
	ds_bpermute_b32 v17, v26, v13
	;; [unrolled: 3-line block ×3, first 2 shown]
	ds_bpermute_b32 v19, v26, v11
	ds_bpermute_b32 v20, v26, v8
	;; [unrolled: 1-line block ×3, first 2 shown]
	s_waitcnt lgkmcnt(4)
	v_pk_add_f32 v[12:13], v[12:13], v[16:17]
	ds_bpermute_b32 v16, v27, v12
	s_waitcnt lgkmcnt(3)
	v_pk_add_f32 v[10:11], v[10:11], v[18:19]
	ds_bpermute_b32 v17, v27, v13
	;; [unrolled: 3-line block ×3, first 2 shown]
	ds_bpermute_b32 v23, v27, v15
	ds_bpermute_b32 v18, v27, v10
	;; [unrolled: 1-line block ×5, first 2 shown]
	s_cmp_lg_u64 s[16:17], 0
	s_cselect_b64 s[0:1], -1, 0
	s_cmp_eq_u32 s7, 0
	s_cselect_b64 s[8:9], -1, 0
	s_and_b64 s[0:1], s[8:9], s[0:1]
	s_waitcnt lgkmcnt(6)
	v_pk_add_f32 v[24:25], v[12:13], v[16:17]
	s_waitcnt lgkmcnt(4)
	v_pk_add_f32 v[22:23], v[14:15], v[22:23]
	;; [unrolled: 2-line block ×4, first 2 shown]
	s_and_b64 vcc, exec, s[0:1]
	s_cbranch_vccz .LBB75_77
; %bb.76:
	s_ashr_i32 s29, s28, 31
	s_lshl_b64 s[0:1], s[28:29], 2
	s_add_u32 s0, s16, s0
	s_addc_u32 s1, s17, s1
	v_mov_b32_e32 v8, 0
	global_load_dwordx4 v[14:17], v8, s[0:1]
	v_max_f32_e32 v8, v1, v1
	v_max_f32_e32 v10, v0, v0
	s_mov_b32 s6, 0x3fb8aa3b
	v_max_f32_e32 v12, v2, v2
	v_max_f32_e32 v11, v3, v3
	s_mov_b32 s1, 0xc2ce8ed0
	s_mov_b32 s0, 0x42b17218
	v_mov_b32_e32 v26, 0x7f800000
	s_waitcnt vmcnt(0)
	v_max_f32_e32 v27, v15, v15
	v_max_f32_e32 v40, v14, v14
	;; [unrolled: 1-line block ×4, first 2 shown]
	v_pk_add_f32 v[0:1], v[0:1], v[8:9] neg_lo:[0,1] neg_hi:[0,1]
	v_max_f32_e32 v42, v16, v16
	v_mul_f32_e32 v43, 0x3fb8aa3b, v1
	v_max_f32_e32 v41, v17, v17
	v_max_f32_e32 v10, v12, v42
	v_pk_add_f32 v[12:13], v[14:15], v[8:9] neg_lo:[0,1] neg_hi:[0,1]
	v_mul_f32_e32 v44, 0x3fb8aa3b, v0
	v_fma_f32 v49, v1, s6, -v43
	v_rndne_f32_e32 v50, v43
	v_max_f32_e32 v11, v11, v41
	v_mul_f32_e32 v45, 0x3fb8aa3b, v13
	v_fma_f32 v51, v0, s6, -v44
	v_rndne_f32_e32 v52, v44
	v_fmac_f32_e32 v49, 0x32a5705f, v1
	v_sub_f32_e32 v43, v43, v50
	v_pk_add_f32 v[2:3], v[2:3], v[10:11] neg_lo:[0,1] neg_hi:[0,1]
	v_mul_f32_e32 v46, 0x3fb8aa3b, v12
	v_fma_f32 v53, v13, s6, -v45
	v_rndne_f32_e32 v54, v45
	v_fmac_f32_e32 v51, 0x32a5705f, v0
	v_sub_f32_e32 v44, v44, v52
	v_add_f32_e32 v43, v43, v49
	v_mul_f32_e32 v47, 0x3fb8aa3b, v3
	v_fma_f32 v55, v12, s6, -v46
	v_rndne_f32_e32 v56, v46
	v_cvt_i32_f32_e32 v50, v50
	v_fmac_f32_e32 v53, 0x32a5705f, v13
	v_sub_f32_e32 v45, v45, v54
	v_add_f32_e32 v44, v44, v51
	v_exp_f32_e32 v43, v43
	v_fma_f32 v57, v3, s6, -v47
	v_rndne_f32_e32 v74, v47
	v_cvt_i32_f32_e32 v52, v52
	v_fmac_f32_e32 v55, 0x32a5705f, v12
	v_sub_f32_e32 v46, v46, v56
	v_add_f32_e32 v45, v45, v53
	v_exp_f32_e32 v44, v44
	v_cvt_i32_f32_e32 v54, v54
	v_fmac_f32_e32 v57, 0x32a5705f, v3
	v_sub_f32_e32 v47, v47, v74
	v_add_f32_e32 v46, v46, v55
	v_exp_f32_e32 v45, v45
	v_cvt_i32_f32_e32 v56, v56
	v_add_f32_e32 v47, v47, v57
	v_exp_f32_e32 v46, v46
	v_cvt_i32_f32_e32 v74, v74
	v_exp_f32_e32 v47, v47
	v_ldexp_f32 v43, v43, v50
	v_cmp_ngt_f32_e32 vcc, s1, v1
	v_ldexp_f32 v44, v44, v52
	v_cndmask_b32_e32 v43, 0, v43, vcc
	v_cmp_ngt_f32_e32 vcc, s1, v0
	v_ldexp_f32 v45, v45, v54
	v_cndmask_b32_e32 v44, 0, v44, vcc
	;; [unrolled: 3-line block ×3, first 2 shown]
	v_cmp_ngt_f32_e32 vcc, s1, v12
	v_mul_f32_e32 v48, 0x3fb8aa3b, v2
	v_ldexp_f32 v47, v47, v74
	v_cndmask_b32_e32 v46, 0, v46, vcc
	v_cmp_ngt_f32_e32 vcc, s1, v3
	v_fma_f32 v75, v2, s6, -v48
	v_rndne_f32_e32 v76, v48
	v_cndmask_b32_e32 v47, 0, v47, vcc
	v_cmp_nlt_f32_e32 vcc, s0, v1
	v_fmac_f32_e32 v75, 0x32a5705f, v2
	v_sub_f32_e32 v48, v48, v76
	v_cndmask_b32_e32 v1, v26, v43, vcc
	v_cmp_nlt_f32_e32 vcc, s0, v0
	v_add_f32_e32 v48, v48, v75
	v_cndmask_b32_e32 v0, v26, v44, vcc
	v_cmp_nlt_f32_e32 vcc, s0, v13
	v_cvt_i32_f32_e32 v76, v76
	v_exp_f32_e32 v48, v48
	v_cndmask_b32_e32 v13, v26, v45, vcc
	v_cvt_f16_f32_e32 v43, v0
	v_cmp_nlt_f32_e32 vcc, s0, v12
	v_cvt_f16_f32_e32 v44, v1
	v_cndmask_b32_e32 v12, v26, v46, vcc
	v_pk_fma_f32 v[24:25], v[24:25], v[0:1], v[12:13]
	v_pk_add_f32 v[12:13], v[16:17], v[10:11] neg_lo:[0,1] neg_hi:[0,1]
	v_mul_f32_e32 v1, 0x3fb8aa3b, v13
	v_pk_mul_f16 v72, v43, v72 op_sel_hi:[0,1]
	v_pk_mul_f16 v73, v43, v73 op_sel_hi:[0,1]
	;; [unrolled: 1-line block ×4, first 2 shown]
	v_ldexp_f32 v0, v48, v76
	v_cmp_ngt_f32_e32 vcc, s1, v2
	v_fma_f32 v43, v13, s6, -v1
	v_rndne_f32_e32 v44, v1
	v_cndmask_b32_e32 v0, 0, v0, vcc
	v_cmp_nlt_f32_e32 vcc, s0, v2
	v_fmac_f32_e32 v43, 0x32a5705f, v13
	v_sub_f32_e32 v1, v1, v44
	v_cndmask_b32_e32 v0, v26, v0, vcc
	v_add_f32_e32 v1, v1, v43
	v_cvt_f16_f32_e32 v2, v0
	v_exp_f32_e32 v43, v1
	v_cvt_i32_f32_e32 v44, v44
	v_cmp_nlt_f32_e32 vcc, s0, v3
	v_mul_f32_e32 v3, 0x3fb8aa3b, v12
	v_pk_mul_f16 v69, v2, v69 op_sel_hi:[0,1]
	v_pk_mul_f16 v68, v2, v68 op_sel_hi:[0,1]
	v_ldexp_f32 v2, v43, v44
	v_fma_f32 v43, v12, s6, -v3
	v_rndne_f32_e32 v44, v3
	v_fmac_f32_e32 v43, 0x32a5705f, v12
	v_sub_f32_e32 v3, v3, v44
	v_add_f32_e32 v3, v3, v43
	v_exp_f32_e32 v43, v3
	v_cvt_i32_f32_e32 v44, v44
	v_cndmask_b32_e32 v1, v26, v47, vcc
	v_cmp_ngt_f32_e32 vcc, s1, v13
	v_cndmask_b32_e32 v2, 0, v2, vcc
	v_cmp_nlt_f32_e32 vcc, s0, v13
	v_cndmask_b32_e32 v3, v26, v2, vcc
	v_ldexp_f32 v2, v43, v44
	v_cmp_ngt_f32_e32 vcc, s1, v12
	v_cvt_f16_f32_e32 v13, v1
	v_cndmask_b32_e32 v2, 0, v2, vcc
	v_cmp_nlt_f32_e32 vcc, s0, v12
	v_cndmask_b32_e32 v2, v26, v2, vcc
	v_pk_fma_f32 v[22:23], v[22:23], v[0:1], v[2:3]
	v_max_f32_e32 v0, v5, v5
	v_pk_mul_f16 v64, v13, v64 op_sel_hi:[0,1]
	v_pk_mul_f16 v65, v13, v65 op_sel_hi:[0,1]
	v_max_f32_e32 v13, v0, v27
	v_max_f32_e32 v0, v4, v4
	;; [unrolled: 1-line block ×3, first 2 shown]
	v_pk_add_f32 v[0:1], v[4:5], v[12:13] neg_lo:[0,1] neg_hi:[0,1]
	v_mul_f32_e32 v2, 0x3fb8aa3b, v1
	v_fma_f32 v3, v1, s6, -v2
	v_rndne_f32_e32 v4, v2
	v_fmac_f32_e32 v3, 0x32a5705f, v1
	v_sub_f32_e32 v2, v2, v4
	v_add_f32_e32 v2, v2, v3
	v_cvt_i32_f32_e32 v3, v4
	v_mul_f32_e32 v4, 0x3fb8aa3b, v0
	v_fma_f32 v5, v0, s6, -v4
	v_rndne_f32_e32 v27, v4
	v_fmac_f32_e32 v5, 0x32a5705f, v0
	v_sub_f32_e32 v4, v4, v27
	v_exp_f32_e32 v2, v2
	v_add_f32_e32 v4, v4, v5
	v_exp_f32_e32 v4, v4
	v_cvt_i32_f32_e32 v5, v27
	v_ldexp_f32 v2, v2, v3
	v_cmp_ngt_f32_e32 vcc, s1, v1
	v_cndmask_b32_e32 v27, 0, v2, vcc
	v_ldexp_f32 v2, v4, v5
	v_cmp_ngt_f32_e32 vcc, s1, v0
	v_cndmask_b32_e32 v2, 0, v2, vcc
	v_cmp_nlt_f32_e32 vcc, s0, v0
	v_cndmask_b32_e32 v0, v26, v2, vcc
	v_pk_add_f32 v[2:3], v[14:15], v[12:13] neg_lo:[0,1] neg_hi:[0,1]
	v_mul_f32_e32 v5, 0x3fb8aa3b, v3
	v_fma_f32 v14, v3, s6, -v5
	v_rndne_f32_e32 v15, v5
	v_fmac_f32_e32 v14, 0x32a5705f, v3
	v_sub_f32_e32 v5, v5, v15
	v_add_f32_e32 v5, v5, v14
	v_cvt_f16_f32_e32 v4, v0
	v_exp_f32_e32 v5, v5
	v_cvt_i32_f32_e32 v14, v15
	v_cmp_nlt_f32_e32 vcc, s0, v1
	v_pk_mul_f16 v60, v4, v60 op_sel_hi:[0,1]
	v_pk_mul_f16 v61, v4, v61 op_sel_hi:[0,1]
	v_ldexp_f32 v4, v5, v14
	v_mul_f32_e32 v5, 0x3fb8aa3b, v2
	v_fma_f32 v14, v2, s6, -v5
	v_rndne_f32_e32 v15, v5
	v_fmac_f32_e32 v14, 0x32a5705f, v2
	v_sub_f32_e32 v5, v5, v15
	v_add_f32_e32 v5, v5, v14
	v_exp_f32_e32 v5, v5
	v_cvt_i32_f32_e32 v14, v15
	v_cndmask_b32_e32 v1, v26, v27, vcc
	v_cmp_ngt_f32_e32 vcc, s1, v3
	v_cndmask_b32_e32 v4, 0, v4, vcc
	v_cmp_nlt_f32_e32 vcc, s0, v3
	v_cndmask_b32_e32 v3, v26, v4, vcc
	v_ldexp_f32 v4, v5, v14
	v_cmp_ngt_f32_e32 vcc, s1, v2
	v_cndmask_b32_e32 v4, 0, v4, vcc
	v_cmp_nlt_f32_e32 vcc, s0, v2
	v_cndmask_b32_e32 v2, v26, v4, vcc
	v_pk_fma_f32 v[20:21], v[20:21], v[0:1], v[2:3]
	v_max_f32_e32 v0, v7, v7
	v_max_f32_e32 v15, v0, v41
	;; [unrolled: 1-line block ×4, first 2 shown]
	v_cvt_f16_f32_e32 v5, v1
	v_pk_add_f32 v[0:1], v[6:7], v[14:15] neg_lo:[0,1] neg_hi:[0,1]
	v_mul_f32_e32 v2, 0x3fb8aa3b, v1
	v_fma_f32 v3, v1, s6, -v2
	v_rndne_f32_e32 v4, v2
	v_fmac_f32_e32 v3, 0x32a5705f, v1
	v_sub_f32_e32 v2, v2, v4
	v_add_f32_e32 v2, v2, v3
	v_cvt_i32_f32_e32 v3, v4
	v_mul_f32_e32 v4, 0x3fb8aa3b, v0
	v_pk_mul_f16 v59, v5, v59 op_sel_hi:[0,1]
	v_pk_mul_f16 v58, v5, v58 op_sel_hi:[0,1]
	v_fma_f32 v5, v0, s6, -v4
	v_rndne_f32_e32 v6, v4
	v_fmac_f32_e32 v5, 0x32a5705f, v0
	v_sub_f32_e32 v4, v4, v6
	v_exp_f32_e32 v2, v2
	v_add_f32_e32 v4, v4, v5
	v_exp_f32_e32 v4, v4
	v_cvt_i32_f32_e32 v5, v6
	v_ldexp_f32 v2, v2, v3
	v_cmp_ngt_f32_e32 vcc, s1, v1
	v_cndmask_b32_e32 v6, 0, v2, vcc
	v_ldexp_f32 v2, v4, v5
	v_cmp_ngt_f32_e32 vcc, s1, v0
	v_cndmask_b32_e32 v2, 0, v2, vcc
	v_cmp_nlt_f32_e32 vcc, s0, v0
	v_cndmask_b32_e32 v0, v26, v2, vcc
	v_pk_add_f32 v[2:3], v[16:17], v[14:15] neg_lo:[0,1] neg_hi:[0,1]
	v_mul_f32_e32 v5, 0x3fb8aa3b, v3
	v_fma_f32 v7, v3, s6, -v5
	v_rndne_f32_e32 v16, v5
	v_fmac_f32_e32 v7, 0x32a5705f, v3
	v_sub_f32_e32 v5, v5, v16
	v_add_f32_e32 v5, v5, v7
	v_cvt_f16_f32_e32 v4, v0
	v_exp_f32_e32 v5, v5
	v_cvt_i32_f32_e32 v7, v16
	v_cmp_nlt_f32_e32 vcc, s0, v1
	v_pk_mul_f16 v66, v4, v66 op_sel_hi:[0,1]
	v_pk_mul_f16 v67, v4, v67 op_sel_hi:[0,1]
	v_ldexp_f32 v4, v5, v7
	v_mul_f32_e32 v5, 0x3fb8aa3b, v2
	v_cndmask_b32_e32 v1, v26, v6, vcc
	v_fma_f32 v6, v2, s6, -v5
	v_rndne_f32_e32 v7, v5
	v_fmac_f32_e32 v6, 0x32a5705f, v2
	v_sub_f32_e32 v5, v5, v7
	v_add_f32_e32 v5, v5, v6
	v_exp_f32_e32 v5, v5
	v_cvt_i32_f32_e32 v6, v7
	v_cmp_ngt_f32_e32 vcc, s1, v3
	v_cndmask_b32_e32 v4, 0, v4, vcc
	v_cmp_nlt_f32_e32 vcc, s0, v3
	v_cndmask_b32_e32 v3, v26, v4, vcc
	v_ldexp_f32 v4, v5, v6
	v_cvt_f16_f32_e32 v5, v1
	v_cmp_ngt_f32_e32 vcc, s1, v2
	v_cndmask_b32_e32 v4, 0, v4, vcc
	v_cmp_nlt_f32_e32 vcc, s0, v2
	v_cndmask_b32_e32 v2, v26, v4, vcc
	v_pk_fma_f32 v[18:19], v[18:19], v[0:1], v[2:3]
	v_pk_mul_f16 v63, v5, v63 op_sel_hi:[0,1]
	v_pk_mul_f16 v62, v5, v62 op_sel_hi:[0,1]
	v_pk_mov_b32 v[0:1], v[8:9], v[8:9] op_sel:[0,1]
	v_pk_mov_b32 v[2:3], v[10:11], v[10:11] op_sel:[0,1]
	;; [unrolled: 1-line block ×4, first 2 shown]
.LBB75_77:
	v_cmp_gt_i32_e32 vcc, s2, v39
	s_and_saveexec_b64 s[0:1], vcc
	s_cbranch_execz .LBB75_114
; %bb.78:
	s_load_dword s6, s[4:5], 0xd4
	v_mov_b32_e32 v8, 1.0
	s_waitcnt lgkmcnt(0)
	s_cmp_lg_u32 s6, 1
	s_cselect_b64 s[4:5], -1, 0
	s_cmp_eq_u32 s6, 1
	s_cselect_b64 s[8:9], -1, 0
	s_and_b64 vcc, exec, s[4:5]
	s_cbranch_vccnz .LBB75_80
; %bb.79:
	v_div_scale_f32 v8, s[0:1], v24, v24, 1.0
	v_rcp_f32_e32 v9, v8
	v_div_scale_f32 v10, vcc, 1.0, v24, 1.0
	v_fma_f32 v11, -v8, v9, 1.0
	v_fmac_f32_e32 v9, v11, v9
	v_mul_f32_e32 v11, v10, v9
	v_fma_f32 v12, -v8, v11, v10
	v_fmac_f32_e32 v11, v12, v9
	v_fma_f32 v8, -v8, v11, v10
	v_div_fmas_f32 v8, v8, v9, v11
	v_div_fixup_f32 v8, v8, v24, 1.0
.LBB75_80:
	s_mul_i32 s10, s33, s2
	s_add_i32 s10, s10, s14
	v_add_u32_e32 v9, s10, v37
	v_mul_lo_u32 v12, v9, s3
	v_add_u32_e32 v9, s28, v12
	v_mul_lo_u32 v9, s6, v9
	v_add_u32_e32 v10, s7, v9
	v_cvt_f32_f16_sdwa v17, v72 dst_sel:DWORD dst_unused:UNUSED_PAD src0_sel:WORD_1
	v_cvt_f32_f16_e32 v16, v72
	v_cvt_f32_f16_sdwa v27, v73 dst_sel:DWORD dst_unused:UNUSED_PAD src0_sel:WORD_1
	v_cvt_f32_f16_e32 v26, v73
	v_lshl_add_u32 v14, v10, 7, v35
	v_mov_b32_e32 v15, 0
	v_lshlrev_b64 v[14:15], 2, v[14:15]
	v_cmp_eq_u32_e32 vcc, 0, v38
	v_mov_b32_e32 v9, s21
	v_add_co_u32_e64 v38, s[0:1], s20, v14
	v_addc_co_u32_e64 v39, s[0:1], v9, v15, s[0:1]
	v_pk_mul_f32 v[14:15], v[8:9], v[16:17] op_sel_hi:[0,1]
	v_pk_mul_f32 v[16:17], v[8:9], v[26:27] op_sel_hi:[0,1]
	s_and_b64 s[4:5], vcc, s[4:5]
	global_store_dwordx4 v[38:39], v[14:17], off
	s_and_saveexec_b64 s[0:1], s[4:5]
	s_cbranch_execz .LBB75_82
; %bb.81:
	v_ashrrev_i32_e32 v11, 31, v10
	v_lshlrev_b64 v[8:9], 3, v[10:11]
	v_mov_b32_e32 v10, s23
	v_add_co_u32_e32 v8, vcc, s22, v8
	v_addc_co_u32_e32 v9, vcc, v10, v9, vcc
	v_mov_b32_e32 v10, v0
	v_mov_b32_e32 v11, v24
	global_store_dwordx2 v[8:9], v[10:11], off
.LBB75_82:
	s_or_b64 exec, exec, s[0:1]
	v_cndmask_b32_e64 v0, 0, 1, s[8:9]
	v_cmp_ne_u32_e64 s[0:1], 1, v0
	s_andn2_b64 vcc, exec, s[8:9]
	v_mov_b32_e32 v0, 1.0
	s_cbranch_vccnz .LBB75_84
; %bb.83:
	v_div_scale_f32 v0, s[8:9], v25, v25, 1.0
	v_rcp_f32_e32 v8, v0
	v_div_scale_f32 v9, vcc, 1.0, v25, 1.0
	v_fma_f32 v10, -v0, v8, 1.0
	v_fmac_f32_e32 v8, v10, v8
	v_mul_f32_e32 v10, v9, v8
	v_fma_f32 v11, -v0, v10, v9
	v_fmac_f32_e32 v10, v11, v8
	v_fma_f32 v0, -v0, v10, v9
	v_div_fmas_f32 v0, v0, v8, v10
	v_div_fixup_f32 v0, v0, v25, 1.0
.LBB75_84:
	s_add_i32 s13, s28, 1
	v_add_u32_e32 v8, s13, v12
	v_mul_lo_u32 v8, s6, v8
	v_add_u32_e32 v8, s7, v8
	v_cvt_f32_f16_sdwa v15, v71 dst_sel:DWORD dst_unused:UNUSED_PAD src0_sel:WORD_1
	v_cvt_f32_f16_e32 v14, v71
	v_cvt_f32_f16_sdwa v17, v70 dst_sel:DWORD dst_unused:UNUSED_PAD src0_sel:WORD_1
	v_cvt_f32_f16_e32 v16, v70
	v_lshl_add_u32 v10, v8, 7, v35
	v_mov_b32_e32 v11, 0
	v_lshlrev_b64 v[10:11], 2, v[10:11]
	v_mov_b32_e32 v9, s21
	v_add_co_u32_e32 v10, vcc, s20, v10
	v_addc_co_u32_e32 v11, vcc, v9, v11, vcc
	v_pk_mul_f32 v[14:15], v[0:1], v[14:15] op_sel_hi:[0,1]
	v_pk_mul_f32 v[16:17], v[0:1], v[16:17] op_sel_hi:[0,1]
	global_store_dwordx4 v[10:11], v[14:17], off
	s_and_saveexec_b64 s[8:9], s[4:5]
	s_cbranch_execz .LBB75_86
; %bb.85:
	v_ashrrev_i32_e32 v9, 31, v8
	v_lshlrev_b64 v[8:9], 3, v[8:9]
	v_mov_b32_e32 v0, s23
	v_add_co_u32_e32 v8, vcc, s22, v8
	v_addc_co_u32_e32 v9, vcc, v0, v9, vcc
	v_mov_b32_e32 v24, v1
	global_store_dwordx2 v[8:9], v[24:25], off
.LBB75_86:
	s_or_b64 exec, exec, s[8:9]
	s_and_b64 vcc, exec, s[0:1]
	v_mov_b32_e32 v8, 1.0
	s_cbranch_vccnz .LBB75_88
; %bb.87:
	v_div_scale_f32 v0, s[8:9], v22, v22, 1.0
	v_rcp_f32_e32 v1, v0
	v_div_scale_f32 v8, vcc, 1.0, v22, 1.0
	v_fma_f32 v9, -v0, v1, 1.0
	v_fmac_f32_e32 v1, v9, v1
	v_mul_f32_e32 v9, v8, v1
	v_fma_f32 v10, -v0, v9, v8
	v_fmac_f32_e32 v9, v10, v1
	v_fma_f32 v0, -v0, v9, v8
	v_div_fmas_f32 v0, v0, v1, v9
	v_div_fixup_f32 v8, v0, v22, 1.0
.LBB75_88:
	s_add_i32 s12, s28, 2
	v_add_u32_e32 v0, s12, v12
	v_mul_lo_u32 v0, s6, v0
	v_add_u32_e32 v0, s7, v0
	v_cvt_f32_f16_sdwa v15, v69 dst_sel:DWORD dst_unused:UNUSED_PAD src0_sel:WORD_1
	v_cvt_f32_f16_e32 v14, v69
	v_cvt_f32_f16_sdwa v17, v68 dst_sel:DWORD dst_unused:UNUSED_PAD src0_sel:WORD_1
	v_cvt_f32_f16_e32 v16, v68
	v_lshl_add_u32 v10, v0, 7, v35
	v_mov_b32_e32 v11, 0
	v_lshlrev_b64 v[10:11], 2, v[10:11]
	v_mov_b32_e32 v1, s21
	v_add_co_u32_e32 v10, vcc, s20, v10
	v_addc_co_u32_e32 v11, vcc, v1, v11, vcc
	v_pk_mul_f32 v[14:15], v[8:9], v[14:15] op_sel_hi:[0,1]
	v_pk_mul_f32 v[16:17], v[8:9], v[16:17] op_sel_hi:[0,1]
	global_store_dwordx4 v[10:11], v[14:17], off
	s_and_saveexec_b64 s[8:9], s[4:5]
	s_cbranch_execz .LBB75_90
; %bb.89:
	v_ashrrev_i32_e32 v1, 31, v0
	v_lshlrev_b64 v[0:1], 3, v[0:1]
	v_mov_b32_e32 v8, s23
	v_add_co_u32_e32 v0, vcc, s22, v0
	v_addc_co_u32_e32 v1, vcc, v8, v1, vcc
	v_mov_b32_e32 v8, v2
	v_mov_b32_e32 v9, v22
	global_store_dwordx2 v[0:1], v[8:9], off
.LBB75_90:
	s_or_b64 exec, exec, s[8:9]
	s_and_b64 vcc, exec, s[0:1]
	v_mov_b32_e32 v2, 1.0
	s_cbranch_vccnz .LBB75_92
; %bb.91:
	v_div_scale_f32 v0, s[8:9], v23, v23, 1.0
	v_rcp_f32_e32 v1, v0
	v_div_scale_f32 v2, vcc, 1.0, v23, 1.0
	v_fma_f32 v8, -v0, v1, 1.0
	v_fmac_f32_e32 v1, v8, v1
	v_mul_f32_e32 v8, v2, v1
	v_fma_f32 v9, -v0, v8, v2
	v_fmac_f32_e32 v8, v9, v1
	v_fma_f32 v0, -v0, v8, v2
	v_div_fmas_f32 v0, v0, v1, v8
	v_div_fixup_f32 v2, v0, v23, 1.0
.LBB75_92:
	s_add_i32 s11, s28, 3
	v_add_u32_e32 v0, s11, v12
	v_mul_lo_u32 v0, s6, v0
	v_add_u32_e32 v0, s7, v0
	v_cvt_f32_f16_sdwa v11, v64 dst_sel:DWORD dst_unused:UNUSED_PAD src0_sel:WORD_1
	v_cvt_f32_f16_e32 v10, v64
	v_cvt_f32_f16_sdwa v13, v65 dst_sel:DWORD dst_unused:UNUSED_PAD src0_sel:WORD_1
	v_cvt_f32_f16_e32 v12, v65
	v_lshl_add_u32 v8, v0, 7, v35
	v_mov_b32_e32 v9, 0
	v_lshlrev_b64 v[8:9], 2, v[8:9]
	v_mov_b32_e32 v1, s21
	v_add_co_u32_e32 v14, vcc, s20, v8
	v_addc_co_u32_e32 v15, vcc, v1, v9, vcc
	v_pk_mul_f32 v[8:9], v[2:3], v[10:11] op_sel_hi:[0,1]
	v_pk_mul_f32 v[10:11], v[2:3], v[12:13] op_sel_hi:[0,1]
	global_store_dwordx4 v[14:15], v[8:11], off
	s_and_saveexec_b64 s[8:9], s[4:5]
	s_cbranch_execz .LBB75_94
; %bb.93:
	v_ashrrev_i32_e32 v1, 31, v0
	v_lshlrev_b64 v[0:1], 3, v[0:1]
	v_mov_b32_e32 v2, s23
	v_add_co_u32_e32 v0, vcc, s22, v0
	v_addc_co_u32_e32 v1, vcc, v2, v1, vcc
	v_mov_b32_e32 v22, v3
	global_store_dwordx2 v[0:1], v[22:23], off
.LBB75_94:
	s_or_b64 exec, exec, s[8:9]
	v_cmp_gt_i32_e32 vcc, s2, v36
	s_and_b64 exec, exec, vcc
	s_cbranch_execz .LBB75_114
; %bb.95:
	s_and_b64 vcc, exec, s[0:1]
	v_mov_b32_e32 v2, 1.0
	s_cbranch_vccnz .LBB75_97
; %bb.96:
	v_div_scale_f32 v0, s[8:9], v20, v20, 1.0
	v_rcp_f32_e32 v1, v0
	v_div_scale_f32 v2, vcc, 1.0, v20, 1.0
	v_fma_f32 v3, -v0, v1, 1.0
	v_fmac_f32_e32 v1, v3, v1
	v_mul_f32_e32 v3, v2, v1
	v_fma_f32 v8, -v0, v3, v2
	v_fmac_f32_e32 v3, v8, v1
	v_fma_f32 v0, -v0, v3, v2
	v_div_fmas_f32 v0, v0, v1, v3
	v_div_fixup_f32 v2, v0, v20, 1.0
.LBB75_97:
	v_add_u32_e32 v0, s10, v34
	v_mul_lo_u32 v0, v0, s3
	v_add_u32_e32 v0, s28, v0
	v_mul_lo_u32 v0, s6, v0
	v_add_u32_e32 v0, s7, v0
	v_cvt_f32_f16_sdwa v11, v60 dst_sel:DWORD dst_unused:UNUSED_PAD src0_sel:WORD_1
	v_cvt_f32_f16_e32 v10, v60
	v_cvt_f32_f16_sdwa v13, v61 dst_sel:DWORD dst_unused:UNUSED_PAD src0_sel:WORD_1
	v_cvt_f32_f16_e32 v12, v61
	v_lshl_add_u32 v8, v0, 7, v35
	v_mov_b32_e32 v9, 0
	v_lshlrev_b64 v[8:9], 2, v[8:9]
	v_mov_b32_e32 v1, s21
	v_add_co_u32_e32 v14, vcc, s20, v8
	v_addc_co_u32_e32 v15, vcc, v1, v9, vcc
	v_pk_mul_f32 v[8:9], v[2:3], v[10:11] op_sel_hi:[0,1]
	v_pk_mul_f32 v[10:11], v[2:3], v[12:13] op_sel_hi:[0,1]
	global_store_dwordx4 v[14:15], v[8:11], off
	s_and_saveexec_b64 s[8:9], s[4:5]
	s_cbranch_execz .LBB75_99
; %bb.98:
	v_ashrrev_i32_e32 v1, 31, v0
	v_lshlrev_b64 v[0:1], 3, v[0:1]
	v_mov_b32_e32 v2, s23
	v_add_co_u32_e32 v0, vcc, s22, v0
	v_addc_co_u32_e32 v1, vcc, v2, v1, vcc
	v_mov_b32_e32 v2, v4
	v_mov_b32_e32 v3, v20
	global_store_dwordx2 v[0:1], v[2:3], off
.LBB75_99:
	s_or_b64 exec, exec, s[8:9]
	v_cmp_gt_i32_e32 vcc, s2, v33
	s_and_b64 exec, exec, vcc
	s_cbranch_execz .LBB75_114
; %bb.100:
	s_and_b64 vcc, exec, s[0:1]
	v_mov_b32_e32 v2, 1.0
	s_cbranch_vccnz .LBB75_102
; %bb.101:
	v_div_scale_f32 v0, s[8:9], v21, v21, 1.0
	v_rcp_f32_e32 v1, v0
	v_div_scale_f32 v2, vcc, 1.0, v21, 1.0
	v_fma_f32 v3, -v0, v1, 1.0
	v_fmac_f32_e32 v1, v3, v1
	v_mul_f32_e32 v3, v2, v1
	v_fma_f32 v4, -v0, v3, v2
	v_fmac_f32_e32 v3, v4, v1
	v_fma_f32 v0, -v0, v3, v2
	v_div_fmas_f32 v0, v0, v1, v3
	v_div_fixup_f32 v2, v0, v21, 1.0
.LBB75_102:
	v_add_u32_e32 v0, s10, v32
	v_mul_lo_u32 v0, v0, s3
	v_add_u32_e32 v0, s13, v0
	v_mul_lo_u32 v0, s6, v0
	v_add_u32_e32 v0, s7, v0
	v_cvt_f32_f16_sdwa v11, v59 dst_sel:DWORD dst_unused:UNUSED_PAD src0_sel:WORD_1
	v_cvt_f32_f16_e32 v10, v59
	v_cvt_f32_f16_sdwa v13, v58 dst_sel:DWORD dst_unused:UNUSED_PAD src0_sel:WORD_1
	v_cvt_f32_f16_e32 v12, v58
	v_lshl_add_u32 v8, v0, 7, v35
	v_mov_b32_e32 v9, 0
	v_lshlrev_b64 v[8:9], 2, v[8:9]
	v_mov_b32_e32 v1, s21
	v_add_co_u32_e32 v14, vcc, s20, v8
	v_addc_co_u32_e32 v15, vcc, v1, v9, vcc
	v_pk_mul_f32 v[8:9], v[2:3], v[10:11] op_sel_hi:[0,1]
	v_pk_mul_f32 v[10:11], v[2:3], v[12:13] op_sel_hi:[0,1]
	global_store_dwordx4 v[14:15], v[8:11], off
	s_and_saveexec_b64 s[8:9], s[4:5]
	s_cbranch_execz .LBB75_104
; %bb.103:
	v_ashrrev_i32_e32 v1, 31, v0
	v_lshlrev_b64 v[0:1], 3, v[0:1]
	v_mov_b32_e32 v2, s23
	v_add_co_u32_e32 v0, vcc, s22, v0
	v_addc_co_u32_e32 v1, vcc, v2, v1, vcc
	v_mov_b32_e32 v20, v5
	global_store_dwordx2 v[0:1], v[20:21], off
.LBB75_104:
	s_or_b64 exec, exec, s[8:9]
	v_cmp_gt_i32_e32 vcc, s2, v31
	s_and_b64 exec, exec, vcc
	s_cbranch_execz .LBB75_114
; %bb.105:
	s_and_b64 vcc, exec, s[0:1]
	v_mov_b32_e32 v2, 1.0
	s_cbranch_vccnz .LBB75_107
; %bb.106:
	v_div_scale_f32 v0, s[8:9], v18, v18, 1.0
	v_rcp_f32_e32 v1, v0
	v_div_scale_f32 v2, vcc, 1.0, v18, 1.0
	v_fma_f32 v3, -v0, v1, 1.0
	v_fmac_f32_e32 v1, v3, v1
	v_mul_f32_e32 v3, v2, v1
	v_fma_f32 v4, -v0, v3, v2
	v_fmac_f32_e32 v3, v4, v1
	v_fma_f32 v0, -v0, v3, v2
	v_div_fmas_f32 v0, v0, v1, v3
	v_div_fixup_f32 v2, v0, v18, 1.0
.LBB75_107:
	v_add_u32_e32 v0, s10, v30
	v_mul_lo_u32 v0, v0, s3
	v_add_u32_e32 v0, s12, v0
	v_mul_lo_u32 v0, s6, v0
	v_add_u32_e32 v0, s7, v0
	v_cvt_f32_f16_sdwa v9, v66 dst_sel:DWORD dst_unused:UNUSED_PAD src0_sel:WORD_1
	v_cvt_f32_f16_e32 v8, v66
	v_cvt_f32_f16_sdwa v11, v67 dst_sel:DWORD dst_unused:UNUSED_PAD src0_sel:WORD_1
	v_cvt_f32_f16_e32 v10, v67
	v_lshl_add_u32 v4, v0, 7, v35
	v_mov_b32_e32 v5, 0
	v_lshlrev_b64 v[4:5], 2, v[4:5]
	v_mov_b32_e32 v1, s21
	v_add_co_u32_e32 v4, vcc, s20, v4
	v_addc_co_u32_e32 v5, vcc, v1, v5, vcc
	v_pk_mul_f32 v[8:9], v[2:3], v[8:9] op_sel_hi:[0,1]
	v_pk_mul_f32 v[10:11], v[2:3], v[10:11] op_sel_hi:[0,1]
	global_store_dwordx4 v[4:5], v[8:11], off
	s_and_saveexec_b64 s[8:9], s[4:5]
	s_cbranch_execz .LBB75_109
; %bb.108:
	v_ashrrev_i32_e32 v1, 31, v0
	v_lshlrev_b64 v[0:1], 3, v[0:1]
	v_mov_b32_e32 v2, s23
	v_add_co_u32_e32 v0, vcc, s22, v0
	v_addc_co_u32_e32 v1, vcc, v2, v1, vcc
	v_mov_b32_e32 v2, v6
	v_mov_b32_e32 v3, v18
	global_store_dwordx2 v[0:1], v[2:3], off
.LBB75_109:
	s_or_b64 exec, exec, s[8:9]
	v_cmp_gt_i32_e32 vcc, s2, v29
	s_and_b64 exec, exec, vcc
	s_cbranch_execz .LBB75_114
; %bb.110:
	s_and_b64 vcc, exec, s[0:1]
	v_mov_b32_e32 v2, 1.0
	s_cbranch_vccnz .LBB75_112
; %bb.111:
	v_div_scale_f32 v0, s[0:1], v19, v19, 1.0
	v_rcp_f32_e32 v1, v0
	v_div_scale_f32 v2, vcc, 1.0, v19, 1.0
	v_fma_f32 v3, -v0, v1, 1.0
	v_fmac_f32_e32 v1, v3, v1
	v_mul_f32_e32 v3, v2, v1
	v_fma_f32 v4, -v0, v3, v2
	v_fmac_f32_e32 v3, v4, v1
	v_fma_f32 v0, -v0, v3, v2
	v_div_fmas_f32 v0, v0, v1, v3
	v_div_fixup_f32 v2, v0, v19, 1.0
.LBB75_112:
	v_add_u32_e32 v0, s10, v28
	v_mul_lo_u32 v0, v0, s3
	v_add_u32_e32 v0, s11, v0
	v_mul_lo_u32 v0, s6, v0
	v_add_u32_e32 v0, s7, v0
	v_cvt_f32_f16_sdwa v9, v63 dst_sel:DWORD dst_unused:UNUSED_PAD src0_sel:WORD_1
	v_cvt_f32_f16_e32 v8, v63
	v_cvt_f32_f16_sdwa v11, v62 dst_sel:DWORD dst_unused:UNUSED_PAD src0_sel:WORD_1
	v_cvt_f32_f16_e32 v10, v62
	v_lshl_add_u32 v4, v0, 7, v35
	v_mov_b32_e32 v5, 0
	v_lshlrev_b64 v[4:5], 2, v[4:5]
	v_mov_b32_e32 v1, s21
	v_add_co_u32_e32 v4, vcc, s20, v4
	v_addc_co_u32_e32 v5, vcc, v1, v5, vcc
	v_pk_mul_f32 v[8:9], v[2:3], v[8:9] op_sel_hi:[0,1]
	v_pk_mul_f32 v[10:11], v[2:3], v[10:11] op_sel_hi:[0,1]
	global_store_dwordx4 v[4:5], v[8:11], off
	s_and_b64 exec, exec, s[4:5]
	s_cbranch_execz .LBB75_114
; %bb.113:
	v_ashrrev_i32_e32 v1, 31, v0
	v_lshlrev_b64 v[0:1], 3, v[0:1]
	v_mov_b32_e32 v2, s23
	v_add_co_u32_e32 v0, vcc, s22, v0
	v_addc_co_u32_e32 v1, vcc, v2, v1, vcc
	v_mov_b32_e32 v18, v7
	global_store_dwordx2 v[0:1], v[18:19], off
.LBB75_114:
	s_endpgm
	.section	.rodata,"a",@progbits
	.p2align	6, 0x0
	.amdhsa_kernel _ZL15flash_attn_tileILi128ELi128ELi16ELi4ELb1EEvPKcS1_S1_S1_S1_PKiPfP15HIP_vector_typeIfLj2EEffffjfiS5_IjLj3EEiiiiiiiiiiiliiliiiiil
		.amdhsa_group_segment_fixed_size 29696
		.amdhsa_private_segment_fixed_size 0
		.amdhsa_kernarg_size 464
		.amdhsa_user_sgpr_count 6
		.amdhsa_user_sgpr_private_segment_buffer 1
		.amdhsa_user_sgpr_dispatch_ptr 0
		.amdhsa_user_sgpr_queue_ptr 0
		.amdhsa_user_sgpr_kernarg_segment_ptr 1
		.amdhsa_user_sgpr_dispatch_id 0
		.amdhsa_user_sgpr_flat_scratch_init 0
		.amdhsa_user_sgpr_kernarg_preload_length 0
		.amdhsa_user_sgpr_kernarg_preload_offset 0
		.amdhsa_user_sgpr_private_segment_size 0
		.amdhsa_uses_dynamic_stack 0
		.amdhsa_system_sgpr_private_segment_wavefront_offset 0
		.amdhsa_system_sgpr_workgroup_id_x 1
		.amdhsa_system_sgpr_workgroup_id_y 1
		.amdhsa_system_sgpr_workgroup_id_z 1
		.amdhsa_system_sgpr_workgroup_info 0
		.amdhsa_system_vgpr_workitem_id 1
		.amdhsa_next_free_vgpr 120
		.amdhsa_next_free_sgpr 42
		.amdhsa_accum_offset 120
		.amdhsa_reserve_vcc 1
		.amdhsa_reserve_flat_scratch 0
		.amdhsa_float_round_mode_32 0
		.amdhsa_float_round_mode_16_64 0
		.amdhsa_float_denorm_mode_32 3
		.amdhsa_float_denorm_mode_16_64 3
		.amdhsa_dx10_clamp 1
		.amdhsa_ieee_mode 1
		.amdhsa_fp16_overflow 0
		.amdhsa_tg_split 0
		.amdhsa_exception_fp_ieee_invalid_op 0
		.amdhsa_exception_fp_denorm_src 0
		.amdhsa_exception_fp_ieee_div_zero 0
		.amdhsa_exception_fp_ieee_overflow 0
		.amdhsa_exception_fp_ieee_underflow 0
		.amdhsa_exception_fp_ieee_inexact 0
		.amdhsa_exception_int_div_zero 0
	.end_amdhsa_kernel
	.section	.text._ZL15flash_attn_tileILi128ELi128ELi16ELi4ELb1EEvPKcS1_S1_S1_S1_PKiPfP15HIP_vector_typeIfLj2EEffffjfiS5_IjLj3EEiiiiiiiiiiiliiliiiiil,"axG",@progbits,_ZL15flash_attn_tileILi128ELi128ELi16ELi4ELb1EEvPKcS1_S1_S1_S1_PKiPfP15HIP_vector_typeIfLj2EEffffjfiS5_IjLj3EEiiiiiiiiiiiliiliiiiil,comdat
.Lfunc_end75:
	.size	_ZL15flash_attn_tileILi128ELi128ELi16ELi4ELb1EEvPKcS1_S1_S1_S1_PKiPfP15HIP_vector_typeIfLj2EEffffjfiS5_IjLj3EEiiiiiiiiiiiliiliiiiil, .Lfunc_end75-_ZL15flash_attn_tileILi128ELi128ELi16ELi4ELb1EEvPKcS1_S1_S1_S1_PKiPfP15HIP_vector_typeIfLj2EEffffjfiS5_IjLj3EEiiiiiiiiiiiliiliiiiil
                                        ; -- End function
	.section	.AMDGPU.csdata,"",@progbits
; Kernel info:
; codeLenInByte = 33004
; NumSgprs: 46
; NumVgprs: 120
; NumAgprs: 0
; TotalNumVgprs: 120
; ScratchSize: 0
; MemoryBound: 0
; FloatMode: 240
; IeeeMode: 1
; LDSByteSize: 29696 bytes/workgroup (compile time only)
; SGPRBlocks: 5
; VGPRBlocks: 14
; NumSGPRsForWavesPerEU: 46
; NumVGPRsForWavesPerEU: 120
; AccumOffset: 120
; Occupancy: 2
; WaveLimiterHint : 1
; COMPUTE_PGM_RSRC2:SCRATCH_EN: 0
; COMPUTE_PGM_RSRC2:USER_SGPR: 6
; COMPUTE_PGM_RSRC2:TRAP_HANDLER: 0
; COMPUTE_PGM_RSRC2:TGID_X_EN: 1
; COMPUTE_PGM_RSRC2:TGID_Y_EN: 1
; COMPUTE_PGM_RSRC2:TGID_Z_EN: 1
; COMPUTE_PGM_RSRC2:TIDIG_COMP_CNT: 1
; COMPUTE_PGM_RSRC3_GFX90A:ACCUM_OFFSET: 29
; COMPUTE_PGM_RSRC3_GFX90A:TG_SPLIT: 0
	.section	.text._ZL15flash_attn_tileILi128ELi128ELi8ELi4ELb1EEvPKcS1_S1_S1_S1_PKiPfP15HIP_vector_typeIfLj2EEffffjfiS5_IjLj3EEiiiiiiiiiiiliiliiiiil,"axG",@progbits,_ZL15flash_attn_tileILi128ELi128ELi8ELi4ELb1EEvPKcS1_S1_S1_S1_PKiPfP15HIP_vector_typeIfLj2EEffffjfiS5_IjLj3EEiiiiiiiiiiiliiliiiiil,comdat
	.globl	_ZL15flash_attn_tileILi128ELi128ELi8ELi4ELb1EEvPKcS1_S1_S1_S1_PKiPfP15HIP_vector_typeIfLj2EEffffjfiS5_IjLj3EEiiiiiiiiiiiliiliiiiil ; -- Begin function _ZL15flash_attn_tileILi128ELi128ELi8ELi4ELb1EEvPKcS1_S1_S1_S1_PKiPfP15HIP_vector_typeIfLj2EEffffjfiS5_IjLj3EEiiiiiiiiiiiliiliiiiil
	.p2align	8
	.type	_ZL15flash_attn_tileILi128ELi128ELi8ELi4ELb1EEvPKcS1_S1_S1_S1_PKiPfP15HIP_vector_typeIfLj2EEffffjfiS5_IjLj3EEiiiiiiiiiiiliiliiiiil,@function
_ZL15flash_attn_tileILi128ELi128ELi8ELi4ELb1EEvPKcS1_S1_S1_S1_PKiPfP15HIP_vector_typeIfLj2EEffffjfiS5_IjLj3EEiiiiiiiiiiiliiliiiiil: ; @_ZL15flash_attn_tileILi128ELi128ELi8ELi4ELb1EEvPKcS1_S1_S1_S1_PKiPfP15HIP_vector_typeIfLj2EEffffjfiS5_IjLj3EEiiiiiiiiiiiliiliiiiil
; %bb.0:
	s_load_dwordx4 s[0:3], s[4:5], 0x5c
	s_load_dwordx2 s[30:31], s[4:5], 0x80
	s_load_dwordx2 s[36:37], s[4:5], 0xb8
	s_mov_b64 s[34:35], 0
	s_waitcnt lgkmcnt(0)
	s_ashr_i32 s9, s3, 31
	s_lshr_b32 s9, s9, 30
	s_add_i32 s9, s3, s9
	s_ashr_i32 s9, s9, 2
	v_cvt_f32_u32_e32 v1, s9
	s_sub_i32 s10, 0, s9
	v_rcp_iflag_f32_e32 v1, v1
	v_mul_f32_e32 v1, 0x4f7ffffe, v1
	v_cvt_u32_f32_e32 v1, v1
	v_readfirstlane_b32 s11, v1
	s_mul_i32 s10, s10, s11
	s_mul_hi_u32 s10, s11, s10
	s_add_i32 s11, s11, s10
	s_mul_hi_u32 s10, s8, s11
	s_mul_i32 s11, s10, s9
	s_sub_i32 s11, s8, s11
	s_add_i32 s12, s10, 1
	s_sub_i32 s13, s11, s9
	s_cmp_ge_u32 s11, s9
	s_cselect_b32 s10, s12, s10
	s_cselect_b32 s11, s13, s11
	s_add_i32 s12, s10, 1
	s_cmp_ge_u32 s11, s9
	s_cselect_b32 s33, s12, s10
	s_abs_i32 s9, s31
	v_cvt_f32_u32_e32 v1, s9
	s_lshl_b32 s8, s8, 2
	s_mul_i32 s12, s33, s3
	s_sub_i32 s13, 0, s9
	v_rcp_iflag_f32_e32 v1, v1
	s_sub_i32 s28, s8, s12
	s_abs_i32 s11, s3
	s_xor_b32 s10, s3, s31
	v_mul_f32_e32 v1, 0x4f7ffffe, v1
	v_cvt_u32_f32_e32 v1, v1
	s_ashr_i32 s10, s10, 31
	v_readfirstlane_b32 s8, v1
	s_mul_i32 s13, s13, s8
	s_mul_hi_u32 s12, s8, s13
	s_add_i32 s8, s8, s12
	s_mul_hi_u32 s8, s11, s8
	s_mul_i32 s12, s8, s9
	s_sub_i32 s11, s11, s12
	s_add_i32 s13, s8, 1
	s_sub_i32 s12, s11, s9
	s_cmp_ge_u32 s11, s9
	s_cselect_b32 s8, s13, s8
	s_cselect_b32 s11, s12, s11
	s_add_i32 s12, s8, 1
	s_cmp_ge_u32 s11, s9
	s_cselect_b32 s8, s12, s8
	s_xor_b32 s8, s8, s10
	s_sub_i32 s31, s8, s10
	s_abs_i32 s29, s31
	v_cvt_f32_u32_e32 v1, s29
	s_load_dwordx16 s[8:23], s[4:5], 0x0
	v_rcp_iflag_f32_e32 v1, v1
	s_waitcnt lgkmcnt(0)
	s_cmp_eq_u64 s[14:15], 0
	v_mul_f32_e32 v1, 0x4f7ffffe, v1
	v_cvt_u32_f32_e32 v1, v1
	v_readfirstlane_b32 s38, v1
	s_cbranch_scc1 .LBB76_2
; %bb.1:
	s_abs_i32 s26, s36
	v_cvt_f32_u32_e32 v1, s26
	s_sub_i32 s35, 0, s26
	s_abs_i32 s34, s33
	s_ashr_i32 s27, s33, 31
	v_rcp_iflag_f32_e32 v1, v1
	s_load_dwordx2 s[24:25], s[4:5], 0xc8
	v_mul_f32_e32 v1, 0x4f7ffffe, v1
	v_cvt_u32_f32_e32 v1, v1
	v_readfirstlane_b32 s36, v1
	s_mul_i32 s35, s35, s36
	s_mul_hi_u32 s35, s36, s35
	s_add_i32 s36, s36, s35
	s_mul_hi_u32 s35, s34, s36
	s_mul_i32 s35, s35, s26
	s_sub_i32 s34, s34, s35
	s_sub_i32 s35, s34, s26
	s_cmp_ge_u32 s34, s26
	s_cselect_b32 s34, s35, s34
	s_sub_i32 s35, s34, s26
	s_cmp_ge_u32 s34, s26
	s_cselect_b32 s26, s35, s34
	s_xor_b32 s26, s26, s27
	s_sub_i32 s26, s26, s27
	s_ashr_i32 s27, s26, 31
	s_waitcnt lgkmcnt(0)
	s_mul_i32 s25, s26, s25
	s_mul_hi_u32 s34, s26, s24
	s_add_i32 s25, s34, s25
	s_mul_i32 s27, s27, s24
	s_add_i32 s25, s25, s27
	s_mul_i32 s26, s26, s24
	s_add_u32 s34, s14, s26
	s_addc_u32 s35, s15, s25
.LBB76_2:
	s_load_dwordx4 s[24:27], s[4:5], 0x70
	v_bfe_u32 v12, v0, 10, 10
	v_lshl_add_u32 v5, s6, 3, v12
	v_mul_hi_u32 v1, s0, v5
	v_add_u32_e32 v1, v5, v1
	s_waitcnt lgkmcnt(0)
	s_mul_i32 s14, s33, s26
	s_ashr_i32 s26, s14, 31
	s_mul_i32 s15, s28, s25
	s_add_u32 s8, s8, s14
	s_addc_u32 s9, s9, s26
	s_ashr_i32 s14, s15, 31
	s_add_u32 s26, s8, s15
	v_lshrrev_b32_e32 v1, s1, v1
	s_addc_u32 s27, s9, s14
	s_ashr_i32 s9, s25, 31
	s_mov_b32 s8, s25
	v_mul_lo_u32 v1, v1, s2
	s_lshr_b64 s[14:15], s[8:9], 2
	v_sub_u32_e32 v10, v5, v1
	s_ashr_i32 s8, s24, 31
	v_mov_b32_e32 v1, s24
	v_alignbit_b32 v1, s8, v1, 2
	v_mad_u64_u32 v[2:3], s[0:1], v1, v10, 0
	v_mov_b32_e32 v4, v3
	s_lshr_b32 s0, s8, 2
	v_mad_u64_u32 v[6:7], s[0:1], s0, v10, v[4:5]
	v_mov_b32_e32 v3, v6
	v_and_b32_e32 v4, 0x3ff, v0
	v_lshlrev_b64 v[0:1], 2, v[2:3]
	v_mov_b32_e32 v2, s27
	v_add_co_u32_e32 v0, vcc, s26, v0
	v_addc_co_u32_e32 v1, vcc, v2, v1, vcc
	v_lshlrev_b32_e32 v2, 4, v4
	v_add_co_u32_e32 v18, vcc, v0, v2
	v_addc_co_u32_e32 v19, vcc, 0, v1, vcc
	s_and_b32 s0, s25, -4
	v_mov_b32_e32 v0, s9
	v_add_co_u32_e32 v14, vcc, s0, v18
	v_addc_co_u32_e32 v15, vcc, v19, v0, vcc
	s_lshl_b64 s[0:1], s[14:15], 3
	global_load_dwordx4 v[0:3], v[18:19], off
	global_load_dwordx4 v[6:9], v[14:15], off
	v_mov_b32_e32 v11, s1
	v_add_co_u32_e32 v14, vcc, s0, v18
	v_addc_co_u32_e32 v15, vcc, v19, v11, vcc
	v_mov_b32_e32 v11, s25
	v_alignbit_b32 v11, s9, v11, 2
	v_mad_u64_u32 v[18:19], s[0:1], v11, 12, v[18:19]
	v_mov_b32_e32 v20, v19
	s_lshr_b32 s0, s9, 2
	v_mad_u64_u32 v[20:21], s[0:1], s0, 12, v[20:21]
	v_mov_b32_e32 v19, v20
	global_load_dwordx4 v[14:17], v[14:15], off
	s_load_dword s0, s[4:5], 0x40
	global_load_dwordx4 v[18:21], v[18:19], off
	v_lshlrev_b32_e32 v11, 8, v12
	v_lshlrev_b32_e32 v13, 1, v4
	v_add_lshl_u32 v11, v13, v11, 2
	v_add_u32_e32 v11, 0x2000, v11
	s_cmp_eq_u64 s[18:19], 0
	s_waitcnt vmcnt(3) lgkmcnt(0)
	v_pk_mul_f32 v[0:1], v[0:1], s[0:1] op_sel_hi:[1,0]
	v_cvt_f16_f32_e32 v13, v1
	v_cvt_f16_f32_e32 v22, v0
	v_pk_mul_f32 v[2:3], v[2:3], s[0:1] op_sel_hi:[1,0]
	v_cvt_f16_f32_e32 v23, v3
	v_cvt_f16_f32_e32 v24, v2
	s_waitcnt vmcnt(2)
	v_pk_mul_f32 v[0:1], v[6:7], s[0:1] op_sel_hi:[1,0]
	v_pk_mul_f32 v[2:3], v[8:9], s[0:1] op_sel_hi:[1,0]
	s_waitcnt vmcnt(1)
	v_pk_mul_f32 v[6:7], v[14:15], s[0:1] op_sel_hi:[1,0]
	v_pk_mul_f32 v[8:9], v[16:17], s[0:1] op_sel_hi:[1,0]
	v_cvt_f16_f32_e32 v14, v1
	v_cvt_f16_f32_e32 v15, v0
	;; [unrolled: 1-line block ×4, first 2 shown]
	s_waitcnt vmcnt(0)
	v_pk_mul_f32 v[0:1], v[18:19], s[0:1] op_sel_hi:[1,0]
	v_pk_mul_f32 v[2:3], v[20:21], s[0:1] op_sel_hi:[1,0]
	v_cvt_f16_f32_e32 v25, v7
	v_cvt_f16_f32_e32 v26, v6
	;; [unrolled: 1-line block ×4, first 2 shown]
	v_pack_b32_f16 v6, v22, v13
	v_cvt_f16_f32_e32 v13, v1
	v_cvt_f16_f32_e32 v18, v0
	;; [unrolled: 1-line block ×4, first 2 shown]
	v_pack_b32_f16 v7, v24, v23
	v_pack_b32_f16 v1, v17, v16
	;; [unrolled: 1-line block ×5, first 2 shown]
	ds_write2_b64 v11, v[6:7], v[0:1] offset0:128 offset1:160
	v_pack_b32_f16 v1, v20, v19
	v_pack_b32_f16 v0, v18, v13
	ds_write2_b64 v11, v[2:3], v[0:1] offset0:192 offset1:224
	s_waitcnt lgkmcnt(0)
	s_barrier
	s_cbranch_scc1 .LBB76_4
; %bb.3:
	s_load_dword s0, s[4:5], 0xd0
	s_mov_b32 s1, 0
	s_waitcnt lgkmcnt(0)
	s_mul_i32 s0, s0, s33
	s_add_i32 s0, s0, s6
	s_lshl_b64 s[0:1], s[0:1], 2
	s_add_u32 s0, s18, s0
	s_addc_u32 s1, s19, s1
	s_load_dword s30, s[0:1], 0x0
.LBB76_4:
	s_lshl_b32 s6, s7, 6
	s_waitcnt lgkmcnt(0)
	s_cmp_lt_i32 s6, s30
	v_mbcnt_lo_u32_b32 v16, -1, 0
	s_cbranch_scc1 .LBB76_6
; %bb.5:
	v_mbcnt_hi_u32_b32 v11, -1, v16
	v_and_b32_e32 v0, 0x60, v11
	s_mov_b32 s8, 0
	v_add_u32_e32 v55, 32, v0
	v_xor_b32_e32 v58, 16, v11
	v_xor_b32_e32 v59, 8, v11
	;; [unrolled: 1-line block ×5, first 2 shown]
	s_mov_b64 s[0:1], 0
	s_mov_b32 s9, 0xfeffffff
	s_branch .LBB76_7
.LBB76_6:
	s_mov_b64 s[0:1], -1
                                        ; implicit-def: $sgpr9
                                        ; implicit-def: $sgpr8
                                        ; implicit-def: $vgpr11
                                        ; implicit-def: $vgpr55
                                        ; implicit-def: $vgpr58
                                        ; implicit-def: $vgpr59
                                        ; implicit-def: $vgpr60
                                        ; implicit-def: $vgpr57
                                        ; implicit-def: $vgpr56
.LBB76_7:
	v_lshlrev_b32_e32 v21, 2, v4
	s_andn2_b64 vcc, exec, s[0:1]
	v_mov_b32_e32 v3, s9
	v_mov_b32_e32 v7, s8
	;; [unrolled: 1-line block ×16, first 2 shown]
	s_cbranch_vccnz .LBB76_43
; %bb.8:
	s_sub_i32 s0, 0, s29
	s_mul_i32 s0, s0, s38
	s_mul_hi_u32 s0, s38, s0
	s_add_i32 s38, s38, s0
	s_load_dwordx4 s[24:27], s[4:5], 0x98
	s_load_dword s0, s[4:5], 0x54
	s_load_dwordx2 s[8:9], s[4:5], 0x8c
	s_abs_i32 s1, s28
	s_mul_hi_u32 s18, s1, s38
	s_waitcnt lgkmcnt(0)
	s_mul_i32 s25, s33, s25
	s_mul_hi_u32 s36, s33, s24
	s_ashr_i32 s15, s8, 2
	s_ashr_i32 s8, s33, 31
	s_add_i32 s25, s36, s25
	s_mul_i32 s36, s8, s24
	s_ashr_i32 s19, s28, 31
	s_ashr_i32 s31, s31, 31
	;; [unrolled: 1-line block ×4, first 2 shown]
	s_add_i32 s25, s25, s36
	s_mul_i32 s24, s33, s24
	s_add_u32 s10, s10, s24
	s_mul_i32 s24, s18, s29
	s_addc_u32 s11, s11, s25
	s_sub_i32 s1, s1, s24
	s_xor_b32 s19, s19, s31
	s_add_i32 s24, s18, 1
	s_sub_i32 s25, s1, s29
	s_cmp_ge_u32 s1, s29
	s_cselect_b32 s18, s24, s18
	s_cselect_b32 s1, s25, s1
	s_add_i32 s24, s18, 1
	s_cmp_ge_u32 s1, s29
	s_load_dwordx2 s[38:39], s[4:5], 0xa8
	s_cselect_b32 s1, s24, s18
	s_xor_b32 s1, s1, s19
	s_sub_i32 s1, s1, s19
	s_mul_i32 s9, s1, s9
	s_ashr_i32 s19, s9, 31
	s_add_u32 s18, s10, s9
	s_waitcnt lgkmcnt(0)
	s_mul_i32 s9, s33, s39
	s_mul_hi_u32 s10, s33, s38
	s_addc_u32 s19, s11, s19
	s_add_i32 s9, s10, s9
	s_mul_i32 s8, s8, s38
	s_add_i32 s9, s9, s8
	s_mul_i32 s8, s33, s38
	s_add_u32 s8, s12, s8
	s_mul_i32 s1, s1, s27
	v_lshrrev_b32_e32 v0, 3, v4
	s_addc_u32 s9, s13, s9
	s_ashr_i32 s10, s1, 31
	v_lshl_add_u32 v1, v12, 2, v0
	v_and_b32_e32 v0, 28, v21
	s_add_u32 s12, s8, s1
	v_lshlrev_b32_e32 v2, 2, v0
	s_movk_i32 s1, 0x90
	v_mad_u32_u24 v23, v1, s1, v2
	v_mul_lo_u32 v2, s15, v1
	v_mov_b32_e32 v1, 0x2400
	v_lshl_add_u32 v39, v12, 10, v1
	v_mov_b32_e32 v1, 0x4400
	v_lshl_add_u32 v40, v12, 9, v1
	v_lshrrev_b32_e32 v1, 4, v4
	v_lshl_add_u32 v1, v12, 1, v1
	v_and_b32_e32 v8, 60, v21
	v_mul_lo_u32 v18, s14, v1
	s_addc_u32 s13, s9, s10
	v_lshl_add_u32 v6, s15, 5, v2
	v_mad_u64_u32 v[10:11], s[8:9], v10, s26, v[4:5]
	v_lshlrev_b32_e32 v9, 2, v8
	v_lshl_add_u32 v28, s14, 4, v18
	v_mov_b32_e32 v52, 0
	v_ashrrev_i32_e32 v3, 31, v2
	v_ashrrev_i32_e32 v7, 31, v6
	v_lshl_or_b32 v42, v1, 8, v9
	v_ashrrev_i32_e32 v19, 31, v18
	v_ashrrev_i32_e32 v29, 31, v28
	s_add_u32 s8, s4, 0xd0
	v_mov_b32_e32 v26, 0xfeffffff
	v_add_u32_e32 v25, 0x1200, v23
	v_mul_u32_u24_e32 v38, 0x90, v4
	v_lshlrev_b32_e32 v41, 3, v4
	v_add_u32_e32 v43, 0x1000, v42
	s_addc_u32 s9, s5, 0
	s_mov_b32 s1, s0
	v_lshlrev_b64 v[12:13], 2, v[2:3]
	v_lshlrev_b32_e32 v44, 2, v0
	v_lshlrev_b64 v[14:15], 2, v[6:7]
	s_mov_b32 s24, 0x3f200000
	s_mov_b32 s25, 0x3fb8aa3b
	;; [unrolled: 1-line block ×4, first 2 shown]
	v_mov_b32_e32 v45, 0xbd5c1c4e
	v_mov_b32_e32 v46, 0x3e088382
	;; [unrolled: 1-line block ×3, first 2 shown]
	s_brev_b32 s29, -2
	v_mbcnt_hi_u32_b32 v11, -1, v16
	v_lshlrev_b64 v[16:17], 2, v[18:19]
	v_lshlrev_b32_e32 v48, 2, v8
	v_lshlrev_b64 v[18:19], 2, v[28:29]
	v_mov_b32_e32 v49, 0x7f800000
	v_mov_b32_e32 v53, 0
	;; [unrolled: 1-line block ×15, first 2 shown]
.LBB76_9:                               ; =>This Inner Loop Header: Depth=1
	s_mul_hi_i32 s11, s6, s15
	s_mul_i32 s10, s6, s15
	s_lshl_b64 s[10:11], s[10:11], 2
	s_add_u32 s10, s18, s10
	s_addc_u32 s11, s19, s11
	v_mov_b32_e32 v2, s11
	v_add_co_u32_e32 v3, vcc, s10, v12
	v_addc_co_u32_e32 v28, vcc, v2, v13, vcc
	v_add_co_u32_e32 v2, vcc, v3, v44
	v_addc_co_u32_e32 v3, vcc, 0, v28, vcc
	v_mov_b32_e32 v28, s11
	v_add_co_u32_e32 v29, vcc, s10, v14
	v_addc_co_u32_e32 v30, vcc, v28, v15, vcc
	v_add_co_u32_e32 v28, vcc, v29, v44
	v_addc_co_u32_e32 v29, vcc, 0, v30, vcc
	global_load_dwordx4 v[56:59], v[2:3], off
	global_load_dwordx4 v[60:63], v[28:29], off
	v_mov_b32_e32 v30, 0
	v_mov_b32_e32 v31, 0
	;; [unrolled: 1-line block ×8, first 2 shown]
	s_waitcnt vmcnt(1)
	ds_write_b128 v23, v[56:59]
	s_waitcnt vmcnt(0)
	ds_write_b128 v25, v[60:63]
	s_waitcnt lgkmcnt(0)
	s_barrier
	ds_read_b128 v[56:59], v39
	ds_read_b128 v[60:63], v38
	ds_read_b128 v[64:67], v38 offset:4608
	ds_read_b128 v[68:71], v39 offset:256
	;; [unrolled: 1-line block ×4, first 2 shown]
	s_waitcnt lgkmcnt(4)
	;;#ASMSTART
	v_dot2_f32_f16 v30, v60, v56, v30
	;;#ASMEND
	;;#ASMSTART
	v_dot2_f32_f16 v30, v61, v57, v30
	;;#ASMEND
	;;#ASMSTART
	v_dot2_f32_f16 v30, v62, v58, v30
	;;#ASMEND
	;;#ASMSTART
	v_dot2_f32_f16 v30, v63, v59, v30
	;;#ASMEND
	s_waitcnt lgkmcnt(2)
	;;#ASMSTART
	v_dot2_f32_f16 v31, v60, v68, v31
	;;#ASMEND
	;;#ASMSTART
	v_dot2_f32_f16 v31, v61, v69, v31
	;;#ASMEND
	;;#ASMSTART
	v_dot2_f32_f16 v31, v62, v70, v31
	;;#ASMEND
	;;#ASMSTART
	v_dot2_f32_f16 v31, v63, v71, v31
	;;#ASMEND
	;; [unrolled: 13-line block ×4, first 2 shown]
	;;#ASMSTART
	v_dot2_f32_f16 v37, v64, v56, v37
	;;#ASMEND
	;;#ASMSTART
	v_dot2_f32_f16 v37, v65, v57, v37
	;;#ASMEND
	;; [unrolled: 3-line block ×16, first 2 shown]
	ds_read_b128 v[56:59], v39 offset:16
	ds_read_b128 v[60:63], v38 offset:16
	ds_read_b128 v[64:67], v38 offset:4624
	ds_read_b128 v[68:71], v39 offset:272
	ds_read_b128 v[72:75], v39 offset:528
	ds_read_b128 v[76:79], v39 offset:784
	s_waitcnt lgkmcnt(4)
	;;#ASMSTART
	v_dot2_f32_f16 v30, v60, v56, v30
	;;#ASMEND
	;;#ASMSTART
	v_dot2_f32_f16 v30, v61, v57, v30
	;;#ASMEND
	;;#ASMSTART
	v_dot2_f32_f16 v30, v62, v58, v30
	;;#ASMEND
	;;#ASMSTART
	v_dot2_f32_f16 v30, v63, v59, v30
	;;#ASMEND
	s_waitcnt lgkmcnt(2)
	;;#ASMSTART
	v_dot2_f32_f16 v31, v60, v68, v31
	;;#ASMEND
	;;#ASMSTART
	v_dot2_f32_f16 v31, v61, v69, v31
	;;#ASMEND
	;;#ASMSTART
	v_dot2_f32_f16 v31, v62, v70, v31
	;;#ASMEND
	;;#ASMSTART
	v_dot2_f32_f16 v31, v63, v71, v31
	;;#ASMEND
	;; [unrolled: 13-line block ×4, first 2 shown]
	;;#ASMSTART
	v_dot2_f32_f16 v37, v64, v56, v37
	;;#ASMEND
	;;#ASMSTART
	v_dot2_f32_f16 v37, v65, v57, v37
	;;#ASMEND
	;; [unrolled: 3-line block ×16, first 2 shown]
	ds_read_b128 v[56:59], v39 offset:32
	ds_read_b128 v[60:63], v38 offset:32
	;; [unrolled: 1-line block ×6, first 2 shown]
	s_waitcnt lgkmcnt(4)
	;;#ASMSTART
	v_dot2_f32_f16 v30, v60, v56, v30
	;;#ASMEND
	;;#ASMSTART
	v_dot2_f32_f16 v30, v61, v57, v30
	;;#ASMEND
	;;#ASMSTART
	v_dot2_f32_f16 v30, v62, v58, v30
	;;#ASMEND
	;;#ASMSTART
	v_dot2_f32_f16 v30, v63, v59, v30
	;;#ASMEND
	s_waitcnt lgkmcnt(2)
	;;#ASMSTART
	v_dot2_f32_f16 v31, v60, v68, v31
	;;#ASMEND
	;;#ASMSTART
	v_dot2_f32_f16 v31, v61, v69, v31
	;;#ASMEND
	;;#ASMSTART
	v_dot2_f32_f16 v31, v62, v70, v31
	;;#ASMEND
	;;#ASMSTART
	v_dot2_f32_f16 v31, v63, v71, v31
	;;#ASMEND
	;; [unrolled: 13-line block ×4, first 2 shown]
	;;#ASMSTART
	v_dot2_f32_f16 v37, v64, v56, v37
	;;#ASMEND
	;;#ASMSTART
	v_dot2_f32_f16 v37, v65, v57, v37
	;;#ASMEND
	;; [unrolled: 3-line block ×16, first 2 shown]
	ds_read_b128 v[56:59], v39 offset:48
	ds_read_b128 v[60:63], v38 offset:48
	;; [unrolled: 1-line block ×6, first 2 shown]
	s_waitcnt lgkmcnt(4)
	;;#ASMSTART
	v_dot2_f32_f16 v30, v60, v56, v30
	;;#ASMEND
	;;#ASMSTART
	v_dot2_f32_f16 v30, v61, v57, v30
	;;#ASMEND
	;;#ASMSTART
	v_dot2_f32_f16 v30, v62, v58, v30
	;;#ASMEND
	;;#ASMSTART
	v_dot2_f32_f16 v30, v63, v59, v30
	;;#ASMEND
	s_waitcnt lgkmcnt(2)
	;;#ASMSTART
	v_dot2_f32_f16 v31, v60, v68, v31
	;;#ASMEND
	;;#ASMSTART
	v_dot2_f32_f16 v31, v61, v69, v31
	;;#ASMEND
	;;#ASMSTART
	v_dot2_f32_f16 v31, v62, v70, v31
	;;#ASMEND
	;;#ASMSTART
	v_dot2_f32_f16 v31, v63, v71, v31
	;;#ASMEND
	s_waitcnt lgkmcnt(1)
	;;#ASMSTART
	v_dot2_f32_f16 v34, v60, v72, v34
	;;#ASMEND
	;;#ASMSTART
	v_dot2_f32_f16 v34, v61, v73, v34
	;;#ASMEND
	;;#ASMSTART
	v_dot2_f32_f16 v34, v62, v74, v34
	;;#ASMEND
	;;#ASMSTART
	v_dot2_f32_f16 v34, v63, v75, v34
	;;#ASMEND
	s_waitcnt lgkmcnt(0)
	;;#ASMSTART
	v_dot2_f32_f16 v32, v60, v76, v32
	;;#ASMEND
	;;#ASMSTART
	v_dot2_f32_f16 v32, v61, v77, v32
	;;#ASMEND
	;;#ASMSTART
	v_dot2_f32_f16 v32, v62, v78, v32
	;;#ASMEND
	;;#ASMSTART
	v_dot2_f32_f16 v32, v63, v79, v32
	;;#ASMEND
	;;#ASMSTART
	v_dot2_f32_f16 v37, v64, v56, v37
	;;#ASMEND
	;;#ASMSTART
	v_dot2_f32_f16 v37, v65, v57, v37
	;;#ASMEND
	;; [unrolled: 3-line block ×16, first 2 shown]
	ds_read_b128 v[56:59], v39 offset:64
	ds_read_b128 v[60:63], v38 offset:64
	;; [unrolled: 1-line block ×6, first 2 shown]
	s_waitcnt lgkmcnt(4)
	;;#ASMSTART
	v_dot2_f32_f16 v30, v60, v56, v30
	;;#ASMEND
	;;#ASMSTART
	v_dot2_f32_f16 v30, v61, v57, v30
	;;#ASMEND
	;;#ASMSTART
	v_dot2_f32_f16 v30, v62, v58, v30
	;;#ASMEND
	;;#ASMSTART
	v_dot2_f32_f16 v30, v63, v59, v30
	;;#ASMEND
	s_waitcnt lgkmcnt(2)
	;;#ASMSTART
	v_dot2_f32_f16 v31, v60, v68, v31
	;;#ASMEND
	;;#ASMSTART
	v_dot2_f32_f16 v31, v61, v69, v31
	;;#ASMEND
	;;#ASMSTART
	v_dot2_f32_f16 v31, v62, v70, v31
	;;#ASMEND
	;;#ASMSTART
	v_dot2_f32_f16 v31, v63, v71, v31
	;;#ASMEND
	;; [unrolled: 13-line block ×4, first 2 shown]
	;;#ASMSTART
	v_dot2_f32_f16 v37, v64, v56, v37
	;;#ASMEND
	;;#ASMSTART
	v_dot2_f32_f16 v37, v65, v57, v37
	;;#ASMEND
	;; [unrolled: 3-line block ×16, first 2 shown]
	ds_read_b128 v[56:59], v39 offset:80
	ds_read_b128 v[60:63], v38 offset:80
	;; [unrolled: 1-line block ×6, first 2 shown]
	s_waitcnt lgkmcnt(4)
	;;#ASMSTART
	v_dot2_f32_f16 v30, v60, v56, v30
	;;#ASMEND
	;;#ASMSTART
	v_dot2_f32_f16 v30, v61, v57, v30
	;;#ASMEND
	;;#ASMSTART
	v_dot2_f32_f16 v30, v62, v58, v30
	;;#ASMEND
	;;#ASMSTART
	v_dot2_f32_f16 v30, v63, v59, v30
	;;#ASMEND
	s_waitcnt lgkmcnt(2)
	;;#ASMSTART
	v_dot2_f32_f16 v31, v60, v68, v31
	;;#ASMEND
	;;#ASMSTART
	v_dot2_f32_f16 v31, v61, v69, v31
	;;#ASMEND
	;;#ASMSTART
	v_dot2_f32_f16 v31, v62, v70, v31
	;;#ASMEND
	;;#ASMSTART
	v_dot2_f32_f16 v31, v63, v71, v31
	;;#ASMEND
	;; [unrolled: 13-line block ×4, first 2 shown]
	;;#ASMSTART
	v_dot2_f32_f16 v37, v64, v56, v37
	;;#ASMEND
	;;#ASMSTART
	v_dot2_f32_f16 v37, v65, v57, v37
	;;#ASMEND
	;; [unrolled: 3-line block ×16, first 2 shown]
	ds_read_b128 v[56:59], v39 offset:96
	ds_read_b128 v[60:63], v38 offset:96
	;; [unrolled: 1-line block ×6, first 2 shown]
	s_waitcnt lgkmcnt(4)
	;;#ASMSTART
	v_dot2_f32_f16 v30, v60, v56, v30
	;;#ASMEND
	;;#ASMSTART
	v_dot2_f32_f16 v30, v61, v57, v30
	;;#ASMEND
	;;#ASMSTART
	v_dot2_f32_f16 v30, v62, v58, v30
	;;#ASMEND
	;;#ASMSTART
	v_dot2_f32_f16 v30, v63, v59, v30
	;;#ASMEND
	s_waitcnt lgkmcnt(2)
	;;#ASMSTART
	v_dot2_f32_f16 v31, v60, v68, v31
	;;#ASMEND
	;;#ASMSTART
	v_dot2_f32_f16 v31, v61, v69, v31
	;;#ASMEND
	;;#ASMSTART
	v_dot2_f32_f16 v31, v62, v70, v31
	;;#ASMEND
	;;#ASMSTART
	v_dot2_f32_f16 v31, v63, v71, v31
	;;#ASMEND
	;; [unrolled: 13-line block ×4, first 2 shown]
	;;#ASMSTART
	v_dot2_f32_f16 v37, v64, v56, v37
	;;#ASMEND
	;;#ASMSTART
	v_dot2_f32_f16 v37, v65, v57, v37
	;;#ASMEND
	;; [unrolled: 3-line block ×16, first 2 shown]
	ds_read_b128 v[56:59], v39 offset:112
	ds_read_b128 v[60:63], v38 offset:112
	ds_read_b128 v[64:67], v38 offset:4720
	ds_read_b128 v[68:71], v39 offset:368
	ds_read_b128 v[72:75], v39 offset:624
	ds_read_b128 v[76:79], v39 offset:880
	s_waitcnt lgkmcnt(4)
	;;#ASMSTART
	v_dot2_f32_f16 v30, v60, v56, v30
	;;#ASMEND
	;;#ASMSTART
	v_dot2_f32_f16 v30, v61, v57, v30
	;;#ASMEND
	;;#ASMSTART
	v_dot2_f32_f16 v30, v62, v58, v30
	;;#ASMEND
	;;#ASMSTART
	v_dot2_f32_f16 v30, v63, v59, v30
	;;#ASMEND
	s_waitcnt lgkmcnt(2)
	;;#ASMSTART
	v_dot2_f32_f16 v31, v60, v68, v31
	;;#ASMEND
	;;#ASMSTART
	v_dot2_f32_f16 v31, v61, v69, v31
	;;#ASMEND
	;;#ASMSTART
	v_dot2_f32_f16 v31, v62, v70, v31
	;;#ASMEND
	;;#ASMSTART
	v_dot2_f32_f16 v31, v63, v71, v31
	;;#ASMEND
	;; [unrolled: 13-line block ×4, first 2 shown]
	;;#ASMSTART
	v_dot2_f32_f16 v37, v64, v56, v37
	;;#ASMEND
	;;#ASMSTART
	v_dot2_f32_f16 v37, v65, v57, v37
	;;#ASMEND
	;; [unrolled: 3-line block ×16, first 2 shown]
	s_barrier
	global_load_dwordx4 v[56:59], v[2:3], off offset:128
	global_load_dwordx4 v[60:63], v[28:29], off offset:128
	s_waitcnt vmcnt(1)
	ds_write_b128 v23, v[56:59]
	s_waitcnt vmcnt(0)
	ds_write_b128 v25, v[60:63]
	s_waitcnt lgkmcnt(0)
	s_barrier
	ds_read_b128 v[56:59], v39 offset:128
	ds_read_b128 v[60:63], v38
	ds_read_b128 v[64:67], v38 offset:4608
	ds_read_b128 v[68:71], v39 offset:384
	;; [unrolled: 1-line block ×4, first 2 shown]
	s_waitcnt lgkmcnt(4)
	;;#ASMSTART
	v_dot2_f32_f16 v30, v60, v56, v30
	;;#ASMEND
	;;#ASMSTART
	v_dot2_f32_f16 v30, v61, v57, v30
	;;#ASMEND
	;;#ASMSTART
	v_dot2_f32_f16 v30, v62, v58, v30
	;;#ASMEND
	;;#ASMSTART
	v_dot2_f32_f16 v30, v63, v59, v30
	;;#ASMEND
	s_waitcnt lgkmcnt(2)
	;;#ASMSTART
	v_dot2_f32_f16 v31, v60, v68, v31
	;;#ASMEND
	;;#ASMSTART
	v_dot2_f32_f16 v31, v61, v69, v31
	;;#ASMEND
	;;#ASMSTART
	v_dot2_f32_f16 v31, v62, v70, v31
	;;#ASMEND
	;;#ASMSTART
	v_dot2_f32_f16 v31, v63, v71, v31
	;;#ASMEND
	;; [unrolled: 13-line block ×4, first 2 shown]
	;;#ASMSTART
	v_dot2_f32_f16 v37, v64, v56, v37
	;;#ASMEND
	;;#ASMSTART
	v_dot2_f32_f16 v37, v65, v57, v37
	;;#ASMEND
	;; [unrolled: 3-line block ×16, first 2 shown]
	ds_read_b128 v[56:59], v39 offset:144
	ds_read_b128 v[60:63], v38 offset:16
	;; [unrolled: 1-line block ×6, first 2 shown]
	s_waitcnt lgkmcnt(4)
	;;#ASMSTART
	v_dot2_f32_f16 v30, v60, v56, v30
	;;#ASMEND
	;;#ASMSTART
	v_dot2_f32_f16 v30, v61, v57, v30
	;;#ASMEND
	;;#ASMSTART
	v_dot2_f32_f16 v30, v62, v58, v30
	;;#ASMEND
	;;#ASMSTART
	v_dot2_f32_f16 v30, v63, v59, v30
	;;#ASMEND
	s_waitcnt lgkmcnt(2)
	;;#ASMSTART
	v_dot2_f32_f16 v31, v60, v68, v31
	;;#ASMEND
	;;#ASMSTART
	v_dot2_f32_f16 v31, v61, v69, v31
	;;#ASMEND
	;;#ASMSTART
	v_dot2_f32_f16 v31, v62, v70, v31
	;;#ASMEND
	;;#ASMSTART
	v_dot2_f32_f16 v31, v63, v71, v31
	;;#ASMEND
	;; [unrolled: 13-line block ×4, first 2 shown]
	;;#ASMSTART
	v_dot2_f32_f16 v37, v64, v56, v37
	;;#ASMEND
	;;#ASMSTART
	v_dot2_f32_f16 v37, v65, v57, v37
	;;#ASMEND
	;; [unrolled: 3-line block ×16, first 2 shown]
	ds_read_b128 v[56:59], v39 offset:160
	ds_read_b128 v[60:63], v38 offset:32
	;; [unrolled: 1-line block ×6, first 2 shown]
	s_waitcnt lgkmcnt(4)
	;;#ASMSTART
	v_dot2_f32_f16 v30, v60, v56, v30
	;;#ASMEND
	;;#ASMSTART
	v_dot2_f32_f16 v30, v61, v57, v30
	;;#ASMEND
	;;#ASMSTART
	v_dot2_f32_f16 v30, v62, v58, v30
	;;#ASMEND
	;;#ASMSTART
	v_dot2_f32_f16 v30, v63, v59, v30
	;;#ASMEND
	s_waitcnt lgkmcnt(2)
	;;#ASMSTART
	v_dot2_f32_f16 v31, v60, v68, v31
	;;#ASMEND
	;;#ASMSTART
	v_dot2_f32_f16 v31, v61, v69, v31
	;;#ASMEND
	;;#ASMSTART
	v_dot2_f32_f16 v31, v62, v70, v31
	;;#ASMEND
	;;#ASMSTART
	v_dot2_f32_f16 v31, v63, v71, v31
	;;#ASMEND
	;; [unrolled: 13-line block ×4, first 2 shown]
	;;#ASMSTART
	v_dot2_f32_f16 v37, v64, v56, v37
	;;#ASMEND
	;;#ASMSTART
	v_dot2_f32_f16 v37, v65, v57, v37
	;;#ASMEND
	;; [unrolled: 3-line block ×16, first 2 shown]
	ds_read_b128 v[56:59], v39 offset:176
	ds_read_b128 v[60:63], v38 offset:48
	;; [unrolled: 1-line block ×6, first 2 shown]
	s_waitcnt lgkmcnt(4)
	;;#ASMSTART
	v_dot2_f32_f16 v30, v60, v56, v30
	;;#ASMEND
	;;#ASMSTART
	v_dot2_f32_f16 v30, v61, v57, v30
	;;#ASMEND
	;;#ASMSTART
	v_dot2_f32_f16 v30, v62, v58, v30
	;;#ASMEND
	;;#ASMSTART
	v_dot2_f32_f16 v30, v63, v59, v30
	;;#ASMEND
	s_waitcnt lgkmcnt(2)
	;;#ASMSTART
	v_dot2_f32_f16 v31, v60, v68, v31
	;;#ASMEND
	;;#ASMSTART
	v_dot2_f32_f16 v31, v61, v69, v31
	;;#ASMEND
	;;#ASMSTART
	v_dot2_f32_f16 v31, v62, v70, v31
	;;#ASMEND
	;;#ASMSTART
	v_dot2_f32_f16 v31, v63, v71, v31
	;;#ASMEND
	;; [unrolled: 13-line block ×4, first 2 shown]
	;;#ASMSTART
	v_dot2_f32_f16 v37, v64, v56, v37
	;;#ASMEND
	;;#ASMSTART
	v_dot2_f32_f16 v37, v65, v57, v37
	;;#ASMEND
	;; [unrolled: 3-line block ×16, first 2 shown]
	ds_read_b128 v[56:59], v39 offset:192
	ds_read_b128 v[60:63], v38 offset:64
	;; [unrolled: 1-line block ×6, first 2 shown]
	s_waitcnt lgkmcnt(4)
	;;#ASMSTART
	v_dot2_f32_f16 v30, v60, v56, v30
	;;#ASMEND
	;;#ASMSTART
	v_dot2_f32_f16 v30, v61, v57, v30
	;;#ASMEND
	;;#ASMSTART
	v_dot2_f32_f16 v30, v62, v58, v30
	;;#ASMEND
	;;#ASMSTART
	v_dot2_f32_f16 v30, v63, v59, v30
	;;#ASMEND
	s_waitcnt lgkmcnt(2)
	;;#ASMSTART
	v_dot2_f32_f16 v31, v60, v68, v31
	;;#ASMEND
	;;#ASMSTART
	v_dot2_f32_f16 v31, v61, v69, v31
	;;#ASMEND
	;;#ASMSTART
	v_dot2_f32_f16 v31, v62, v70, v31
	;;#ASMEND
	;;#ASMSTART
	v_dot2_f32_f16 v31, v63, v71, v31
	;;#ASMEND
	;; [unrolled: 13-line block ×4, first 2 shown]
	;;#ASMSTART
	v_dot2_f32_f16 v37, v64, v56, v37
	;;#ASMEND
	;;#ASMSTART
	v_dot2_f32_f16 v37, v65, v57, v37
	;;#ASMEND
	;; [unrolled: 3-line block ×16, first 2 shown]
	ds_read_b128 v[56:59], v39 offset:208
	ds_read_b128 v[60:63], v38 offset:80
	;; [unrolled: 1-line block ×6, first 2 shown]
	s_waitcnt lgkmcnt(4)
	;;#ASMSTART
	v_dot2_f32_f16 v30, v60, v56, v30
	;;#ASMEND
	;;#ASMSTART
	v_dot2_f32_f16 v30, v61, v57, v30
	;;#ASMEND
	;;#ASMSTART
	v_dot2_f32_f16 v30, v62, v58, v30
	;;#ASMEND
	;;#ASMSTART
	v_dot2_f32_f16 v30, v63, v59, v30
	;;#ASMEND
	s_waitcnt lgkmcnt(2)
	;;#ASMSTART
	v_dot2_f32_f16 v31, v60, v68, v31
	;;#ASMEND
	;;#ASMSTART
	v_dot2_f32_f16 v31, v61, v69, v31
	;;#ASMEND
	;;#ASMSTART
	v_dot2_f32_f16 v31, v62, v70, v31
	;;#ASMEND
	;;#ASMSTART
	v_dot2_f32_f16 v31, v63, v71, v31
	;;#ASMEND
	;; [unrolled: 13-line block ×4, first 2 shown]
	;;#ASMSTART
	v_dot2_f32_f16 v37, v64, v56, v37
	;;#ASMEND
	;;#ASMSTART
	v_dot2_f32_f16 v37, v65, v57, v37
	;;#ASMEND
	;; [unrolled: 3-line block ×16, first 2 shown]
	ds_read_b128 v[56:59], v39 offset:224
	ds_read_b128 v[60:63], v38 offset:96
	;; [unrolled: 1-line block ×6, first 2 shown]
	s_waitcnt lgkmcnt(4)
	;;#ASMSTART
	v_dot2_f32_f16 v30, v60, v56, v30
	;;#ASMEND
	;;#ASMSTART
	v_dot2_f32_f16 v30, v61, v57, v30
	;;#ASMEND
	;;#ASMSTART
	v_dot2_f32_f16 v30, v62, v58, v30
	;;#ASMEND
	;;#ASMSTART
	v_dot2_f32_f16 v30, v63, v59, v30
	;;#ASMEND
	s_waitcnt lgkmcnt(2)
	;;#ASMSTART
	v_dot2_f32_f16 v31, v60, v68, v31
	;;#ASMEND
	;;#ASMSTART
	v_dot2_f32_f16 v31, v61, v69, v31
	;;#ASMEND
	;;#ASMSTART
	v_dot2_f32_f16 v31, v62, v70, v31
	;;#ASMEND
	;;#ASMSTART
	v_dot2_f32_f16 v31, v63, v71, v31
	;;#ASMEND
	;; [unrolled: 13-line block ×4, first 2 shown]
	;;#ASMSTART
	v_dot2_f32_f16 v37, v64, v56, v37
	;;#ASMEND
	;;#ASMSTART
	v_dot2_f32_f16 v37, v65, v57, v37
	;;#ASMEND
	;; [unrolled: 3-line block ×16, first 2 shown]
	ds_read_b128 v[56:59], v39 offset:240
	ds_read_b128 v[60:63], v38 offset:112
	;; [unrolled: 1-line block ×6, first 2 shown]
	s_waitcnt lgkmcnt(4)
	;;#ASMSTART
	v_dot2_f32_f16 v30, v60, v56, v30
	;;#ASMEND
	;;#ASMSTART
	v_dot2_f32_f16 v30, v61, v57, v30
	;;#ASMEND
	;;#ASMSTART
	v_dot2_f32_f16 v30, v62, v58, v30
	;;#ASMEND
	;;#ASMSTART
	v_dot2_f32_f16 v30, v63, v59, v30
	;;#ASMEND
	s_waitcnt lgkmcnt(2)
	;;#ASMSTART
	v_dot2_f32_f16 v31, v60, v68, v31
	;;#ASMEND
	;;#ASMSTART
	v_dot2_f32_f16 v31, v61, v69, v31
	;;#ASMEND
	;;#ASMSTART
	v_dot2_f32_f16 v31, v62, v70, v31
	;;#ASMEND
	;;#ASMSTART
	v_dot2_f32_f16 v31, v63, v71, v31
	;;#ASMEND
	;; [unrolled: 13-line block ×4, first 2 shown]
	;;#ASMSTART
	v_dot2_f32_f16 v37, v64, v56, v37
	;;#ASMEND
	;;#ASMSTART
	v_dot2_f32_f16 v37, v65, v57, v37
	;;#ASMEND
	;; [unrolled: 3-line block ×15, first 2 shown]
	v_cmp_nlt_f32_e64 s[10:11], |v30|, s24
	;;#ASMSTART
	v_dot2_f32_f16 v33, v67, v79, v33
	;;#ASMEND
                                        ; implicit-def: $vgpr28
	s_and_saveexec_b64 s[36:37], s[10:11]
	s_xor_b64 s[10:11], exec, s[36:37]
	s_cbranch_execz .LBB76_11
; %bb.10:                               ;   in Loop: Header=BB76_9 Depth=1
	v_add_f32_e64 v2, |v30|, |v30|
	v_mul_f32_e32 v3, 0x3fb8aa3b, v2
	v_rndne_f32_e32 v28, v3
	v_sub_f32_e32 v29, v3, v28
	v_fma_f32 v3, v2, s25, -v3
	v_fmac_f32_e32 v3, 0x32a5705f, v2
	v_add_f32_e32 v3, v29, v3
	v_cvt_i32_f32_e32 v28, v28
	v_exp_f32_e32 v3, v3
	v_cmp_ngt_f32_e32 vcc, s26, v2
	v_ldexp_f32 v3, v3, v28
	v_cndmask_b32_e32 v3, 0, v3, vcc
	v_cmp_nlt_f32_e32 vcc, s27, v2
	v_cndmask_b32_e32 v2, v49, v3, vcc
	v_add_f32_e32 v2, 1.0, v2
	v_rcp_f32_e32 v2, v2
	v_fma_f32 v28, v2, -2.0, 1.0
.LBB76_11:                              ;   in Loop: Header=BB76_9 Depth=1
	s_andn2_saveexec_b64 s[10:11], s[10:11]
; %bb.12:                               ;   in Loop: Header=BB76_9 Depth=1
	v_mul_f32_e32 v2, v30, v30
	v_mov_b32_e32 v3, 0x3ca908c9
	v_fmac_f32_e32 v3, 0xbbbac73d, v2
	v_fma_f32 v3, v2, v3, v45
	v_fma_f32 v3, v2, v3, v46
	;; [unrolled: 1-line block ×3, first 2 shown]
	v_mul_f32_e64 v3, |v30|, v3
	v_fma_f32 v28, v2, v3, |v30|
; %bb.13:                               ;   in Loop: Header=BB76_9 Depth=1
	s_or_b64 exec, exec, s[10:11]
	v_add_u32_e32 v2, s6, v10
	v_ashrrev_i32_e32 v3, 31, v2
	v_lshlrev_b64 v[2:3], 1, v[2:3]
	v_mov_b32_e32 v29, s35
	v_add_co_u32_e32 v2, vcc, s34, v2
	v_addc_co_u32_e32 v3, vcc, v29, v3, vcc
	flat_load_ushort v29, v[2:3]
	v_cmp_nlt_f32_e64 s[10:11], |v37|, s24
                                        ; implicit-def: $vgpr56
	s_and_saveexec_b64 s[36:37], s[10:11]
	s_xor_b64 s[10:11], exec, s[36:37]
	s_cbranch_execz .LBB76_15
; %bb.14:                               ;   in Loop: Header=BB76_9 Depth=1
	v_add_f32_e64 v55, |v37|, |v37|
	v_mul_f32_e32 v56, 0x3fb8aa3b, v55
	v_rndne_f32_e32 v57, v56
	v_sub_f32_e32 v58, v56, v57
	v_fma_f32 v56, v55, s25, -v56
	v_fmac_f32_e32 v56, 0x32a5705f, v55
	v_add_f32_e32 v56, v58, v56
	v_cvt_i32_f32_e32 v57, v57
	v_exp_f32_e32 v56, v56
	v_cmp_ngt_f32_e32 vcc, s26, v55
	v_ldexp_f32 v56, v56, v57
	v_cndmask_b32_e32 v56, 0, v56, vcc
	v_cmp_nlt_f32_e32 vcc, s27, v55
	v_cndmask_b32_e32 v55, v49, v56, vcc
	v_add_f32_e32 v55, 1.0, v55
	v_rcp_f32_e32 v55, v55
	v_fma_f32 v56, v55, -2.0, 1.0
.LBB76_15:                              ;   in Loop: Header=BB76_9 Depth=1
	s_andn2_saveexec_b64 s[10:11], s[10:11]
; %bb.16:                               ;   in Loop: Header=BB76_9 Depth=1
	v_mul_f32_e32 v55, v37, v37
	v_mov_b32_e32 v56, 0x3ca908c9
	v_fmac_f32_e32 v56, 0xbbbac73d, v55
	v_fma_f32 v56, v55, v56, v45
	v_fma_f32 v56, v55, v56, v46
	;; [unrolled: 1-line block ×3, first 2 shown]
	v_mul_f32_e64 v56, |v37|, v56
	v_fma_f32 v56, v55, v56, |v37|
; %bb.17:                               ;   in Loop: Header=BB76_9 Depth=1
	s_or_b64 exec, exec, s[10:11]
	flat_load_ushort v3, v[2:3] offset:64
	v_bfi_b32 v2, s29, v28, v30
	v_and_b32_e32 v28, 0x60, v11
	v_add_u32_e32 v55, 32, v28
	v_xor_b32_e32 v58, 16, v11
	v_cmp_lt_i32_e32 vcc, v58, v55
	v_cndmask_b32_e32 v28, v11, v58, vcc
	v_lshlrev_b32_e32 v66, 2, v28
	v_bfi_b32 v28, s29, v56, v37
	s_waitcnt vmcnt(0) lgkmcnt(0)
	v_fma_mix_f32 v30, v2, s0, v29 op_sel_hi:[0,0,1]
	v_add_f32_e32 v2, 0x40051340, v30
	v_xor_b32_e32 v59, 8, v11
	v_cmp_lt_i32_e32 vcc, v59, v55
	v_cndmask_b32_e32 v56, v11, v59, vcc
	v_lshlrev_b32_e32 v68, 2, v56
	v_xor_b32_e32 v60, 4, v11
	v_cmp_lt_i32_e32 vcc, v60, v55
	v_cndmask_b32_e32 v56, v11, v60, vcc
	v_lshlrev_b32_e32 v64, 2, v56
	;; [unrolled: 4-line block ×3, first 2 shown]
	v_xor_b32_e32 v56, 1, v11
	v_cmp_lt_i32_e32 vcc, v56, v55
	v_cmp_nlt_f32_e64 s[10:11], |v31|, s24
                                        ; implicit-def: $vgpr65
	v_fma_mix_f32 v28, v28, s0, v3 op_sel_hi:[0,0,1]
	v_add_f32_e32 v37, 0x40051340, v28
	v_max3_f32 v2, v26, v2, v37
	ds_bpermute_b32 v37, v66, v2
	s_waitcnt lgkmcnt(0)
	v_max_f32_e32 v37, v37, v37
	v_max_f32_e32 v2, v2, v37
	ds_bpermute_b32 v37, v68, v2
	s_waitcnt lgkmcnt(0)
	v_max_f32_e32 v37, v37, v37
	v_max_f32_e32 v2, v2, v37
	;; [unrolled: 4-line block ×3, first 2 shown]
	ds_bpermute_b32 v61, v63, v2
	v_cndmask_b32_e32 v37, v11, v56, vcc
	v_lshlrev_b32_e32 v37, 2, v37
	s_waitcnt lgkmcnt(0)
	v_max_f32_e32 v61, v61, v61
	v_max_f32_e32 v61, v2, v61
	ds_bpermute_b32 v62, v37, v61
	s_and_saveexec_b64 s[36:37], s[10:11]
	s_xor_b64 s[10:11], exec, s[36:37]
	s_cbranch_execz .LBB76_19
; %bb.18:                               ;   in Loop: Header=BB76_9 Depth=1
	v_add_f32_e64 v2, |v31|, |v31|
	v_mul_f32_e32 v65, 0x3fb8aa3b, v2
	v_rndne_f32_e32 v67, v65
	v_sub_f32_e32 v69, v65, v67
	v_fma_f32 v65, v2, s25, -v65
	v_fmac_f32_e32 v65, 0x32a5705f, v2
	v_add_f32_e32 v65, v69, v65
	v_cvt_i32_f32_e32 v67, v67
	v_exp_f32_e32 v65, v65
	v_cmp_ngt_f32_e32 vcc, s26, v2
	v_ldexp_f32 v65, v65, v67
	v_cndmask_b32_e32 v65, 0, v65, vcc
	v_cmp_nlt_f32_e32 vcc, s27, v2
	v_cndmask_b32_e32 v2, v49, v65, vcc
	v_add_f32_e32 v2, 1.0, v2
	v_rcp_f32_e32 v2, v2
	v_fma_f32 v65, v2, -2.0, 1.0
.LBB76_19:                              ;   in Loop: Header=BB76_9 Depth=1
	s_andn2_saveexec_b64 s[10:11], s[10:11]
; %bb.20:                               ;   in Loop: Header=BB76_9 Depth=1
	v_mul_f32_e32 v2, v31, v31
	v_mov_b32_e32 v65, 0x3ca908c9
	v_fmac_f32_e32 v65, 0xbbbac73d, v2
	v_fma_f32 v65, v2, v65, v45
	v_fma_f32 v65, v2, v65, v46
	;; [unrolled: 1-line block ×3, first 2 shown]
	v_mul_f32_e64 v65, |v31|, v65
	v_fma_f32 v65, v2, v65, |v31|
; %bb.21:                               ;   in Loop: Header=BB76_9 Depth=1
	s_or_b64 exec, exec, s[10:11]
	v_cmp_nlt_f32_e64 s[10:11], |v36|, s24
                                        ; implicit-def: $vgpr67
	s_and_saveexec_b64 s[36:37], s[10:11]
	s_xor_b64 s[10:11], exec, s[36:37]
	s_cbranch_execz .LBB76_23
; %bb.22:                               ;   in Loop: Header=BB76_9 Depth=1
	v_add_f32_e64 v2, |v36|, |v36|
	v_mul_f32_e32 v67, 0x3fb8aa3b, v2
	v_rndne_f32_e32 v69, v67
	v_sub_f32_e32 v70, v67, v69
	v_fma_f32 v67, v2, s25, -v67
	v_fmac_f32_e32 v67, 0x32a5705f, v2
	v_add_f32_e32 v67, v70, v67
	v_cvt_i32_f32_e32 v69, v69
	v_exp_f32_e32 v67, v67
	v_cmp_ngt_f32_e32 vcc, s26, v2
	v_ldexp_f32 v67, v67, v69
	v_cndmask_b32_e32 v67, 0, v67, vcc
	v_cmp_nlt_f32_e32 vcc, s27, v2
	v_cndmask_b32_e32 v2, v49, v67, vcc
	v_add_f32_e32 v2, 1.0, v2
	v_rcp_f32_e32 v2, v2
	v_fma_f32 v67, v2, -2.0, 1.0
.LBB76_23:                              ;   in Loop: Header=BB76_9 Depth=1
	s_andn2_saveexec_b64 s[10:11], s[10:11]
; %bb.24:                               ;   in Loop: Header=BB76_9 Depth=1
	v_mul_f32_e32 v2, v36, v36
	v_mov_b32_e32 v67, 0x3ca908c9
	v_fmac_f32_e32 v67, 0xbbbac73d, v2
	v_fma_f32 v67, v2, v67, v45
	v_fma_f32 v67, v2, v67, v46
	;; [unrolled: 1-line block ×3, first 2 shown]
	v_mul_f32_e64 v67, |v36|, v67
	v_fma_f32 v67, v2, v67, |v36|
; %bb.25:                               ;   in Loop: Header=BB76_9 Depth=1
	s_or_b64 exec, exec, s[10:11]
	v_cvt_f32_f16_e32 v2, v29
	v_cvt_f32_f16_e32 v3, v3
	v_bfi_b32 v29, s29, v65, v31
	v_bfi_b32 v36, s29, v67, v36
	v_fma_f32 v31, s0, v29, v2
	v_fma_f32 v29, s0, v36, v3
	v_add_f32_e32 v65, 0x40051340, v31
	v_add_f32_e32 v36, 0x40051340, v29
	v_max3_f32 v36, v27, v65, v36
	ds_bpermute_b32 v65, v66, v36
	v_cmp_nlt_f32_e64 s[10:11], |v34|, s24
	s_waitcnt lgkmcnt(0)
	v_max_f32_e32 v65, v65, v65
	v_max_f32_e32 v36, v36, v65
	ds_bpermute_b32 v65, v68, v36
	s_waitcnt lgkmcnt(0)
	v_max_f32_e32 v65, v65, v65
	v_max_f32_e32 v36, v36, v65
	ds_bpermute_b32 v65, v64, v36
	;; [unrolled: 4-line block ×4, first 2 shown]
                                        ; implicit-def: $vgpr36
	s_and_saveexec_b64 s[36:37], s[10:11]
	s_xor_b64 s[10:11], exec, s[36:37]
	s_cbranch_execz .LBB76_27
; %bb.26:                               ;   in Loop: Header=BB76_9 Depth=1
	v_add_f32_e64 v36, |v34|, |v34|
	v_mul_f32_e32 v69, 0x3fb8aa3b, v36
	v_rndne_f32_e32 v70, v69
	v_sub_f32_e32 v71, v69, v70
	v_fma_f32 v69, v36, s25, -v69
	v_fmac_f32_e32 v69, 0x32a5705f, v36
	v_add_f32_e32 v69, v71, v69
	v_cvt_i32_f32_e32 v70, v70
	v_exp_f32_e32 v69, v69
	v_cmp_ngt_f32_e32 vcc, s26, v36
	v_ldexp_f32 v69, v69, v70
	v_cndmask_b32_e32 v69, 0, v69, vcc
	v_cmp_nlt_f32_e32 vcc, s27, v36
	v_cndmask_b32_e32 v36, v49, v69, vcc
	v_add_f32_e32 v36, 1.0, v36
	v_rcp_f32_e32 v36, v36
	v_fma_f32 v36, v36, -2.0, 1.0
.LBB76_27:                              ;   in Loop: Header=BB76_9 Depth=1
	s_andn2_saveexec_b64 s[10:11], s[10:11]
; %bb.28:                               ;   in Loop: Header=BB76_9 Depth=1
	v_mul_f32_e32 v36, v34, v34
	v_mov_b32_e32 v69, 0x3ca908c9
	v_fmac_f32_e32 v69, 0xbbbac73d, v36
	v_fma_f32 v69, v36, v69, v45
	v_fma_f32 v69, v36, v69, v46
	v_fma_f32 v69, v36, v69, v47
	v_mul_f32_e64 v69, |v34|, v69
	v_fma_f32 v36, v36, v69, |v34|
; %bb.29:                               ;   in Loop: Header=BB76_9 Depth=1
	s_or_b64 exec, exec, s[10:11]
	v_cmp_nlt_f32_e64 s[10:11], |v35|, s24
                                        ; implicit-def: $vgpr69
	s_and_saveexec_b64 s[36:37], s[10:11]
	s_xor_b64 s[10:11], exec, s[36:37]
	s_cbranch_execz .LBB76_31
; %bb.30:                               ;   in Loop: Header=BB76_9 Depth=1
	v_add_f32_e64 v69, |v35|, |v35|
	v_mul_f32_e32 v70, 0x3fb8aa3b, v69
	v_rndne_f32_e32 v71, v70
	v_sub_f32_e32 v72, v70, v71
	v_fma_f32 v70, v69, s25, -v70
	v_fmac_f32_e32 v70, 0x32a5705f, v69
	v_add_f32_e32 v70, v72, v70
	v_cvt_i32_f32_e32 v71, v71
	v_exp_f32_e32 v70, v70
	v_cmp_ngt_f32_e32 vcc, s26, v69
	v_ldexp_f32 v70, v70, v71
	v_cndmask_b32_e32 v70, 0, v70, vcc
	v_cmp_nlt_f32_e32 vcc, s27, v69
	v_cndmask_b32_e32 v69, v49, v70, vcc
	v_add_f32_e32 v69, 1.0, v69
	v_rcp_f32_e32 v69, v69
	v_fma_f32 v69, v69, -2.0, 1.0
.LBB76_31:                              ;   in Loop: Header=BB76_9 Depth=1
	s_andn2_saveexec_b64 s[10:11], s[10:11]
; %bb.32:                               ;   in Loop: Header=BB76_9 Depth=1
	v_mul_f32_e32 v69, v35, v35
	v_mov_b32_e32 v70, 0x3ca908c9
	v_fmac_f32_e32 v70, 0xbbbac73d, v69
	v_fma_f32 v70, v69, v70, v45
	v_fma_f32 v70, v69, v70, v46
	;; [unrolled: 1-line block ×3, first 2 shown]
	v_mul_f32_e64 v70, |v35|, v70
	v_fma_f32 v69, v69, v70, |v35|
; %bb.33:                               ;   in Loop: Header=BB76_9 Depth=1
	s_or_b64 exec, exec, s[10:11]
	v_bfi_b32 v34, s29, v36, v34
	v_fma_f32 v36, s0, v34, v2
	v_bfi_b32 v34, s29, v69, v35
	v_fma_f32 v34, s0, v34, v3
	v_add_f32_e32 v70, 0x40051340, v36
	v_add_f32_e32 v35, 0x40051340, v34
	v_max3_f32 v35, v0, v70, v35
	ds_bpermute_b32 v69, v66, v35
	v_cmp_nlt_f32_e64 s[10:11], |v32|, s24
                                        ; implicit-def: $vgpr70
	s_waitcnt lgkmcnt(0)
	v_max_f32_e32 v69, v69, v69
	v_max_f32_e32 v35, v35, v69
	ds_bpermute_b32 v69, v68, v35
	s_waitcnt lgkmcnt(0)
	v_max_f32_e32 v69, v69, v69
	v_max_f32_e32 v35, v35, v69
	ds_bpermute_b32 v69, v64, v35
	;; [unrolled: 4-line block ×4, first 2 shown]
	s_and_saveexec_b64 s[36:37], s[10:11]
	s_xor_b64 s[10:11], exec, s[36:37]
	s_cbranch_execz .LBB76_35
; %bb.34:                               ;   in Loop: Header=BB76_9 Depth=1
	v_add_f32_e64 v70, |v32|, |v32|
	v_mul_f32_e32 v71, 0x3fb8aa3b, v70
	v_rndne_f32_e32 v72, v71
	v_sub_f32_e32 v73, v71, v72
	v_fma_f32 v71, v70, s25, -v71
	v_fmac_f32_e32 v71, 0x32a5705f, v70
	v_add_f32_e32 v71, v73, v71
	v_cvt_i32_f32_e32 v72, v72
	v_exp_f32_e32 v71, v71
	v_cmp_ngt_f32_e32 vcc, s26, v70
	v_ldexp_f32 v71, v71, v72
	v_cndmask_b32_e32 v71, 0, v71, vcc
	v_cmp_nlt_f32_e32 vcc, s27, v70
	v_cndmask_b32_e32 v70, v49, v71, vcc
	v_add_f32_e32 v70, 1.0, v70
	v_rcp_f32_e32 v70, v70
	v_fma_f32 v70, v70, -2.0, 1.0
.LBB76_35:                              ;   in Loop: Header=BB76_9 Depth=1
	s_andn2_saveexec_b64 s[10:11], s[10:11]
; %bb.36:                               ;   in Loop: Header=BB76_9 Depth=1
	v_mul_f32_e32 v70, v32, v32
	v_mov_b32_e32 v71, 0x3ca908c9
	v_fmac_f32_e32 v71, 0xbbbac73d, v70
	v_fma_f32 v71, v70, v71, v45
	v_fma_f32 v71, v70, v71, v46
	;; [unrolled: 1-line block ×3, first 2 shown]
	v_mul_f32_e64 v71, |v32|, v71
	v_fma_f32 v70, v70, v71, |v32|
; %bb.37:                               ;   in Loop: Header=BB76_9 Depth=1
	s_or_b64 exec, exec, s[10:11]
	v_cmp_nlt_f32_e64 s[10:11], |v33|, s24
                                        ; implicit-def: $vgpr71
	s_and_saveexec_b64 s[36:37], s[10:11]
	s_xor_b64 s[10:11], exec, s[36:37]
	s_cbranch_execz .LBB76_39
; %bb.38:                               ;   in Loop: Header=BB76_9 Depth=1
	v_add_f32_e64 v71, |v33|, |v33|
	v_mul_f32_e32 v72, 0x3fb8aa3b, v71
	v_rndne_f32_e32 v73, v72
	v_sub_f32_e32 v74, v72, v73
	v_fma_f32 v72, v71, s25, -v72
	v_fmac_f32_e32 v72, 0x32a5705f, v71
	v_add_f32_e32 v72, v74, v72
	v_cvt_i32_f32_e32 v73, v73
	v_exp_f32_e32 v72, v72
	v_cmp_ngt_f32_e32 vcc, s26, v71
	v_ldexp_f32 v72, v72, v73
	v_cndmask_b32_e32 v72, 0, v72, vcc
	v_cmp_nlt_f32_e32 vcc, s27, v71
	v_cndmask_b32_e32 v71, v49, v72, vcc
	v_add_f32_e32 v71, 1.0, v71
	v_rcp_f32_e32 v71, v71
	v_fma_f32 v71, v71, -2.0, 1.0
.LBB76_39:                              ;   in Loop: Header=BB76_9 Depth=1
	s_andn2_saveexec_b64 s[10:11], s[10:11]
; %bb.40:                               ;   in Loop: Header=BB76_9 Depth=1
	v_mul_f32_e32 v71, v33, v33
	v_mov_b32_e32 v72, 0x3ca908c9
	v_fmac_f32_e32 v72, 0xbbbac73d, v71
	v_fma_f32 v72, v71, v72, v45
	v_fma_f32 v72, v71, v72, v46
	;; [unrolled: 1-line block ×3, first 2 shown]
	v_mul_f32_e64 v72, |v33|, v72
	v_fma_f32 v71, v71, v72, |v33|
; %bb.41:                               ;   in Loop: Header=BB76_9 Depth=1
	s_or_b64 exec, exec, s[10:11]
	v_bfi_b32 v33, s29, v71, v33
	v_bfi_b32 v32, s29, v70, v32
	v_pk_fma_f32 v[70:71], v[32:33], s[0:1], v[2:3]
	v_add_f32_e32 v2, 0x40051340, v70
	v_add_f32_e32 v3, 0x40051340, v71
	v_max3_f32 v2, v1, v2, v3
	ds_bpermute_b32 v3, v66, v2
	v_max_f32_e32 v33, v35, v35
	v_max_f32_e32 v61, v61, v61
	s_mul_hi_i32 s11, s6, s14
	s_mul_i32 s10, s6, s14
	s_waitcnt lgkmcnt(0)
	v_max_f32_e32 v3, v3, v3
	v_max_f32_e32 v3, v2, v3
	ds_bpermute_b32 v32, v68, v3
	v_max_f32_e32 v2, v69, v69
	v_max_f32_e32 v2, v33, v2
	v_sub_f32_e32 v33, v36, v2
	v_mul_f32_e32 v35, 0x3fb8aa3b, v33
	s_waitcnt lgkmcnt(0)
	v_max_f32_e32 v32, v32, v32
	v_max_f32_e32 v3, v3, v32
	ds_bpermute_b32 v32, v64, v3
	v_fma_f32 v36, v33, s25, -v35
	v_rndne_f32_e32 v64, v35
	v_sub_f32_e32 v34, v34, v2
	v_fmac_f32_e32 v36, 0x32a5705f, v33
	s_waitcnt lgkmcnt(0)
	v_max_f32_e32 v32, v32, v32
	v_max_f32_e32 v3, v3, v32
	ds_bpermute_b32 v32, v63, v3
	v_sub_f32_e32 v35, v35, v64
	v_add_f32_e32 v35, v35, v36
	v_cvt_i32_f32_e32 v63, v64
	v_exp_f32_e32 v35, v35
	s_waitcnt lgkmcnt(0)
	v_max_f32_e32 v32, v32, v32
	v_max_f32_e32 v3, v3, v32
	ds_bpermute_b32 v32, v37, v3
	v_ldexp_f32 v35, v35, v63
	v_cmp_ngt_f32_e32 vcc, s26, v33
	v_cndmask_b32_e32 v35, 0, v35, vcc
	v_cmp_nlt_f32_e32 vcc, s27, v33
	s_waitcnt lgkmcnt(0)
	v_max_f32_e32 v32, v32, v32
	v_max_f32_e32 v3, v3, v32
	v_mul_f32_e32 v32, 0x3fb8aa3b, v34
	v_fma_f32 v36, v34, s25, -v32
	v_rndne_f32_e32 v37, v32
	v_fmac_f32_e32 v36, 0x32a5705f, v34
	v_sub_f32_e32 v32, v32, v37
	v_add_f32_e32 v32, v32, v36
	v_exp_f32_e32 v36, v32
	v_cvt_i32_f32_e32 v37, v37
	v_cndmask_b32_e32 v32, v49, v35, vcc
	v_cmp_ngt_f32_e32 vcc, s26, v34
	v_pk_add_f32 v[0:1], v[0:1], v[2:3] neg_lo:[0,1] neg_hi:[0,1]
	v_ldexp_f32 v33, v36, v37
	v_cndmask_b32_e32 v33, 0, v33, vcc
	v_cmp_nlt_f32_e32 vcc, s27, v34
	v_cndmask_b32_e32 v34, v49, v33, vcc
	v_mul_f32_e32 v33, 0x3fb8aa3b, v1
	v_fma_f32 v35, v1, s25, -v33
	v_rndne_f32_e32 v36, v33
	v_fmac_f32_e32 v35, 0x32a5705f, v1
	v_sub_f32_e32 v33, v33, v36
	v_add_f32_e32 v33, v33, v35
	v_cvt_i32_f32_e32 v35, v36
	v_mul_f32_e32 v36, 0x3fb8aa3b, v0
	v_fma_f32 v37, v0, s25, -v36
	v_rndne_f32_e32 v63, v36
	v_fmac_f32_e32 v37, 0x32a5705f, v0
	v_sub_f32_e32 v36, v36, v63
	v_exp_f32_e32 v33, v33
	v_add_f32_e32 v36, v36, v37
	v_exp_f32_e32 v36, v36
	v_cvt_i32_f32_e32 v37, v63
	v_ldexp_f32 v33, v33, v35
	v_cmp_ngt_f32_e32 vcc, s26, v1
	v_cndmask_b32_e32 v33, 0, v33, vcc
	v_ldexp_f32 v35, v36, v37
	v_cmp_ngt_f32_e32 vcc, s26, v0
	v_cndmask_b32_e32 v35, 0, v35, vcc
	v_cmp_nlt_f32_e32 vcc, s27, v0
	v_mov_b32_e32 v0, v3
	v_pk_add_f32 v[68:69], v[70:71], v[0:1] op_sel_hi:[1,0] neg_lo:[0,1] neg_hi:[0,1]
	v_mul_f32_e32 v0, 0x3fb8aa3b, v69
	v_cndmask_b32_e32 v36, v49, v35, vcc
	v_fma_f32 v35, v69, s25, -v0
	v_rndne_f32_e32 v37, v0
	v_fmac_f32_e32 v35, 0x32a5705f, v69
	v_sub_f32_e32 v0, v0, v37
	v_add_f32_e32 v0, v0, v35
	v_exp_f32_e32 v0, v0
	v_cvt_i32_f32_e32 v35, v37
	v_cmp_nlt_f32_e32 vcc, s27, v1
	v_mul_f32_e32 v1, 0x3fb8aa3b, v68
	v_cndmask_b32_e32 v37, v49, v33, vcc
	v_ldexp_f32 v0, v0, v35
	v_fma_f32 v33, v68, s25, -v1
	v_rndne_f32_e32 v35, v1
	v_fmac_f32_e32 v33, 0x32a5705f, v68
	v_sub_f32_e32 v1, v1, v35
	v_add_f32_e32 v1, v1, v33
	v_exp_f32_e32 v1, v1
	v_cvt_i32_f32_e32 v33, v35
	v_cmp_ngt_f32_e32 vcc, s26, v69
	v_cndmask_b32_e32 v0, 0, v0, vcc
	v_cmp_nlt_f32_e32 vcc, s27, v69
	v_cndmask_b32_e32 v35, v49, v0, vcc
	v_ldexp_f32 v0, v1, v33
	v_cmp_ngt_f32_e32 vcc, s26, v68
	v_cndmask_b32_e32 v0, 0, v0, vcc
	v_cmp_nlt_f32_e32 vcc, s27, v68
	v_cndmask_b32_e32 v33, v49, v0, vcc
	v_max_f32_e32 v0, v67, v67
	v_max_f32_e32 v1, v65, v65
	;; [unrolled: 1-line block ×5, first 2 shown]
	v_pk_add_f32 v[30:31], v[30:31], v[0:1] neg_lo:[0,1] neg_hi:[0,1]
	v_mul_f32_e32 v61, 0x3fb8aa3b, v31
	v_fma_f32 v62, v31, s25, -v61
	v_rndne_f32_e32 v64, v61
	v_fmac_f32_e32 v62, 0x32a5705f, v31
	v_sub_f32_e32 v61, v61, v64
	v_add_f32_e32 v61, v61, v62
	v_exp_f32_e32 v61, v61
	v_cvt_i32_f32_e32 v62, v64
	v_cvt_f16_f32_e32 v63, v37
	s_lshl_b64 s[10:11], s[10:11], 2
	s_add_u32 s10, s12, s10
	v_ldexp_f32 v61, v61, v62
	v_mul_f32_e32 v62, 0x3fb8aa3b, v30
	v_pk_mul_f16 v54, v63, v54 op_sel_hi:[0,1]
	v_pk_mul_f16 v52, v63, v52 op_sel_hi:[0,1]
	v_fma_f32 v63, v30, s25, -v62
	v_rndne_f32_e32 v64, v62
	v_fmac_f32_e32 v63, 0x32a5705f, v30
	v_sub_f32_e32 v62, v62, v64
	v_cmp_ngt_f32_e32 vcc, s26, v31
	v_add_f32_e32 v62, v62, v63
	s_addc_u32 s11, s13, s11
	v_cndmask_b32_e32 v61, 0, v61, vcc
	v_exp_f32_e32 v79, v62
	v_mov_b32_e32 v62, s11
	v_add_co_u32_e32 v63, vcc, s10, v16
	v_addc_co_u32_e32 v62, vcc, v62, v17, vcc
	v_add_co_u32_e32 v70, vcc, v63, v48
	v_addc_co_u32_e32 v71, vcc, 0, v62, vcc
	v_mov_b32_e32 v62, s11
	v_add_co_u32_e32 v63, vcc, s10, v18
	v_addc_co_u32_e32 v62, vcc, v62, v19, vcc
	v_add_co_u32_e32 v72, vcc, v63, v48
	s_barrier
	v_cvt_i32_f32_e32 v80, v64
	v_addc_co_u32_e32 v73, vcc, 0, v62, vcc
	global_load_dwordx4 v[62:65], v[70:71], off
	global_load_dwordx4 v[66:69], v[72:73], off
	v_pk_add_f32 v[28:29], v[28:29], v[0:1] neg_lo:[0,1] neg_hi:[0,1]
	v_mul_f32_e32 v70, 0x3fb8aa3b, v29
	v_fma_f32 v71, v29, s25, -v70
	v_rndne_f32_e32 v72, v70
	v_fmac_f32_e32 v71, 0x32a5705f, v29
	v_sub_f32_e32 v70, v70, v72
	v_add_f32_e32 v70, v70, v71
	v_exp_f32_e32 v70, v70
	v_cvt_i32_f32_e32 v71, v72
	v_cmp_nlt_f32_e32 vcc, s27, v31
	v_cndmask_b32_e32 v31, v49, v61, vcc
	v_ldexp_f32 v61, v79, v80
	v_ldexp_f32 v70, v70, v71
	v_mul_f32_e32 v71, 0x3fb8aa3b, v28
	v_fma_f32 v72, v28, s25, -v71
	v_rndne_f32_e32 v73, v71
	v_fmac_f32_e32 v72, 0x32a5705f, v28
	v_sub_f32_e32 v71, v71, v73
	v_add_f32_e32 v71, v71, v72
	v_cmp_ngt_f32_e32 vcc, s26, v30
	v_exp_f32_e32 v71, v71
	v_cvt_i32_f32_e32 v72, v73
	v_cndmask_b32_e32 v61, 0, v61, vcc
	v_cmp_nlt_f32_e32 vcc, s27, v30
	v_cndmask_b32_e32 v30, v49, v61, vcc
	v_cmp_ngt_f32_e32 vcc, s26, v29
	v_cndmask_b32_e32 v70, 0, v70, vcc
	v_cmp_nlt_f32_e32 vcc, s27, v29
	v_cndmask_b32_e32 v29, v49, v70, vcc
	v_ldexp_f32 v70, v71, v72
	v_cmp_ngt_f32_e32 vcc, s26, v28
	v_cndmask_b32_e32 v70, 0, v70, vcc
	v_cmp_nlt_f32_e32 vcc, s27, v28
	v_pk_add_f32 v[26:27], v[26:27], v[0:1] neg_lo:[0,1] neg_hi:[0,1]
	v_cndmask_b32_e32 v28, v49, v70, vcc
	v_mul_f32_e32 v70, 0x3fb8aa3b, v27
	v_fma_f32 v71, v27, s25, -v70
	v_rndne_f32_e32 v72, v70
	v_fmac_f32_e32 v71, 0x32a5705f, v27
	v_sub_f32_e32 v70, v70, v72
	v_add_f32_e32 v70, v70, v71
	v_cvt_i32_f32_e32 v71, v72
	v_mul_f32_e32 v72, 0x3fb8aa3b, v26
	v_fma_f32 v73, v26, s25, -v72
	v_rndne_f32_e32 v80, v72
	v_fmac_f32_e32 v73, 0x32a5705f, v26
	v_sub_f32_e32 v72, v72, v80
	v_exp_f32_e32 v70, v70
	v_add_f32_e32 v72, v72, v73
	v_exp_f32_e32 v72, v72
	v_cvt_i32_f32_e32 v73, v80
	v_cvt_f16_f32_e32 v74, v32
	v_cvt_f16_f32_e32 v75, v34
	;; [unrolled: 1-line block ×6, first 2 shown]
	v_ldexp_f32 v70, v70, v71
	v_cmp_ngt_f32_e32 vcc, s26, v27
	v_cvt_f16_f32_e32 v82, v28
	v_cvt_f16_f32_e32 v83, v29
	v_cndmask_b32_e32 v71, 0, v70, vcc
	v_ldexp_f32 v70, v72, v73
	v_cmp_ngt_f32_e32 vcc, s26, v26
	v_cndmask_b32_e32 v70, 0, v70, vcc
	v_cmp_nlt_f32_e32 vcc, s27, v26
	v_cndmask_b32_e32 v70, v49, v70, vcc
	v_cmp_nlt_f32_e32 vcc, s27, v27
	v_pk_add_f32 v[26:27], v[32:33], v[34:35]
	v_pk_add_f32 v[72:73], v[30:31], v[28:29]
	v_pk_fma_f32 v[6:7], v[6:7], v[36:37], v[26:27]
	v_add_u32_e32 v30, v40, v41
	v_pack_b32_f16 v27, v74, v77
	v_pack_b32_f16 v26, v79, v61
	;; [unrolled: 1-line block ×4, first 2 shown]
	ds_write2_b64 v30, v[26:27], v[28:29] offset1:32
	s_waitcnt vmcnt(1)
	ds_write_b128 v42, v[62:65]
	s_waitcnt vmcnt(0)
	ds_write_b128 v43, v[66:69]
	s_waitcnt lgkmcnt(0)
	s_barrier
	ds_read2_b64 v[26:29], v41 offset1:32
	ds_read_b128 v[30:33], v40
	v_cvt_f16_f32_e32 v80, v70
	v_cndmask_b32_e32 v71, v49, v71, vcc
	v_cvt_f16_f32_e32 v81, v71
	v_cvt_f16_f32_e32 v76, v36
	s_waitcnt lgkmcnt(0)
	v_pk_mul_f16 v61, v26, v30 op_sel_hi:[1,0]
	v_pk_fma_f16 v53, v80, v53, v61 op_sel_hi:[0,1,1]
	v_pk_mul_f16 v61, v26, v30 op_sel:[0,1]
	v_pk_fma_f16 v51, v81, v51, v61 op_sel_hi:[0,1,1]
	v_pk_mul_f16 v61, v26, v31 op_sel_hi:[1,0]
	v_pk_mul_f16 v24, v76, v24 op_sel_hi:[0,1]
	;; [unrolled: 1-line block ×4, first 2 shown]
	v_pk_fma_f16 v50, v76, v50, v61 op_sel_hi:[0,1,1]
	ds_read_b128 v[34:37], v40 offset:16
	ds_read_b128 v[62:65], v40 offset:32
	;; [unrolled: 1-line block ×3, first 2 shown]
	v_pk_fma_f16 v26, v26, v31, v54 op_sel:[0,1,0]
	v_pk_fma_f16 v22, v27, v30, v22 op_sel_hi:[1,0,1]
	v_pk_fma_f16 v20, v27, v30, v20 op_sel:[0,1,0]
	v_pk_fma_f16 v24, v27, v31, v24 op_sel_hi:[1,0,1]
	;; [unrolled: 2-line block ×4, first 2 shown]
	ds_read2_b64 v[50:53], v41 offset0:64 offset1:96
	v_pk_fma_f16 v26, v28, v33, v26 op_sel:[0,1,0]
	v_pk_fma_f16 v22, v29, v32, v22 op_sel_hi:[1,0,1]
	v_pk_fma_f16 v20, v29, v32, v20 op_sel:[0,1,0]
	v_pk_fma_f16 v24, v29, v33, v24 op_sel_hi:[1,0,1]
	v_pk_fma_f16 v27, v29, v33, v27 op_sel:[0,1,0]
	s_waitcnt lgkmcnt(0)
	v_pk_fma_f16 v28, v50, v34, v30 op_sel_hi:[1,0,1]
	v_pk_fma_f16 v29, v50, v34, v31 op_sel:[0,1,0]
	v_pk_fma_f16 v26, v50, v35, v26 op_sel:[0,1,0]
	v_pk_fma_f16 v22, v51, v34, v22 op_sel_hi:[1,0,1]
	v_pk_fma_f16 v20, v51, v34, v20 op_sel:[0,1,0]
	v_pk_fma_f16 v31, v51, v35, v27 op_sel:[0,1,0]
	;; [unrolled: 3-line block ×3, first 2 shown]
	ds_read2_b64 v[26:29], v41 offset0:128 offset1:160
	v_pk_fma_f16 v30, v50, v35, v54 op_sel_hi:[1,0,1]
	v_pk_fma_f16 v24, v51, v35, v24 op_sel_hi:[1,0,1]
	;; [unrolled: 1-line block ×4, first 2 shown]
	v_pk_fma_f16 v20, v53, v36, v20 op_sel:[0,1,0]
	v_pk_fma_f16 v24, v53, v37, v24 op_sel_hi:[1,0,1]
	v_pk_fma_f16 v31, v53, v37, v31 op_sel:[0,1,0]
	s_waitcnt lgkmcnt(0)
	v_pk_fma_f16 v32, v26, v62, v32 op_sel_hi:[1,0,1]
	v_pk_fma_f16 v33, v26, v62, v33 op_sel:[0,1,0]
	v_pk_fma_f16 v30, v26, v63, v30 op_sel_hi:[1,0,1]
	v_pk_fma_f16 v26, v26, v63, v34 op_sel:[0,1,0]
	;; [unrolled: 2-line block ×5, first 2 shown]
	v_pk_fma_f16 v36, v28, v65, v30 op_sel_hi:[1,0,1]
	ds_read2_b64 v[30:33], v41 offset0:192 offset1:224
	v_pk_fma_f16 v26, v28, v65, v26 op_sel:[0,1,0]
	v_pk_fma_f16 v20, v29, v64, v20 op_sel:[0,1,0]
	v_pk_fma_f16 v22, v29, v64, v22 op_sel_hi:[1,0,1]
	v_pk_fma_f16 v24, v29, v65, v24 op_sel_hi:[1,0,1]
	v_pk_fma_f16 v27, v29, v65, v27 op_sel:[0,1,0]
	s_waitcnt lgkmcnt(0)
	v_pk_fma_f16 v28, v30, v66, v34 op_sel_hi:[1,0,1]
	v_pk_fma_f16 v29, v30, v66, v35 op_sel:[0,1,0]
	v_pk_fma_f16 v34, v30, v67, v36 op_sel_hi:[1,0,1]
	v_pk_fma_f16 v26, v30, v67, v26 op_sel:[0,1,0]
	v_pk_fma_f16 v30, v31, v66, v20 op_sel:[0,1,0]
	v_add_u32_e32 v20, 0x800, v41
	v_pk_fma_f16 v22, v31, v66, v22 op_sel_hi:[1,0,1]
	v_pk_fma_f16 v24, v31, v67, v24 op_sel_hi:[1,0,1]
	v_pk_fma_f16 v31, v31, v67, v27 op_sel:[0,1,0]
	v_pk_fma_f16 v50, v32, v68, v28 op_sel_hi:[1,0,1]
	v_pk_fma_f16 v51, v32, v68, v29 op_sel:[0,1,0]
	;; [unrolled: 2-line block ×3, first 2 shown]
	ds_read2_b64 v[26:29], v20 offset1:32
	ds_read_b128 v[34:37], v40 offset:64
	v_pk_fma_f16 v22, v33, v68, v22 op_sel_hi:[1,0,1]
	v_pk_fma_f16 v54, v33, v68, v30 op_sel:[0,1,0]
	v_pk_fma_f16 v24, v33, v69, v24 op_sel_hi:[1,0,1]
	v_pk_fma_f16 v61, v33, v69, v31 op_sel:[0,1,0]
	s_waitcnt lgkmcnt(0)
	v_pk_fma_f16 v50, v26, v34, v50 op_sel_hi:[1,0,1]
	v_pk_fma_f16 v51, v26, v34, v51 op_sel:[0,1,0]
	v_pk_fma_f16 v52, v26, v35, v52 op_sel_hi:[1,0,1]
	ds_read_b128 v[30:33], v40 offset:80
	v_pk_fma_f16 v26, v26, v35, v53 op_sel:[0,1,0]
	v_pk_fma_f16 v22, v27, v34, v22 op_sel_hi:[1,0,1]
	v_pk_fma_f16 v34, v27, v34, v54 op_sel:[0,1,0]
	v_pk_fma_f16 v24, v27, v35, v24 op_sel_hi:[1,0,1]
	;; [unrolled: 2-line block ×4, first 2 shown]
	ds_read2_b64 v[50:53], v20 offset0:64 offset1:96
	v_pk_fma_f16 v26, v28, v37, v26 op_sel:[0,1,0]
	v_pk_fma_f16 v22, v29, v36, v22 op_sel_hi:[1,0,1]
	v_pk_fma_f16 v28, v29, v36, v34 op_sel:[0,1,0]
	v_pk_fma_f16 v24, v29, v37, v24 op_sel_hi:[1,0,1]
	v_pk_fma_f16 v27, v29, v37, v27 op_sel:[0,1,0]
	s_waitcnt lgkmcnt(0)
	v_pk_fma_f16 v29, v50, v30, v35 op_sel_hi:[1,0,1]
	v_pk_fma_f16 v34, v50, v30, v54 op_sel:[0,1,0]
	v_pk_fma_f16 v35, v50, v31, v61 op_sel_hi:[1,0,1]
	v_pk_fma_f16 v26, v50, v31, v26 op_sel:[0,1,0]
	;; [unrolled: 2-line block ×6, first 2 shown]
	ds_read2_b64 v[26:29], v20 offset0:128 offset1:160
	ds_read_b128 v[34:37], v40 offset:96
	v_pk_fma_f16 v22, v53, v32, v22 op_sel_hi:[1,0,1]
	v_pk_fma_f16 v61, v53, v32, v30 op_sel:[0,1,0]
	v_pk_fma_f16 v24, v53, v33, v24 op_sel_hi:[1,0,1]
	v_pk_fma_f16 v53, v53, v33, v31 op_sel:[0,1,0]
	s_waitcnt lgkmcnt(0)
	v_pk_fma_f16 v50, v26, v34, v50 op_sel_hi:[1,0,1]
	v_pk_fma_f16 v51, v26, v34, v51 op_sel:[0,1,0]
	ds_read_b128 v[30:33], v40 offset:112
	v_pk_fma_f16 v54, v26, v35, v54 op_sel_hi:[1,0,1]
	v_pk_fma_f16 v26, v26, v35, v52 op_sel:[0,1,0]
	v_pk_fma_f16 v22, v27, v34, v22 op_sel_hi:[1,0,1]
	v_pk_fma_f16 v34, v27, v34, v61 op_sel:[0,1,0]
	;; [unrolled: 2-line block ×4, first 2 shown]
	ds_read2_b64 v[50:53], v20 offset0:192 offset1:224
	v_pk_fma_f16 v22, v29, v36, v22 op_sel_hi:[1,0,1]
	v_pk_fma_f16 v54, v28, v37, v54 op_sel_hi:[1,0,1]
	v_pk_fma_f16 v26, v28, v37, v26 op_sel:[0,1,0]
	v_pk_fma_f16 v28, v29, v36, v34 op_sel:[0,1,0]
	s_waitcnt lgkmcnt(0)
	v_pk_fma_f16 v22, v51, v30, v22 op_sel_hi:[1,0,1]
	v_pk_fma_f16 v24, v29, v37, v24 op_sel_hi:[1,0,1]
	v_pk_fma_f16 v27, v29, v37, v27 op_sel:[0,1,0]
	v_pk_fma_f16 v29, v50, v30, v35 op_sel_hi:[1,0,1]
	v_pk_fma_f16 v34, v50, v30, v61 op_sel:[0,1,0]
	;; [unrolled: 2-line block ×3, first 2 shown]
	v_pk_fma_f16 v61, v53, v32, v22 op_sel_hi:[1,0,1]
	v_add_u32_e32 v22, 0x1000, v41
	v_pk_fma_f16 v30, v51, v30, v28 op_sel:[0,1,0]
	v_pk_fma_f16 v24, v51, v31, v24 op_sel_hi:[1,0,1]
	v_pk_fma_f16 v31, v51, v31, v27 op_sel:[0,1,0]
	v_pk_fma_f16 v50, v52, v32, v29 op_sel_hi:[1,0,1]
	;; [unrolled: 2-line block ×3, first 2 shown]
	v_pk_fma_f16 v52, v52, v33, v26 op_sel:[0,1,0]
	ds_read2_b64 v[26:29], v22 offset1:32
	ds_read_b128 v[34:37], v40 offset:128
	v_pk_fma_f16 v62, v53, v32, v30 op_sel:[0,1,0]
	v_pk_fma_f16 v24, v53, v33, v24 op_sel_hi:[1,0,1]
	v_pk_fma_f16 v53, v53, v33, v31 op_sel:[0,1,0]
	ds_read_b128 v[30:33], v40 offset:144
	s_waitcnt lgkmcnt(1)
	v_pk_fma_f16 v50, v26, v34, v50 op_sel_hi:[1,0,1]
	v_pk_fma_f16 v51, v26, v34, v51 op_sel:[0,1,0]
	v_pk_fma_f16 v54, v26, v35, v54 op_sel_hi:[1,0,1]
	v_pk_fma_f16 v26, v26, v35, v52 op_sel:[0,1,0]
	v_pk_fma_f16 v61, v27, v34, v61 op_sel_hi:[1,0,1]
	v_pk_fma_f16 v34, v27, v34, v62 op_sel:[0,1,0]
	v_pk_fma_f16 v24, v27, v35, v24 op_sel_hi:[1,0,1]
	v_pk_fma_f16 v27, v27, v35, v53 op_sel:[0,1,0]
	v_pk_fma_f16 v35, v28, v36, v50 op_sel_hi:[1,0,1]
	v_pk_fma_f16 v62, v28, v36, v51 op_sel:[0,1,0]
	ds_read2_b64 v[50:53], v22 offset0:64 offset1:96
	v_pk_fma_f16 v54, v28, v37, v54 op_sel_hi:[1,0,1]
	v_pk_fma_f16 v26, v28, v37, v26 op_sel:[0,1,0]
	v_pk_fma_f16 v28, v29, v36, v61 op_sel_hi:[1,0,1]
	v_pk_fma_f16 v34, v29, v36, v34 op_sel:[0,1,0]
	v_pk_fma_f16 v24, v29, v37, v24 op_sel_hi:[1,0,1]
	v_pk_fma_f16 v27, v29, v37, v27 op_sel:[0,1,0]
	s_waitcnt lgkmcnt(0)
	v_pk_fma_f16 v29, v50, v30, v35 op_sel_hi:[1,0,1]
	v_pk_fma_f16 v35, v50, v30, v62 op_sel:[0,1,0]
	v_pk_fma_f16 v36, v50, v31, v54 op_sel_hi:[1,0,1]
	v_pk_fma_f16 v26, v50, v31, v26 op_sel:[0,1,0]
	v_pk_fma_f16 v28, v51, v30, v28 op_sel_hi:[1,0,1]
	s_or_b32 s10, s6, 32
	v_pk_fma_f16 v30, v51, v30, v34 op_sel:[0,1,0]
	v_pk_fma_f16 v24, v51, v31, v24 op_sel_hi:[1,0,1]
	v_pk_fma_f16 v31, v51, v31, v27 op_sel:[0,1,0]
	v_pk_fma_f16 v50, v52, v32, v29 op_sel_hi:[1,0,1]
	;; [unrolled: 2-line block ×4, first 2 shown]
	ds_read2_b64 v[26:29], v22 offset0:128 offset1:160
	ds_read_b128 v[34:37], v40 offset:160
	s_mul_hi_i32 s11, s10, s14
	s_mul_i32 s10, s10, s14
	s_lshl_b64 s[10:11], s[10:11], 2
	s_add_u32 s10, s12, s10
	s_addc_u32 s11, s13, s11
	v_mov_b32_e32 v86, s11
	v_add_co_u32_e32 v87, vcc, s10, v16
	v_pk_fma_f16 v62, v53, v32, v30 op_sel:[0,1,0]
	v_pk_fma_f16 v24, v53, v33, v24 op_sel_hi:[1,0,1]
	v_pk_fma_f16 v53, v53, v33, v31 op_sel:[0,1,0]
	s_waitcnt lgkmcnt(0)
	v_pk_fma_f16 v50, v26, v34, v50 op_sel_hi:[1,0,1]
	v_pk_fma_f16 v51, v26, v34, v51 op_sel:[0,1,0]
	v_addc_co_u32_e32 v86, vcc, v86, v17, vcc
	ds_read_b128 v[30:33], v40 offset:176
	v_pk_fma_f16 v54, v26, v35, v54 op_sel_hi:[1,0,1]
	v_pk_fma_f16 v26, v26, v35, v52 op_sel:[0,1,0]
	v_pk_fma_f16 v61, v27, v34, v61 op_sel_hi:[1,0,1]
	v_pk_fma_f16 v34, v27, v34, v62 op_sel:[0,1,0]
	;; [unrolled: 2-line block ×4, first 2 shown]
	ds_read2_b64 v[50:53], v22 offset0:192 offset1:224
	v_add_co_u32_e32 v94, vcc, v87, v48
	v_addc_co_u32_e32 v95, vcc, 0, v86, vcc
	v_mov_b32_e32 v86, s11
	v_add_co_u32_e32 v87, vcc, s10, v18
	v_addc_co_u32_e32 v86, vcc, v86, v19, vcc
	v_pk_fma_f16 v101, v29, v37, v24 op_sel_hi:[1,0,1]
	v_add_u32_e32 v24, 0x1800, v41
	v_add_co_u32_e32 v96, vcc, v87, v48
	v_pk_fma_f32 v[8:9], v[8:9], v[70:71], v[72:73]
	v_pk_fma_f16 v54, v28, v37, v54 op_sel_hi:[1,0,1]
	v_pk_fma_f16 v99, v28, v37, v26 op_sel:[0,1,0]
	v_pk_fma_f16 v61, v29, v36, v61 op_sel_hi:[1,0,1]
	v_pk_fma_f16 v100, v29, v36, v34 op_sel:[0,1,0]
	v_pk_fma_f16 v102, v29, v37, v27 op_sel:[0,1,0]
	s_waitcnt lgkmcnt(0)
	v_pk_fma_f16 v103, v50, v30, v35 op_sel_hi:[1,0,1]
	ds_read2_b64 v[26:29], v24 offset1:32
	ds_read2_b64 v[34:37], v24 offset0:64 offset1:96
	ds_read_b128 v[62:65], v40 offset:192
	ds_read_b128 v[66:69], v40 offset:208
	ds_read2_b64 v[70:73], v24 offset0:128 offset1:160
	ds_read2_b64 v[74:77], v24 offset0:192 offset1:224
	ds_read_b128 v[78:81], v40 offset:224
	ds_read_b128 v[82:85], v40 offset:240
	s_waitcnt lgkmcnt(0)
	s_barrier
	v_addc_co_u32_e32 v97, vcc, 0, v86, vcc
	global_load_dwordx4 v[86:89], v[94:95], off
	global_load_dwordx4 v[90:93], v[96:97], off
	v_pk_fma_f16 v94, v50, v30, v98 op_sel:[0,1,0]
	v_pk_fma_f16 v54, v50, v31, v54 op_sel_hi:[1,0,1]
	v_pk_fma_f16 v50, v50, v31, v99 op_sel:[0,1,0]
	v_pk_fma_f16 v61, v51, v30, v61 op_sel_hi:[1,0,1]
	;; [unrolled: 2-line block ×39, first 2 shown]
	s_waitcnt vmcnt(1)
	ds_write_b128 v42, v[86:89]
	s_waitcnt vmcnt(0)
	ds_write_b128 v43, v[90:93]
	s_waitcnt lgkmcnt(0)
	s_barrier
	ds_read2_b64 v[26:29], v41 offset1:32
	ds_read_b128 v[30:33], v40 offset:256
	v_pk_fma_f16 v71, v77, v85, v34 op_sel:[0,1,0]
	ds_read_b128 v[34:37], v40 offset:272
	ds_read_b128 v[50:53], v40 offset:288
	;; [unrolled: 1-line block ×3, first 2 shown]
	s_waitcnt lgkmcnt(3)
	v_pk_fma_f16 v54, v26, v30, v54 op_sel_hi:[1,0,1]
	v_pk_fma_f16 v61, v26, v30, v61 op_sel:[0,1,0]
	v_pk_fma_f16 v66, v26, v31, v66 op_sel_hi:[1,0,1]
	v_pk_fma_f16 v26, v26, v31, v67 op_sel:[0,1,0]
	;; [unrolled: 2-line block ×5, first 2 shown]
	v_pk_fma_f16 v61, v28, v33, v66 op_sel_hi:[1,0,1]
	ds_read2_b64 v[66:69], v41 offset0:64 offset1:96
	v_pk_fma_f16 v26, v28, v33, v26 op_sel:[0,1,0]
	v_pk_fma_f16 v28, v29, v32, v72 op_sel_hi:[1,0,1]
	v_pk_fma_f16 v30, v29, v32, v30 op_sel:[0,1,0]
	v_pk_fma_f16 v32, v29, v33, v70 op_sel_hi:[1,0,1]
	v_pk_fma_f16 v27, v29, v33, v27 op_sel:[0,1,0]
	s_waitcnt lgkmcnt(0)
	v_pk_fma_f16 v29, v66, v34, v31 op_sel_hi:[1,0,1]
	v_pk_fma_f16 v26, v66, v35, v26 op_sel:[0,1,0]
	v_pk_fma_f16 v31, v66, v34, v54 op_sel:[0,1,0]
	v_pk_fma_f16 v33, v66, v35, v61 op_sel_hi:[1,0,1]
	v_pk_fma_f16 v54, v67, v34, v28 op_sel_hi:[1,0,1]
	v_pk_fma_f16 v30, v67, v34, v30 op_sel:[0,1,0]
	v_pk_fma_f16 v32, v67, v35, v32 op_sel_hi:[1,0,1]
	v_pk_fma_f16 v34, v67, v35, v27 op_sel:[0,1,0]
	;; [unrolled: 2-line block ×3, first 2 shown]
	ds_read2_b64 v[26:29], v41 offset0:128 offset1:160
	v_pk_fma_f16 v31, v68, v36, v31 op_sel:[0,1,0]
	v_pk_fma_f16 v33, v68, v37, v33 op_sel_hi:[1,0,1]
	v_pk_fma_f16 v54, v69, v36, v54 op_sel_hi:[1,0,1]
	v_pk_fma_f16 v30, v69, v36, v30 op_sel:[0,1,0]
	v_pk_fma_f16 v32, v69, v37, v32 op_sel_hi:[1,0,1]
	v_pk_fma_f16 v34, v69, v37, v34 op_sel:[0,1,0]
	s_waitcnt lgkmcnt(0)
	v_pk_fma_f16 v35, v26, v50, v35 op_sel_hi:[1,0,1]
	v_pk_fma_f16 v31, v26, v50, v31 op_sel:[0,1,0]
	v_pk_fma_f16 v33, v26, v51, v33 op_sel_hi:[1,0,1]
	v_pk_fma_f16 v26, v26, v51, v61 op_sel:[0,1,0]
	;; [unrolled: 2-line block ×5, first 2 shown]
	v_pk_fma_f16 v51, v28, v53, v33 op_sel_hi:[1,0,1]
	ds_read2_b64 v[30:33], v41 offset0:192 offset1:224
	v_pk_fma_f16 v26, v28, v53, v26 op_sel:[0,1,0]
	v_pk_fma_f16 v28, v29, v52, v36 op_sel_hi:[1,0,1]
	v_pk_fma_f16 v36, v29, v52, v37 op_sel:[0,1,0]
	v_pk_fma_f16 v37, v29, v53, v50 op_sel_hi:[1,0,1]
	v_pk_fma_f16 v27, v29, v53, v27 op_sel:[0,1,0]
	s_waitcnt lgkmcnt(0)
	v_pk_fma_f16 v29, v30, v62, v34 op_sel_hi:[1,0,1]
	v_pk_fma_f16 v34, v30, v62, v35 op_sel:[0,1,0]
	v_pk_fma_f16 v35, v30, v63, v51 op_sel_hi:[1,0,1]
	v_pk_fma_f16 v26, v30, v63, v26 op_sel:[0,1,0]
	;; [unrolled: 2-line block ×6, first 2 shown]
	v_pk_fma_f16 v61, v33, v64, v28 op_sel_hi:[1,0,1]
	ds_read2_b64 v[26:29], v20 offset1:32
	ds_read_b128 v[34:37], v40 offset:320
	v_pk_fma_f16 v62, v33, v64, v30 op_sel:[0,1,0]
	v_pk_fma_f16 v50, v33, v65, v50 op_sel_hi:[1,0,1]
	v_pk_fma_f16 v63, v33, v65, v31 op_sel:[0,1,0]
	ds_read_b128 v[30:33], v40 offset:336
	s_waitcnt lgkmcnt(1)
	v_pk_fma_f16 v51, v26, v34, v51 op_sel_hi:[1,0,1]
	v_pk_fma_f16 v52, v26, v34, v52 op_sel:[0,1,0]
	v_pk_fma_f16 v53, v26, v35, v53 op_sel_hi:[1,0,1]
	v_pk_fma_f16 v26, v26, v35, v54 op_sel:[0,1,0]
	;; [unrolled: 2-line block ×5, first 2 shown]
	v_pk_fma_f16 v63, v28, v37, v53 op_sel_hi:[1,0,1]
	ds_read2_b64 v[50:53], v20 offset0:64 offset1:96
	v_pk_fma_f16 v26, v28, v37, v26 op_sel:[0,1,0]
	v_pk_fma_f16 v28, v29, v36, v54 op_sel_hi:[1,0,1]
	v_pk_fma_f16 v34, v29, v36, v34 op_sel:[0,1,0]
	v_pk_fma_f16 v36, v29, v37, v61 op_sel_hi:[1,0,1]
	v_pk_fma_f16 v27, v29, v37, v27 op_sel:[0,1,0]
	s_waitcnt lgkmcnt(0)
	v_pk_fma_f16 v29, v50, v30, v35 op_sel_hi:[1,0,1]
	v_pk_fma_f16 v35, v50, v30, v62 op_sel:[0,1,0]
	v_pk_fma_f16 v37, v50, v31, v63 op_sel_hi:[1,0,1]
	v_pk_fma_f16 v26, v50, v31, v26 op_sel:[0,1,0]
	;; [unrolled: 2-line block ×6, first 2 shown]
	v_pk_fma_f16 v62, v53, v32, v28 op_sel_hi:[1,0,1]
	ds_read2_b64 v[26:29], v20 offset0:128 offset1:160
	ds_read_b128 v[34:37], v40 offset:352
	v_pk_fma_f16 v63, v53, v32, v30 op_sel:[0,1,0]
	v_pk_fma_f16 v50, v53, v33, v50 op_sel_hi:[1,0,1]
	v_pk_fma_f16 v53, v53, v33, v31 op_sel:[0,1,0]
	ds_read_b128 v[30:33], v40 offset:368
	s_waitcnt lgkmcnt(1)
	v_pk_fma_f16 v51, v26, v34, v51 op_sel_hi:[1,0,1]
	v_pk_fma_f16 v54, v26, v34, v54 op_sel:[0,1,0]
	v_pk_fma_f16 v61, v26, v35, v61 op_sel_hi:[1,0,1]
	v_pk_fma_f16 v26, v26, v35, v52 op_sel:[0,1,0]
	;; [unrolled: 2-line block ×4, first 2 shown]
	v_pk_fma_f16 v35, v28, v36, v51 op_sel_hi:[1,0,1]
	ds_read2_b64 v[50:53], v20 offset0:192 offset1:224
	v_pk_fma_f16 v54, v28, v36, v54 op_sel:[0,1,0]
	v_pk_fma_f16 v61, v28, v37, v61 op_sel_hi:[1,0,1]
	v_pk_fma_f16 v26, v28, v37, v26 op_sel:[0,1,0]
	v_pk_fma_f16 v20, v29, v36, v62 op_sel_hi:[1,0,1]
	;; [unrolled: 2-line block ×3, first 2 shown]
	v_pk_fma_f16 v27, v29, v37, v27 op_sel:[0,1,0]
	s_waitcnt lgkmcnt(0)
	v_pk_fma_f16 v29, v50, v30, v35 op_sel_hi:[1,0,1]
	v_pk_fma_f16 v35, v50, v30, v54 op_sel:[0,1,0]
	v_pk_fma_f16 v36, v50, v31, v61 op_sel_hi:[1,0,1]
	v_pk_fma_f16 v26, v50, v31, v26 op_sel:[0,1,0]
	;; [unrolled: 2-line block ×6, first 2 shown]
	ds_read2_b64 v[26:29], v22 offset1:32
	ds_read_b128 v[34:37], v40 offset:384
	v_pk_fma_f16 v20, v53, v32, v20 op_sel_hi:[1,0,1]
	v_pk_fma_f16 v62, v53, v32, v30 op_sel:[0,1,0]
	v_pk_fma_f16 v50, v53, v33, v50 op_sel_hi:[1,0,1]
	v_pk_fma_f16 v53, v53, v33, v31 op_sel:[0,1,0]
	s_waitcnt lgkmcnt(0)
	v_pk_fma_f16 v51, v26, v34, v51 op_sel_hi:[1,0,1]
	ds_read_b128 v[30:33], v40 offset:400
	v_pk_fma_f16 v54, v26, v34, v54 op_sel:[0,1,0]
	v_pk_fma_f16 v61, v26, v35, v61 op_sel_hi:[1,0,1]
	v_pk_fma_f16 v26, v26, v35, v52 op_sel:[0,1,0]
	v_pk_fma_f16 v20, v27, v34, v20 op_sel_hi:[1,0,1]
	;; [unrolled: 2-line block ×4, first 2 shown]
	ds_read2_b64 v[50:53], v22 offset0:64 offset1:96
	v_pk_fma_f16 v54, v28, v36, v54 op_sel:[0,1,0]
	v_pk_fma_f16 v61, v28, v37, v61 op_sel_hi:[1,0,1]
	v_pk_fma_f16 v26, v28, v37, v26 op_sel:[0,1,0]
	v_pk_fma_f16 v20, v29, v36, v20 op_sel_hi:[1,0,1]
	;; [unrolled: 2-line block ×3, first 2 shown]
	v_pk_fma_f16 v27, v29, v37, v27 op_sel:[0,1,0]
	s_waitcnt lgkmcnt(0)
	v_pk_fma_f16 v29, v50, v30, v35 op_sel_hi:[1,0,1]
	v_pk_fma_f16 v35, v50, v30, v54 op_sel:[0,1,0]
	v_pk_fma_f16 v36, v50, v31, v61 op_sel_hi:[1,0,1]
	v_pk_fma_f16 v26, v50, v31, v26 op_sel:[0,1,0]
	;; [unrolled: 2-line block ×6, first 2 shown]
	ds_read2_b64 v[26:29], v22 offset0:128 offset1:160
	ds_read_b128 v[34:37], v40 offset:416
	v_pk_fma_f16 v20, v53, v32, v20 op_sel_hi:[1,0,1]
	v_pk_fma_f16 v62, v53, v32, v30 op_sel:[0,1,0]
	v_pk_fma_f16 v50, v53, v33, v50 op_sel_hi:[1,0,1]
	v_pk_fma_f16 v53, v53, v33, v31 op_sel:[0,1,0]
	s_waitcnt lgkmcnt(0)
	v_pk_fma_f16 v51, v26, v34, v51 op_sel_hi:[1,0,1]
	ds_read_b128 v[30:33], v40 offset:432
	v_pk_fma_f16 v54, v26, v34, v54 op_sel:[0,1,0]
	v_pk_fma_f16 v61, v26, v35, v61 op_sel_hi:[1,0,1]
	v_pk_fma_f16 v26, v26, v35, v52 op_sel:[0,1,0]
	v_pk_fma_f16 v20, v27, v34, v20 op_sel_hi:[1,0,1]
	;; [unrolled: 2-line block ×4, first 2 shown]
	ds_read2_b64 v[50:53], v22 offset0:192 offset1:224
	v_pk_fma_f16 v54, v28, v36, v54 op_sel:[0,1,0]
	v_pk_fma_f16 v61, v28, v37, v61 op_sel_hi:[1,0,1]
	v_pk_fma_f16 v26, v28, v37, v26 op_sel:[0,1,0]
	v_pk_fma_f16 v20, v29, v36, v20 op_sel_hi:[1,0,1]
	;; [unrolled: 2-line block ×3, first 2 shown]
	v_pk_fma_f16 v27, v29, v37, v27 op_sel:[0,1,0]
	s_waitcnt lgkmcnt(0)
	v_pk_fma_f16 v29, v50, v30, v35 op_sel_hi:[1,0,1]
	v_pk_fma_f16 v34, v50, v30, v54 op_sel:[0,1,0]
	v_pk_fma_f16 v35, v50, v31, v61 op_sel_hi:[1,0,1]
	v_pk_fma_f16 v26, v50, v31, v26 op_sel:[0,1,0]
	;; [unrolled: 2-line block ×6, first 2 shown]
	ds_read2_b64 v[26:29], v24 offset1:32
	ds_read_b128 v[34:37], v40 offset:448
	v_pk_fma_f16 v20, v53, v32, v20 op_sel_hi:[1,0,1]
	v_pk_fma_f16 v22, v53, v32, v22 op_sel:[0,1,0]
	v_pk_fma_f16 v61, v53, v33, v30 op_sel_hi:[1,0,1]
	v_pk_fma_f16 v53, v53, v33, v31 op_sel:[0,1,0]
	s_waitcnt lgkmcnt(0)
	v_pk_fma_f16 v50, v26, v34, v50 op_sel_hi:[1,0,1]
	v_pk_fma_f16 v51, v26, v34, v51 op_sel:[0,1,0]
	ds_read_b128 v[30:33], v40 offset:464
	v_pk_fma_f16 v54, v26, v35, v54 op_sel_hi:[1,0,1]
	v_pk_fma_f16 v26, v26, v35, v52 op_sel:[0,1,0]
	v_pk_fma_f16 v20, v27, v34, v20 op_sel_hi:[1,0,1]
	v_pk_fma_f16 v22, v27, v34, v22 op_sel:[0,1,0]
	;; [unrolled: 2-line block ×4, first 2 shown]
	ds_read2_b64 v[50:53], v24 offset0:64 offset1:96
	v_pk_fma_f16 v54, v28, v37, v54 op_sel_hi:[1,0,1]
	v_pk_fma_f16 v26, v28, v37, v26 op_sel:[0,1,0]
	v_pk_fma_f16 v20, v29, v36, v20 op_sel_hi:[1,0,1]
	v_pk_fma_f16 v22, v29, v36, v22 op_sel:[0,1,0]
	;; [unrolled: 2-line block ×3, first 2 shown]
	s_waitcnt lgkmcnt(0)
	v_pk_fma_f16 v29, v50, v30, v35 op_sel_hi:[1,0,1]
	v_pk_fma_f16 v34, v50, v30, v61 op_sel:[0,1,0]
	v_pk_fma_f16 v35, v50, v31, v54 op_sel_hi:[1,0,1]
	v_pk_fma_f16 v26, v50, v31, v26 op_sel:[0,1,0]
	;; [unrolled: 2-line block ×6, first 2 shown]
	ds_read2_b64 v[26:29], v24 offset0:128 offset1:160
	ds_read_b128 v[34:37], v40 offset:480
	v_pk_fma_f16 v20, v53, v32, v20 op_sel_hi:[1,0,1]
	v_pk_fma_f16 v22, v53, v32, v22 op_sel:[0,1,0]
	v_pk_fma_f16 v61, v53, v33, v30 op_sel_hi:[1,0,1]
	v_pk_fma_f16 v53, v53, v33, v31 op_sel:[0,1,0]
	ds_read_b128 v[30:33], v40 offset:496
	ds_read2_b64 v[62:65], v24 offset0:192 offset1:224
	s_waitcnt lgkmcnt(0)
	s_barrier
	s_load_dword s10, s[8:9], 0x4
	v_pk_fma_f16 v50, v26, v34, v50 op_sel_hi:[1,0,1]
	v_pk_fma_f16 v51, v26, v34, v51 op_sel:[0,1,0]
	v_pk_fma_f16 v54, v26, v35, v54 op_sel_hi:[1,0,1]
	v_pk_fma_f16 v26, v26, v35, v52 op_sel:[0,1,0]
	;; [unrolled: 2-line block ×8, first 2 shown]
	s_waitcnt lgkmcnt(0)
	s_lshl_b32 s10, s10, 6
	v_pk_fma_f16 v28, v62, v30, v35 op_sel_hi:[1,0,1]
	v_pk_fma_f16 v29, v62, v30, v50 op_sel:[0,1,0]
	v_pk_fma_f16 v34, v62, v31, v51 op_sel_hi:[1,0,1]
	v_pk_fma_f16 v26, v62, v31, v26 op_sel:[0,1,0]
	;; [unrolled: 2-line block ×4, first 2 shown]
	s_add_i32 s6, s10, s6
	v_pk_fma_f16 v53, v64, v32, v28 op_sel_hi:[1,0,1]
	v_pk_fma_f16 v51, v64, v32, v29 op_sel:[0,1,0]
	v_pk_fma_f16 v50, v64, v33, v34 op_sel_hi:[1,0,1]
	v_pk_fma_f16 v54, v64, v33, v26 op_sel:[0,1,0]
	;; [unrolled: 2-line block ×3, first 2 shown]
	v_pk_fma_f16 v24, v65, v33, v24 op_sel_hi:[1,0,1]
	s_cmp_ge_i32 s6, s30
	v_pk_fma_f16 v52, v65, v33, v27 op_sel:[0,1,0]
	s_cbranch_scc1 .LBB76_43
; %bb.42:                               ;   in Loop: Header=BB76_9 Depth=1
	v_mov_b32_e32 v26, v0
	v_mov_b32_e32 v27, v1
	;; [unrolled: 1-line block ×4, first 2 shown]
	s_branch .LBB76_9
.LBB76_43:
	v_cmp_lt_i32_e32 vcc, v58, v55
	v_cndmask_b32_e32 v10, v11, v58, vcc
	v_cmp_lt_i32_e32 vcc, v59, v55
	v_cndmask_b32_e32 v12, v11, v59, vcc
	v_cmp_lt_i32_e32 vcc, v60, v55
	v_lshlrev_b32_e32 v10, 2, v10
	v_lshlrev_b32_e32 v16, 2, v12
	v_cndmask_b32_e32 v12, v11, v60, vcc
	v_lshlrev_b32_e32 v17, 2, v12
	ds_bpermute_b32 v12, v10, v8
	ds_bpermute_b32 v13, v10, v9
	;; [unrolled: 1-line block ×4, first 2 shown]
	v_cmp_lt_i32_e32 vcc, v57, v55
	v_cndmask_b32_e32 v10, v11, v57, vcc
	s_waitcnt lgkmcnt(2)
	v_pk_add_f32 v[8:9], v[8:9], v[12:13]
	ds_bpermute_b32 v12, v16, v8
	s_waitcnt lgkmcnt(1)
	v_pk_add_f32 v[6:7], v[6:7], v[14:15]
	ds_bpermute_b32 v13, v16, v9
	ds_bpermute_b32 v14, v16, v6
	;; [unrolled: 1-line block ×3, first 2 shown]
	v_lshlrev_b32_e32 v16, 2, v10
	v_cmp_lt_i32_e32 vcc, v56, v55
	s_waitcnt lgkmcnt(2)
	v_pk_add_f32 v[8:9], v[8:9], v[12:13]
	ds_bpermute_b32 v12, v17, v8
	s_waitcnt lgkmcnt(1)
	v_pk_add_f32 v[6:7], v[6:7], v[14:15]
	ds_bpermute_b32 v13, v17, v9
	ds_bpermute_b32 v14, v17, v6
	;; [unrolled: 1-line block ×3, first 2 shown]
	v_cndmask_b32_e32 v17, v11, v56, vcc
	s_cmp_lg_u64 s[16:17], 0
	s_waitcnt lgkmcnt(2)
	v_pk_add_f32 v[8:9], v[8:9], v[12:13]
	ds_bpermute_b32 v10, v16, v8
	s_waitcnt lgkmcnt(1)
	v_pk_add_f32 v[6:7], v[6:7], v[14:15]
	ds_bpermute_b32 v11, v16, v9
	ds_bpermute_b32 v12, v16, v6
	;; [unrolled: 1-line block ×3, first 2 shown]
	v_lshlrev_b32_e32 v14, 2, v17
	s_cselect_b64 s[0:1], -1, 0
	s_waitcnt lgkmcnt(2)
	v_pk_add_f32 v[8:9], v[8:9], v[10:11]
	ds_bpermute_b32 v10, v14, v8
	s_waitcnt lgkmcnt(1)
	v_pk_add_f32 v[6:7], v[6:7], v[12:13]
	ds_bpermute_b32 v11, v14, v9
	ds_bpermute_b32 v12, v14, v6
	;; [unrolled: 1-line block ×3, first 2 shown]
	s_cmp_eq_u32 s7, 0
	s_cselect_b64 s[8:9], -1, 0
	s_and_b64 s[0:1], s[8:9], s[0:1]
	s_waitcnt lgkmcnt(2)
	v_pk_add_f32 v[8:9], v[8:9], v[10:11]
	s_waitcnt lgkmcnt(0)
	v_pk_add_f32 v[6:7], v[6:7], v[12:13]
	s_and_b64 vcc, exec, s[0:1]
	s_cbranch_vccz .LBB76_45
; %bb.44:
	s_ashr_i32 s29, s28, 31
	s_lshl_b64 s[0:1], s[28:29], 2
	s_add_u32 s0, s16, s0
	s_addc_u32 s1, s17, s1
	v_mov_b32_e32 v10, 0
	global_load_dwordx4 v[10:13], v10, s[0:1]
	v_max_f32_e32 v14, v1, v1
	v_max_f32_e32 v16, v0, v0
	;; [unrolled: 1-line block ×4, first 2 shown]
	s_mov_b32 s6, 0x3fb8aa3b
	s_mov_b32 s0, 0xc2ce8ed0
	;; [unrolled: 1-line block ×3, first 2 shown]
	v_mov_b32_e32 v18, 0x7f800000
	s_waitcnt vmcnt(0)
	v_max_f32_e32 v15, v11, v11
	v_max_f32_e32 v23, v10, v10
	;; [unrolled: 1-line block ×6, first 2 shown]
	v_pk_add_f32 v[0:1], v[0:1], v[14:15] neg_lo:[0,1] neg_hi:[0,1]
	v_max_f32_e32 v17, v17, v25
	v_max_f32_e32 v16, v19, v26
	v_mul_f32_e32 v19, 0x3fb8aa3b, v1
	v_pk_add_f32 v[2:3], v[2:3], v[16:17] neg_lo:[0,1] neg_hi:[0,1]
	v_mul_f32_e32 v23, 0x3fb8aa3b, v0
	v_fma_f32 v29, v1, s6, -v19
	v_rndne_f32_e32 v30, v19
	v_mul_f32_e32 v25, 0x3fb8aa3b, v3
	v_fma_f32 v31, v0, s6, -v23
	v_rndne_f32_e32 v32, v23
	v_fmac_f32_e32 v29, 0x32a5705f, v1
	v_sub_f32_e32 v19, v19, v30
	v_mul_f32_e32 v26, 0x3fb8aa3b, v2
	v_fma_f32 v33, v3, s6, -v25
	v_rndne_f32_e32 v34, v25
	v_fmac_f32_e32 v31, 0x32a5705f, v0
	v_sub_f32_e32 v23, v23, v32
	v_add_f32_e32 v19, v19, v29
	v_fma_f32 v35, v2, s6, -v26
	v_rndne_f32_e32 v36, v26
	v_cvt_i32_f32_e32 v30, v30
	v_fmac_f32_e32 v33, 0x32a5705f, v3
	v_sub_f32_e32 v25, v25, v34
	v_add_f32_e32 v23, v23, v31
	v_exp_f32_e32 v19, v19
	v_cvt_i32_f32_e32 v32, v32
	v_fmac_f32_e32 v35, 0x32a5705f, v2
	v_sub_f32_e32 v26, v26, v36
	v_add_f32_e32 v25, v25, v33
	v_exp_f32_e32 v23, v23
	v_cvt_i32_f32_e32 v34, v34
	v_add_f32_e32 v26, v26, v35
	v_exp_f32_e32 v25, v25
	v_cvt_i32_f32_e32 v36, v36
	v_exp_f32_e32 v26, v26
	v_ldexp_f32 v19, v19, v30
	v_cmp_ngt_f32_e32 vcc, s0, v1
	v_ldexp_f32 v23, v23, v32
	v_cndmask_b32_e32 v19, 0, v19, vcc
	v_cmp_ngt_f32_e32 vcc, s0, v0
	v_ldexp_f32 v25, v25, v34
	v_cndmask_b32_e32 v23, 0, v23, vcc
	;; [unrolled: 3-line block ×3, first 2 shown]
	v_cmp_ngt_f32_e32 vcc, s0, v2
	v_cndmask_b32_e32 v26, 0, v26, vcc
	v_cmp_nlt_f32_e32 vcc, s1, v1
	v_cndmask_b32_e32 v1, v18, v19, vcc
	v_cmp_nlt_f32_e32 vcc, s1, v0
	v_cndmask_b32_e32 v0, v18, v23, vcc
	v_pk_add_f32 v[12:13], v[12:13], v[16:17] neg_lo:[0,1] neg_hi:[0,1]
	v_cvt_f16_f32_e32 v19, v0
	v_mul_f32_e32 v27, 0x3fb8aa3b, v13
	v_mul_f32_e32 v28, 0x3fb8aa3b, v12
	v_fma_f32 v37, v13, s6, -v27
	v_rndne_f32_e32 v38, v27
	v_cvt_f16_f32_e32 v23, v1
	v_fma_f32 v39, v12, s6, -v28
	v_rndne_f32_e32 v40, v28
	v_fmac_f32_e32 v37, 0x32a5705f, v13
	v_sub_f32_e32 v27, v27, v38
	v_cmp_nlt_f32_e32 vcc, s1, v3
	v_fmac_f32_e32 v39, 0x32a5705f, v12
	v_add_f32_e32 v27, v27, v37
	v_cndmask_b32_e32 v3, v18, v25, vcc
	v_cmp_nlt_f32_e32 vcc, s1, v2
	v_pk_mul_f16 v53, v19, v53 op_sel_hi:[0,1]
	v_pk_mul_f16 v22, v19, v22 op_sel_hi:[0,1]
	v_sub_f32_e32 v19, v28, v40
	v_cvt_i32_f32_e32 v38, v38
	v_exp_f32_e32 v27, v27
	v_cndmask_b32_e32 v2, v18, v26, vcc
	v_add_f32_e32 v19, v19, v39
	v_cvt_f16_f32_e32 v25, v2
	v_pk_mul_f16 v51, v23, v51 op_sel_hi:[0,1]
	v_pk_mul_f16 v20, v23, v20 op_sel_hi:[0,1]
	v_exp_f32_e32 v19, v19
	v_cvt_i32_f32_e32 v23, v40
	v_cvt_f16_f32_e32 v26, v3
	v_pk_add_f32 v[10:11], v[10:11], v[14:15] neg_lo:[0,1] neg_hi:[0,1]
	v_ldexp_f32 v27, v27, v38
	v_cmp_ngt_f32_e32 vcc, s0, v13
	v_pk_mul_f16 v50, v25, v50 op_sel_hi:[0,1]
	v_pk_mul_f16 v24, v25, v24 op_sel_hi:[0,1]
	v_cndmask_b32_e32 v25, 0, v27, vcc
	v_cmp_nlt_f32_e32 vcc, s1, v13
	v_ldexp_f32 v19, v19, v23
	v_mul_f32_e32 v23, 0x3fb8aa3b, v11
	v_pk_mul_f16 v54, v26, v54 op_sel_hi:[0,1]
	v_pk_mul_f16 v52, v26, v52 op_sel_hi:[0,1]
	v_cndmask_b32_e32 v13, v18, v25, vcc
	v_fma_f32 v25, v11, s6, -v23
	v_rndne_f32_e32 v26, v23
	v_fmac_f32_e32 v25, 0x32a5705f, v11
	v_sub_f32_e32 v23, v23, v26
	v_add_f32_e32 v23, v23, v25
	v_exp_f32_e32 v23, v23
	v_cvt_i32_f32_e32 v25, v26
	v_cmp_ngt_f32_e32 vcc, s0, v12
	v_cndmask_b32_e32 v19, 0, v19, vcc
	v_cmp_nlt_f32_e32 vcc, s1, v12
	v_cndmask_b32_e32 v12, v18, v19, vcc
	v_ldexp_f32 v19, v23, v25
	v_mul_f32_e32 v23, 0x3fb8aa3b, v10
	v_fma_f32 v25, v10, s6, -v23
	v_rndne_f32_e32 v26, v23
	v_fmac_f32_e32 v25, 0x32a5705f, v10
	v_sub_f32_e32 v23, v23, v26
	v_add_f32_e32 v23, v23, v25
	v_exp_f32_e32 v23, v23
	v_cvt_i32_f32_e32 v25, v26
	v_cmp_ngt_f32_e32 vcc, s0, v11
	v_cndmask_b32_e32 v19, 0, v19, vcc
	v_cmp_nlt_f32_e32 vcc, s1, v11
	v_cndmask_b32_e32 v11, v18, v19, vcc
	v_ldexp_f32 v19, v23, v25
	v_cmp_ngt_f32_e32 vcc, s0, v10
	v_cndmask_b32_e32 v19, 0, v19, vcc
	v_cmp_nlt_f32_e32 vcc, s1, v10
	v_cndmask_b32_e32 v10, v18, v19, vcc
	v_pk_fma_f32 v[6:7], v[6:7], v[2:3], v[12:13]
	v_pk_fma_f32 v[8:9], v[8:9], v[0:1], v[10:11]
	v_pk_mov_b32 v[0:1], v[14:15], v[14:15] op_sel:[0,1]
	v_pk_mov_b32 v[2:3], v[16:17], v[16:17] op_sel:[0,1]
.LBB76_45:
	v_cmp_gt_i32_e32 vcc, s2, v5
	s_and_saveexec_b64 s[0:1], vcc
	s_cbranch_execz .LBB76_62
; %bb.46:
	s_load_dword s6, s[4:5], 0xd4
	v_mov_b32_e32 v10, 1.0
	s_waitcnt lgkmcnt(0)
	s_cmp_lg_u32 s6, 1
	s_cselect_b64 s[0:1], -1, 0
	s_cmp_eq_u32 s6, 1
	s_cselect_b64 s[4:5], -1, 0
	s_and_b64 vcc, exec, s[0:1]
	s_cbranch_vccnz .LBB76_48
; %bb.47:
	v_div_scale_f32 v10, s[8:9], v8, v8, 1.0
	v_rcp_f32_e32 v11, v10
	v_div_scale_f32 v12, vcc, 1.0, v8, 1.0
	v_fma_f32 v13, -v10, v11, 1.0
	v_fmac_f32_e32 v11, v13, v11
	v_mul_f32_e32 v13, v12, v11
	v_fma_f32 v14, -v10, v13, v12
	v_fmac_f32_e32 v13, v14, v11
	v_fma_f32 v10, -v10, v13, v12
	v_div_fmas_f32 v10, v10, v11, v13
	v_div_fixup_f32 v10, v10, v8, 1.0
.LBB76_48:
	s_mul_i32 s33, s33, s2
	v_add_u32_e32 v5, s33, v5
	v_mul_lo_u32 v5, v5, s3
	v_add_u32_e32 v5, s28, v5
	v_cmp_eq_u32_e32 vcc, 0, v4
	v_mul_lo_u32 v4, s6, v5
	v_add_u32_e32 v4, s7, v4
	v_cvt_f32_f16_sdwa v15, v53 dst_sel:DWORD dst_unused:UNUSED_PAD src0_sel:WORD_1
	v_cvt_f32_f16_e32 v14, v53
	v_cvt_f32_f16_sdwa v17, v22 dst_sel:DWORD dst_unused:UNUSED_PAD src0_sel:WORD_1
	v_cvt_f32_f16_e32 v16, v22
	v_lshl_add_u32 v12, v4, 7, v21
	v_mov_b32_e32 v13, 0
	v_lshlrev_b64 v[12:13], 2, v[12:13]
	s_and_b64 s[2:3], vcc, s[0:1]
	v_mov_b32_e32 v5, s21
	v_add_co_u32_e32 v18, vcc, s20, v12
	v_addc_co_u32_e32 v19, vcc, v5, v13, vcc
	v_pk_mul_f32 v[12:13], v[10:11], v[14:15] op_sel_hi:[0,1]
	v_pk_mul_f32 v[14:15], v[10:11], v[16:17] op_sel_hi:[0,1]
	global_store_dwordx4 v[18:19], v[12:15], off
	s_and_saveexec_b64 s[0:1], s[2:3]
	s_cbranch_execz .LBB76_50
; %bb.49:
	v_ashrrev_i32_e32 v5, 31, v4
	v_lshlrev_b64 v[10:11], 3, v[4:5]
	v_mov_b32_e32 v5, s23
	v_add_co_u32_e32 v10, vcc, s22, v10
	v_addc_co_u32_e32 v11, vcc, v5, v11, vcc
	v_mov_b32_e32 v12, v0
	v_mov_b32_e32 v13, v8
	global_store_dwordx2 v[10:11], v[12:13], off
.LBB76_50:
	s_or_b64 exec, exec, s[0:1]
	v_cndmask_b32_e64 v0, 0, 1, s[4:5]
	v_cmp_ne_u32_e64 s[0:1], 1, v0
	s_andn2_b64 vcc, exec, s[4:5]
	v_mov_b32_e32 v0, 1.0
	s_cbranch_vccnz .LBB76_52
; %bb.51:
	v_div_scale_f32 v0, s[4:5], v9, v9, 1.0
	v_rcp_f32_e32 v5, v0
	v_div_scale_f32 v8, vcc, 1.0, v9, 1.0
	v_fma_f32 v10, -v0, v5, 1.0
	v_fmac_f32_e32 v5, v10, v5
	v_mul_f32_e32 v10, v8, v5
	v_fma_f32 v11, -v0, v10, v8
	v_fmac_f32_e32 v10, v11, v5
	v_fma_f32 v0, -v0, v10, v8
	v_div_fmas_f32 v0, v0, v5, v10
	v_div_fixup_f32 v0, v0, v9, 1.0
.LBB76_52:
	v_add_u32_e32 v4, s6, v4
	v_cvt_f32_f16_sdwa v13, v51 dst_sel:DWORD dst_unused:UNUSED_PAD src0_sel:WORD_1
	v_cvt_f32_f16_e32 v12, v51
	v_cvt_f32_f16_sdwa v15, v20 dst_sel:DWORD dst_unused:UNUSED_PAD src0_sel:WORD_1
	v_cvt_f32_f16_e32 v14, v20
	v_lshl_add_u32 v10, v4, 7, v21
	v_mov_b32_e32 v11, 0
	v_lshlrev_b64 v[10:11], 2, v[10:11]
	v_mov_b32_e32 v5, s21
	v_add_co_u32_e32 v16, vcc, s20, v10
	v_addc_co_u32_e32 v17, vcc, v5, v11, vcc
	v_pk_mul_f32 v[10:11], v[0:1], v[12:13] op_sel_hi:[0,1]
	v_pk_mul_f32 v[12:13], v[0:1], v[14:15] op_sel_hi:[0,1]
	global_store_dwordx4 v[16:17], v[10:13], off
	s_and_saveexec_b64 s[4:5], s[2:3]
	s_cbranch_execz .LBB76_54
; %bb.53:
	v_ashrrev_i32_e32 v5, 31, v4
	v_lshlrev_b64 v[10:11], 3, v[4:5]
	v_mov_b32_e32 v0, s23
	v_add_co_u32_e32 v10, vcc, s22, v10
	v_addc_co_u32_e32 v11, vcc, v0, v11, vcc
	v_mov_b32_e32 v8, v1
	global_store_dwordx2 v[10:11], v[8:9], off
.LBB76_54:
	s_or_b64 exec, exec, s[4:5]
	s_and_b64 vcc, exec, s[0:1]
	v_mov_b32_e32 v8, 1.0
	s_cbranch_vccnz .LBB76_56
; %bb.55:
	v_div_scale_f32 v0, s[4:5], v6, v6, 1.0
	v_rcp_f32_e32 v1, v0
	v_div_scale_f32 v5, vcc, 1.0, v6, 1.0
	v_fma_f32 v8, -v0, v1, 1.0
	v_fmac_f32_e32 v1, v8, v1
	v_mul_f32_e32 v8, v5, v1
	v_fma_f32 v9, -v0, v8, v5
	v_fmac_f32_e32 v8, v9, v1
	v_fma_f32 v0, -v0, v8, v5
	v_div_fmas_f32 v0, v0, v1, v8
	v_div_fixup_f32 v8, v0, v6, 1.0
.LBB76_56:
	v_add_u32_e32 v0, s6, v4
	v_cvt_f32_f16_sdwa v11, v50 dst_sel:DWORD dst_unused:UNUSED_PAD src0_sel:WORD_1
	v_cvt_f32_f16_e32 v10, v50
	v_cvt_f32_f16_sdwa v13, v24 dst_sel:DWORD dst_unused:UNUSED_PAD src0_sel:WORD_1
	v_cvt_f32_f16_e32 v12, v24
	v_lshl_add_u32 v4, v0, 7, v21
	v_mov_b32_e32 v5, 0
	v_lshlrev_b64 v[4:5], 2, v[4:5]
	v_mov_b32_e32 v1, s21
	v_add_co_u32_e32 v4, vcc, s20, v4
	v_addc_co_u32_e32 v5, vcc, v1, v5, vcc
	v_pk_mul_f32 v[10:11], v[8:9], v[10:11] op_sel_hi:[0,1]
	v_pk_mul_f32 v[12:13], v[8:9], v[12:13] op_sel_hi:[0,1]
	global_store_dwordx4 v[4:5], v[10:13], off
	s_and_saveexec_b64 s[4:5], s[2:3]
	s_cbranch_execz .LBB76_58
; %bb.57:
	v_ashrrev_i32_e32 v1, 31, v0
	v_lshlrev_b64 v[4:5], 3, v[0:1]
	v_mov_b32_e32 v1, s23
	v_add_co_u32_e32 v4, vcc, s22, v4
	v_addc_co_u32_e32 v5, vcc, v1, v5, vcc
	v_mov_b32_e32 v8, v2
	v_mov_b32_e32 v9, v6
	global_store_dwordx2 v[4:5], v[8:9], off
.LBB76_58:
	s_or_b64 exec, exec, s[4:5]
	s_and_b64 vcc, exec, s[0:1]
	v_mov_b32_e32 v2, 1.0
	s_cbranch_vccnz .LBB76_60
; %bb.59:
	v_div_scale_f32 v1, s[0:1], v7, v7, 1.0
	v_rcp_f32_e32 v2, v1
	v_div_scale_f32 v4, vcc, 1.0, v7, 1.0
	v_fma_f32 v5, -v1, v2, 1.0
	v_fmac_f32_e32 v2, v5, v2
	v_mul_f32_e32 v5, v4, v2
	v_fma_f32 v6, -v1, v5, v4
	v_fmac_f32_e32 v5, v6, v2
	v_fma_f32 v1, -v1, v5, v4
	v_div_fmas_f32 v1, v1, v2, v5
	v_div_fixup_f32 v2, v1, v7, 1.0
.LBB76_60:
	v_add_u32_e32 v0, s6, v0
	v_cvt_f32_f16_sdwa v9, v54 dst_sel:DWORD dst_unused:UNUSED_PAD src0_sel:WORD_1
	v_cvt_f32_f16_e32 v8, v54
	v_cvt_f32_f16_sdwa v11, v52 dst_sel:DWORD dst_unused:UNUSED_PAD src0_sel:WORD_1
	v_cvt_f32_f16_e32 v10, v52
	v_lshl_add_u32 v4, v0, 7, v21
	v_mov_b32_e32 v5, 0
	v_lshlrev_b64 v[4:5], 2, v[4:5]
	v_mov_b32_e32 v1, s21
	v_add_co_u32_e32 v4, vcc, s20, v4
	v_addc_co_u32_e32 v5, vcc, v1, v5, vcc
	v_pk_mul_f32 v[8:9], v[2:3], v[8:9] op_sel_hi:[0,1]
	v_pk_mul_f32 v[10:11], v[2:3], v[10:11] op_sel_hi:[0,1]
	global_store_dwordx4 v[4:5], v[8:11], off
	s_and_b64 exec, exec, s[2:3]
	s_cbranch_execz .LBB76_62
; %bb.61:
	v_ashrrev_i32_e32 v1, 31, v0
	v_lshlrev_b64 v[0:1], 3, v[0:1]
	v_mov_b32_e32 v2, s23
	v_add_co_u32_e32 v0, vcc, s22, v0
	v_addc_co_u32_e32 v1, vcc, v2, v1, vcc
	v_mov_b32_e32 v6, v3
	global_store_dwordx2 v[0:1], v[6:7], off
.LBB76_62:
	s_endpgm
	.section	.rodata,"a",@progbits
	.p2align	6, 0x0
	.amdhsa_kernel _ZL15flash_attn_tileILi128ELi128ELi8ELi4ELb1EEvPKcS1_S1_S1_S1_PKiPfP15HIP_vector_typeIfLj2EEffffjfiS5_IjLj3EEiiiiiiiiiiiliiliiiiil
		.amdhsa_group_segment_fixed_size 21504
		.amdhsa_private_segment_fixed_size 0
		.amdhsa_kernarg_size 464
		.amdhsa_user_sgpr_count 6
		.amdhsa_user_sgpr_private_segment_buffer 1
		.amdhsa_user_sgpr_dispatch_ptr 0
		.amdhsa_user_sgpr_queue_ptr 0
		.amdhsa_user_sgpr_kernarg_segment_ptr 1
		.amdhsa_user_sgpr_dispatch_id 0
		.amdhsa_user_sgpr_flat_scratch_init 0
		.amdhsa_user_sgpr_kernarg_preload_length 0
		.amdhsa_user_sgpr_kernarg_preload_offset 0
		.amdhsa_user_sgpr_private_segment_size 0
		.amdhsa_uses_dynamic_stack 0
		.amdhsa_system_sgpr_private_segment_wavefront_offset 0
		.amdhsa_system_sgpr_workgroup_id_x 1
		.amdhsa_system_sgpr_workgroup_id_y 1
		.amdhsa_system_sgpr_workgroup_id_z 1
		.amdhsa_system_sgpr_workgroup_info 0
		.amdhsa_system_vgpr_workitem_id 1
		.amdhsa_next_free_vgpr 104
		.amdhsa_next_free_sgpr 40
		.amdhsa_accum_offset 104
		.amdhsa_reserve_vcc 1
		.amdhsa_reserve_flat_scratch 0
		.amdhsa_float_round_mode_32 0
		.amdhsa_float_round_mode_16_64 0
		.amdhsa_float_denorm_mode_32 3
		.amdhsa_float_denorm_mode_16_64 3
		.amdhsa_dx10_clamp 1
		.amdhsa_ieee_mode 1
		.amdhsa_fp16_overflow 0
		.amdhsa_tg_split 0
		.amdhsa_exception_fp_ieee_invalid_op 0
		.amdhsa_exception_fp_denorm_src 0
		.amdhsa_exception_fp_ieee_div_zero 0
		.amdhsa_exception_fp_ieee_overflow 0
		.amdhsa_exception_fp_ieee_underflow 0
		.amdhsa_exception_fp_ieee_inexact 0
		.amdhsa_exception_int_div_zero 0
	.end_amdhsa_kernel
	.section	.text._ZL15flash_attn_tileILi128ELi128ELi8ELi4ELb1EEvPKcS1_S1_S1_S1_PKiPfP15HIP_vector_typeIfLj2EEffffjfiS5_IjLj3EEiiiiiiiiiiiliiliiiiil,"axG",@progbits,_ZL15flash_attn_tileILi128ELi128ELi8ELi4ELb1EEvPKcS1_S1_S1_S1_PKiPfP15HIP_vector_typeIfLj2EEffffjfiS5_IjLj3EEiiiiiiiiiiiliiliiiiil,comdat
.Lfunc_end76:
	.size	_ZL15flash_attn_tileILi128ELi128ELi8ELi4ELb1EEvPKcS1_S1_S1_S1_PKiPfP15HIP_vector_typeIfLj2EEffffjfiS5_IjLj3EEiiiiiiiiiiiliiliiiiil, .Lfunc_end76-_ZL15flash_attn_tileILi128ELi128ELi8ELi4ELb1EEvPKcS1_S1_S1_S1_PKiPfP15HIP_vector_typeIfLj2EEffffjfiS5_IjLj3EEiiiiiiiiiiiliiliiiiil
                                        ; -- End function
	.section	.AMDGPU.csdata,"",@progbits
; Kernel info:
; codeLenInByte = 17552
; NumSgprs: 44
; NumVgprs: 104
; NumAgprs: 0
; TotalNumVgprs: 104
; ScratchSize: 0
; MemoryBound: 0
; FloatMode: 240
; IeeeMode: 1
; LDSByteSize: 21504 bytes/workgroup (compile time only)
; SGPRBlocks: 5
; VGPRBlocks: 12
; NumSGPRsForWavesPerEU: 44
; NumVGPRsForWavesPerEU: 104
; AccumOffset: 104
; Occupancy: 3
; WaveLimiterHint : 1
; COMPUTE_PGM_RSRC2:SCRATCH_EN: 0
; COMPUTE_PGM_RSRC2:USER_SGPR: 6
; COMPUTE_PGM_RSRC2:TRAP_HANDLER: 0
; COMPUTE_PGM_RSRC2:TGID_X_EN: 1
; COMPUTE_PGM_RSRC2:TGID_Y_EN: 1
; COMPUTE_PGM_RSRC2:TGID_Z_EN: 1
; COMPUTE_PGM_RSRC2:TIDIG_COMP_CNT: 1
; COMPUTE_PGM_RSRC3_GFX90A:ACCUM_OFFSET: 25
; COMPUTE_PGM_RSRC3_GFX90A:TG_SPLIT: 0
	.section	.text._ZL15flash_attn_tileILi128ELi128ELi4ELi4ELb1EEvPKcS1_S1_S1_S1_PKiPfP15HIP_vector_typeIfLj2EEffffjfiS5_IjLj3EEiiiiiiiiiiiliiliiiiil,"axG",@progbits,_ZL15flash_attn_tileILi128ELi128ELi4ELi4ELb1EEvPKcS1_S1_S1_S1_PKiPfP15HIP_vector_typeIfLj2EEffffjfiS5_IjLj3EEiiiiiiiiiiiliiliiiiil,comdat
	.globl	_ZL15flash_attn_tileILi128ELi128ELi4ELi4ELb1EEvPKcS1_S1_S1_S1_PKiPfP15HIP_vector_typeIfLj2EEffffjfiS5_IjLj3EEiiiiiiiiiiiliiliiiiil ; -- Begin function _ZL15flash_attn_tileILi128ELi128ELi4ELi4ELb1EEvPKcS1_S1_S1_S1_PKiPfP15HIP_vector_typeIfLj2EEffffjfiS5_IjLj3EEiiiiiiiiiiiliiliiiiil
	.p2align	8
	.type	_ZL15flash_attn_tileILi128ELi128ELi4ELi4ELb1EEvPKcS1_S1_S1_S1_PKiPfP15HIP_vector_typeIfLj2EEffffjfiS5_IjLj3EEiiiiiiiiiiiliiliiiiil,@function
_ZL15flash_attn_tileILi128ELi128ELi4ELi4ELb1EEvPKcS1_S1_S1_S1_PKiPfP15HIP_vector_typeIfLj2EEffffjfiS5_IjLj3EEiiiiiiiiiiiliiliiiiil: ; @_ZL15flash_attn_tileILi128ELi128ELi4ELi4ELb1EEvPKcS1_S1_S1_S1_PKiPfP15HIP_vector_typeIfLj2EEffffjfiS5_IjLj3EEiiiiiiiiiiiliiliiiiil
; %bb.0:
	s_load_dwordx4 s[0:3], s[4:5], 0x5c
	s_load_dwordx2 s[28:29], s[4:5], 0x80
	s_load_dwordx2 s[34:35], s[4:5], 0xb8
	s_mov_b64 s[30:31], 0
	s_waitcnt lgkmcnt(0)
	s_ashr_i32 s9, s3, 31
	s_lshr_b32 s9, s9, 30
	s_add_i32 s9, s3, s9
	s_ashr_i32 s9, s9, 2
	v_cvt_f32_u32_e32 v1, s9
	s_sub_i32 s10, 0, s9
	v_rcp_iflag_f32_e32 v1, v1
	v_mul_f32_e32 v1, 0x4f7ffffe, v1
	v_cvt_u32_f32_e32 v1, v1
	v_readfirstlane_b32 s11, v1
	s_mul_i32 s10, s10, s11
	s_mul_hi_u32 s10, s11, s10
	s_add_i32 s11, s11, s10
	s_mul_hi_u32 s10, s8, s11
	s_mul_i32 s11, s10, s9
	s_sub_i32 s11, s8, s11
	s_add_i32 s12, s10, 1
	s_sub_i32 s13, s11, s9
	s_cmp_ge_u32 s11, s9
	s_cselect_b32 s10, s12, s10
	s_cselect_b32 s11, s13, s11
	s_add_i32 s12, s10, 1
	s_cmp_ge_u32 s11, s9
	s_cselect_b32 s33, s12, s10
	s_abs_i32 s9, s29
	v_cvt_f32_u32_e32 v1, s9
	s_lshl_b32 s8, s8, 2
	s_mul_i32 s12, s33, s3
	s_xor_b32 s10, s3, s29
	v_rcp_iflag_f32_e32 v1, v1
	s_sub_i32 s13, 0, s9
	s_sub_i32 s29, s8, s12
	s_abs_i32 s11, s3
	v_mul_f32_e32 v1, 0x4f7ffffe, v1
	v_cvt_u32_f32_e32 v1, v1
	s_ashr_i32 s10, s10, 31
	v_readfirstlane_b32 s8, v1
	s_mul_i32 s13, s13, s8
	s_mul_hi_u32 s12, s8, s13
	s_add_i32 s8, s8, s12
	s_mul_hi_u32 s8, s11, s8
	s_mul_i32 s12, s8, s9
	s_sub_i32 s11, s11, s12
	s_add_i32 s13, s8, 1
	s_sub_i32 s12, s11, s9
	s_cmp_ge_u32 s11, s9
	s_cselect_b32 s8, s13, s8
	s_cselect_b32 s11, s12, s11
	s_add_i32 s12, s8, 1
	s_cmp_ge_u32 s11, s9
	s_cselect_b32 s8, s12, s8
	s_xor_b32 s8, s8, s10
	s_sub_i32 s37, s8, s10
	s_abs_i32 s36, s37
	v_cvt_f32_u32_e32 v1, s36
	s_load_dwordx16 s[8:23], s[4:5], 0x0
	v_rcp_iflag_f32_e32 v1, v1
	s_waitcnt lgkmcnt(0)
	s_cmp_eq_u64 s[14:15], 0
	v_mul_f32_e32 v1, 0x4f7ffffe, v1
	v_cvt_u32_f32_e32 v1, v1
	v_readfirstlane_b32 s38, v1
	s_cbranch_scc1 .LBB77_2
; %bb.1:
	s_abs_i32 s26, s34
	v_cvt_f32_u32_e32 v1, s26
	s_sub_i32 s31, 0, s26
	s_abs_i32 s30, s33
	s_ashr_i32 s27, s33, 31
	v_rcp_iflag_f32_e32 v1, v1
	s_load_dwordx2 s[24:25], s[4:5], 0xc8
	v_mul_f32_e32 v1, 0x4f7ffffe, v1
	v_cvt_u32_f32_e32 v1, v1
	v_readfirstlane_b32 s34, v1
	s_mul_i32 s31, s31, s34
	s_mul_hi_u32 s31, s34, s31
	s_add_i32 s34, s34, s31
	s_mul_hi_u32 s31, s30, s34
	s_mul_i32 s31, s31, s26
	s_sub_i32 s30, s30, s31
	s_sub_i32 s31, s30, s26
	s_cmp_ge_u32 s30, s26
	s_cselect_b32 s30, s31, s30
	s_sub_i32 s31, s30, s26
	s_cmp_ge_u32 s30, s26
	s_cselect_b32 s26, s31, s30
	s_xor_b32 s26, s26, s27
	s_sub_i32 s26, s26, s27
	s_ashr_i32 s27, s26, 31
	s_waitcnt lgkmcnt(0)
	s_mul_i32 s25, s26, s25
	s_mul_hi_u32 s30, s26, s24
	s_add_i32 s25, s30, s25
	s_mul_i32 s27, s27, s24
	s_add_i32 s25, s25, s27
	s_mul_i32 s26, s26, s24
	s_add_u32 s30, s14, s26
	s_addc_u32 s31, s15, s25
.LBB77_2:
	s_load_dwordx4 s[24:27], s[4:5], 0x70
	v_bfe_u32 v8, v0, 10, 10
	v_lshrrev_b32_e32 v1, 1, v8
	v_lshl_add_u32 v1, s6, 2, v1
	v_mul_hi_u32 v2, s0, v1
	s_waitcnt lgkmcnt(0)
	s_mul_i32 s14, s33, s26
	s_ashr_i32 s26, s14, 31
	s_mul_i32 s15, s29, s25
	s_add_u32 s8, s8, s14
	v_add_u32_e32 v2, v1, v2
	s_addc_u32 s9, s9, s26
	s_ashr_i32 s14, s15, 31
	v_lshrrev_b32_e32 v2, s1, v2
	s_add_u32 s8, s8, s15
	v_mul_lo_u32 v2, v2, s2
	s_addc_u32 s9, s9, s14
	v_sub_u32_e32 v6, v1, v2
	s_ashr_i32 s15, s24, 31
	v_mov_b32_e32 v2, s24
	v_alignbit_b32 v2, s15, v2, 2
	v_mad_u64_u32 v[2:3], s[0:1], v2, v6, 0
	v_mov_b32_e32 v4, v3
	s_lshr_b32 s0, s15, 2
	v_mad_u64_u32 v[4:5], s[0:1], s0, v6, v[4:5]
	v_mov_b32_e32 v3, v4
	v_lshlrev_b64 v[2:3], 2, v[2:3]
	v_and_b32_e32 v0, 0x3ff, v0
	v_mov_b32_e32 v4, s9
	v_add_co_u32_e32 v2, vcc, s8, v2
	v_lshlrev_b32_e32 v9, 1, v8
	v_addc_co_u32_e32 v3, vcc, v4, v3, vcc
	v_lshlrev_b32_e32 v4, 4, v0
	s_ashr_i32 s14, s25, 31
	v_add_co_u32_e32 v7, vcc, v2, v4
	v_mov_b32_e32 v2, s25
	v_or_b32_e32 v15, 1, v9
	v_and_b32_e32 v25, 2, v9
	s_lshr_b32 s8, s14, 2
	v_alignbit_b32 v10, s14, v2, 2
	v_and_b32_e32 v13, 3, v15
	v_addc_co_u32_e32 v14, vcc, 0, v3, vcc
	v_mul_lo_u32 v4, s8, v25
	v_mad_u64_u32 v[2:3], s[0:1], v10, v25, 0
	v_mad_u64_u32 v[10:11], s[0:1], v10, v13, 0
	v_or_b32_e32 v3, v3, v4
	v_mov_b32_e32 v12, v11
	v_lshlrev_b64 v[2:3], 2, v[2:3]
	v_mad_u64_u32 v[12:13], s[0:1], s8, v13, v[12:13]
	v_add_co_u32_e32 v2, vcc, v7, v2
	v_mov_b32_e32 v11, v12
	v_addc_co_u32_e32 v3, vcc, v14, v3, vcc
	v_lshlrev_b64 v[10:11], 2, v[10:11]
	v_add_co_u32_e32 v10, vcc, v7, v10
	global_load_dwordx4 v[2:5], v[2:3], off
	v_addc_co_u32_e32 v11, vcc, v14, v11, vcc
	global_load_dwordx4 v[10:13], v[10:11], off
	s_load_dword s0, s[4:5], 0x40
	v_lshlrev_b32_e32 v7, 1, v0
	v_lshlrev_b32_e32 v14, 7, v8
	;; [unrolled: 1-line block ×3, first 2 shown]
	v_add_lshl_u32 v14, v14, v7, 2
	v_add_lshl_u32 v7, v15, v7, 2
	s_cmp_eq_u64 s[18:19], 0
	s_waitcnt vmcnt(1) lgkmcnt(0)
	v_pk_mul_f32 v[2:3], v[2:3], s[0:1] op_sel_hi:[1,0]
	v_pk_mul_f32 v[4:5], v[4:5], s[0:1] op_sel_hi:[1,0]
	v_cvt_f16_f32_e32 v15, v3
	s_waitcnt vmcnt(0)
	v_pk_mul_f32 v[10:11], v[10:11], s[0:1] op_sel_hi:[1,0]
	v_pk_mul_f32 v[12:13], v[12:13], s[0:1] op_sel_hi:[1,0]
	v_cvt_f16_f32_e32 v2, v2
	v_cvt_f16_f32_e32 v3, v5
	;; [unrolled: 1-line block ×7, first 2 shown]
	v_pack_b32_f16 v3, v4, v3
	v_pack_b32_f16 v2, v2, v15
	;; [unrolled: 1-line block ×4, first 2 shown]
	ds_write_b64 v14, v[2:3] offset:17408
	ds_write_b64 v7, v[4:5] offset:17408
	s_waitcnt lgkmcnt(0)
	s_barrier
	s_cbranch_scc1 .LBB77_4
; %bb.3:
	s_load_dword s0, s[4:5], 0xd0
	s_mov_b32 s1, 0
	s_waitcnt lgkmcnt(0)
	s_mul_i32 s0, s0, s33
	s_add_i32 s0, s0, s6
	s_lshl_b64 s[0:1], s[0:1], 2
	s_add_u32 s0, s18, s0
	s_addc_u32 s1, s19, s1
	s_load_dword s28, s[0:1], 0x0
.LBB77_4:
	s_lshl_b32 s6, s7, 6
	s_waitcnt lgkmcnt(0)
	s_cmp_lt_i32 s6, s28
	v_mbcnt_lo_u32_b32 v16, -1, 0
	s_cbranch_scc1 .LBB77_6
; %bb.5:
	v_mbcnt_hi_u32_b32 v7, -1, v16
	v_and_b32_e32 v2, 0x60, v7
	s_mov_b32 s0, 0xfeffffff
	s_mov_b32 s14, 0
	v_add_u32_e32 v51, 32, v2
	v_xor_b32_e32 v56, 16, v7
	v_xor_b32_e32 v52, 8, v7
	;; [unrolled: 1-line block ×5, first 2 shown]
	s_mov_b32 s1, s0
	s_mov_b64 s[8:9], 0
	s_branch .LBB77_7
.LBB77_6:
	s_mov_b64 s[8:9], -1
                                        ; implicit-def: $sgpr14
                                        ; implicit-def: $sgpr0_sgpr1
                                        ; implicit-def: $vgpr7
                                        ; implicit-def: $vgpr51
                                        ; implicit-def: $vgpr56
                                        ; implicit-def: $vgpr52
                                        ; implicit-def: $vgpr53
                                        ; implicit-def: $vgpr54
                                        ; implicit-def: $vgpr55
.LBB77_7:
	v_lshlrev_b32_e32 v28, 2, v0
	s_andn2_b64 vcc, exec, s[8:9]
	v_mov_b32_e32 v5, s14
	v_mov_b32_e32 v47, s14
	v_pk_mov_b32 v[2:3], s[0:1], s[0:1] op_sel:[0,1]
	v_mov_b32_e32 v48, s14
	v_mov_b32_e32 v4, s14
	v_mov_b32_e32 v24, s14
	v_mov_b32_e32 v46, s14
	s_cbranch_vccnz .LBB77_26
; %bb.8:
	s_sub_i32 s0, 0, s36
	s_mul_i32 s0, s0, s38
	s_mul_hi_u32 s0, s38, s0
	s_add_i32 s38, s38, s0
	s_load_dwordx4 s[24:27], s[4:5], 0x98
	s_load_dword s0, s[4:5], 0x54
	s_load_dwordx2 s[8:9], s[4:5], 0x8c
	s_abs_i32 s1, s29
	s_mul_hi_u32 s18, s1, s38
	s_waitcnt lgkmcnt(0)
	s_ashr_i32 s14, s26, 2
	s_ashr_i32 s26, s35, 1
	;; [unrolled: 1-line block ×4, first 2 shown]
	s_mul_i32 s25, s33, s25
	s_mul_hi_u32 s35, s33, s24
	s_add_i32 s25, s35, s25
	s_mul_i32 s35, s8, s24
	s_ashr_i32 s19, s29, 31
	s_ashr_i32 s34, s37, 31
	s_add_i32 s25, s25, s35
	s_mul_i32 s24, s33, s24
	s_add_u32 s10, s10, s24
	s_mul_i32 s24, s18, s36
	s_addc_u32 s11, s11, s25
	s_sub_i32 s1, s1, s24
	s_xor_b32 s19, s19, s34
	s_add_i32 s24, s18, 1
	s_sub_i32 s25, s1, s36
	s_cmp_ge_u32 s1, s36
	s_cselect_b32 s18, s24, s18
	s_cselect_b32 s1, s25, s1
	s_add_i32 s24, s18, 1
	s_cmp_ge_u32 s1, s36
	s_load_dwordx2 s[38:39], s[4:5], 0xa8
	s_cselect_b32 s1, s24, s18
	s_xor_b32 s1, s1, s19
	s_sub_i32 s1, s1, s19
	s_mul_i32 s9, s1, s9
	s_ashr_i32 s19, s9, 31
	s_add_u32 s18, s10, s9
	s_waitcnt lgkmcnt(0)
	s_mul_i32 s9, s33, s39
	s_mul_hi_u32 s10, s33, s38
	s_addc_u32 s19, s11, s19
	s_add_i32 s9, s10, s9
	s_mul_i32 s8, s8, s38
	s_add_i32 s9, s9, s8
	s_mul_i32 s8, s33, s38
	s_add_u32 s8, s12, s8
	s_mul_i32 s1, s1, s27
	s_addc_u32 s9, s13, s9
	s_ashr_i32 s10, s1, 31
	v_lshrrev_b32_e32 v2, 4, v0
	v_and_b32_e32 v4, 60, v28
	s_add_u32 s12, s8, s1
	v_add_u32_e32 v2, v2, v9
	v_lshlrev_b32_e32 v3, 2, v4
	s_movk_i32 s1, 0x110
	s_addc_u32 s13, s9, s10
	v_mad_u32_u24 v29, v2, s1, v3
	v_mul_lo_u32 v10, s15, v2
	s_lshl_b32 s1, s15, 4
	v_add_u32_e32 v12, s1, v10
	v_add_u32_e32 v14, s1, v12
	;; [unrolled: 1-line block ×3, first 2 shown]
	v_mul_lo_u32 v20, s14, v2
	s_lshl_b32 s1, s14, 4
	v_add_u32_e32 v22, s1, v20
	v_add_u32_e32 v26, s1, v22
	v_mov_b32_e32 v5, 0x4400
	v_mad_u64_u32 v[6:7], s[8:9], v6, s26, v[0:1]
	v_add_u32_e32 v48, s1, v26
	v_mov_b32_e32 v46, 0
	v_ashrrev_i32_e32 v11, 31, v10
	v_ashrrev_i32_e32 v13, 31, v12
	;; [unrolled: 1-line block ×4, first 2 shown]
	v_lshl_add_u32 v34, v8, 9, v5
	v_mov_b32_e32 v5, 0x5400
	v_lshl_or_b32 v36, v2, 8, v3
	v_ashrrev_i32_e32 v21, 31, v20
	v_ashrrev_i32_e32 v23, 31, v22
	;; [unrolled: 1-line block ×4, first 2 shown]
	s_add_u32 s8, s4, 0xd0
	v_mov_b32_e32 v2, 0xfeffffff
	v_add_u32_e32 v30, 0x1100, v29
	v_add_u32_e32 v31, 0x2200, v29
	;; [unrolled: 1-line block ×3, first 2 shown]
	v_mul_u32_u24_e32 v33, 0x110, v0
	v_lshl_add_u32 v35, v8, 8, v5
	v_add_u32_e32 v37, 0x1000, v36
	v_add_u32_e32 v38, 0x2000, v36
	;; [unrolled: 1-line block ×3, first 2 shown]
	v_lshlrev_b32_e32 v40, 3, v0
	s_addc_u32 s9, s5, 0
	s_mov_b32 s1, s0
	v_lshlrev_b64 v[8:9], 2, v[10:11]
	v_lshlrev_b32_e32 v41, 2, v4
	v_lshlrev_b64 v[10:11], 2, v[12:13]
	v_lshlrev_b64 v[12:13], 2, v[14:15]
	;; [unrolled: 1-line block ×3, first 2 shown]
	s_mov_b32 s24, 0x3f200000
	s_mov_b32 s25, 0x3fb8aa3b
	;; [unrolled: 1-line block ×4, first 2 shown]
	v_mov_b32_e32 v42, 0xbd5c1c4e
	v_mov_b32_e32 v43, 0x3e088382
	;; [unrolled: 1-line block ×3, first 2 shown]
	s_brev_b32 s34, -2
	v_mbcnt_hi_u32_b32 v7, -1, v16
	v_lshlrev_b64 v[16:17], 2, v[20:21]
	v_lshlrev_b64 v[18:19], 2, v[22:23]
	v_lshlrev_b64 v[20:21], 2, v[26:27]
	v_lshlrev_b64 v[22:23], 2, v[48:49]
	v_mov_b32_e32 v45, 0x7f800000
	v_mov_b32_e32 v48, 0
	;; [unrolled: 1-line block ×7, first 2 shown]
	s_branch .LBB77_10
.LBB77_9:                               ;   in Loop: Header=BB77_10 Depth=1
	s_or_b64 exec, exec, s[10:11]
	v_cvt_f32_f16_e32 v68, v57
	v_cvt_f32_f16_e32 v69, v64
	v_bfi_b32 v67, s34, v67, v50
	v_bfi_b32 v66, s34, v66, v49
	v_mov_b32_e32 v76, v2
	v_pk_fma_f32 v[74:75], v[66:67], s[0:1], v[68:69]
	v_add_f32_e32 v49, 0x40051340, v74
	v_add_f32_e32 v50, 0x40051340, v75
	v_max3_f32 v49, v3, v49, v50
	ds_bpermute_b32 v50, v58, v49
	v_mov_b32_e32 v77, v3
	s_mul_hi_i32 s11, s6, s14
	s_mul_i32 s10, s6, s14
	s_lshl_b64 s[10:11], s[10:11], 2
	s_waitcnt lgkmcnt(0)
	v_max_f32_e32 v50, v50, v50
	v_max_f32_e32 v49, v49, v50
	ds_bpermute_b32 v50, v59, v49
	s_add_u32 s10, s12, s10
	s_addc_u32 s11, s13, s11
	s_waitcnt lgkmcnt(0)
	s_barrier
	v_max_f32_e32 v50, v50, v50
	v_max_f32_e32 v49, v49, v50
	ds_bpermute_b32 v50, v61, v49
	s_waitcnt lgkmcnt(0)
	v_max_f32_e32 v2, v50, v50
	v_max_f32_e32 v2, v49, v2
	ds_bpermute_b32 v3, v62, v2
	v_max_f32_e32 v49, v65, v65
	v_max_f32_e32 v50, v63, v63
	s_waitcnt lgkmcnt(0)
	v_max_f32_e32 v3, v3, v3
	v_max_f32_e32 v3, v2, v3
	ds_bpermute_b32 v57, v60, v3
	v_max_f32_e32 v2, v50, v49
	s_waitcnt lgkmcnt(0)
	v_max_f32_e32 v49, v57, v57
	v_max_f32_e32 v3, v3, v49
	v_pk_add_f32 v[26:27], v[26:27], v[2:3] op_sel_hi:[1,0] neg_lo:[0,1] neg_hi:[0,1]
	v_mul_f32_e32 v49, 0x3fb8aa3b, v27
	v_fma_f32 v57, v27, s25, -v49
	v_rndne_f32_e32 v58, v49
	v_fmac_f32_e32 v57, 0x32a5705f, v27
	v_sub_f32_e32 v49, v49, v58
	v_add_f32_e32 v49, v49, v57
	v_cvt_i32_f32_e32 v58, v58
	v_exp_f32_e32 v49, v49
	v_mul_f32_e32 v50, 0x3fb8aa3b, v26
	v_fma_f32 v59, v26, s25, -v50
	v_rndne_f32_e32 v60, v50
	v_fmac_f32_e32 v59, 0x32a5705f, v26
	v_sub_f32_e32 v50, v50, v60
	v_add_f32_e32 v50, v50, v59
	v_ldexp_f32 v49, v49, v58
	v_mov_b32_e32 v58, s11
	v_add_co_u32_e32 v59, vcc, s10, v16
	v_addc_co_u32_e32 v58, vcc, v58, v17, vcc
	v_add_co_u32_e32 v66, vcc, v59, v41
	v_addc_co_u32_e32 v67, vcc, 0, v58, vcc
	v_mov_b32_e32 v58, s11
	v_add_co_u32_e32 v59, vcc, s10, v18
	v_addc_co_u32_e32 v58, vcc, v58, v19, vcc
	v_add_co_u32_e32 v68, vcc, v59, v41
	v_addc_co_u32_e32 v69, vcc, 0, v58, vcc
	v_cvt_i32_f32_e32 v57, v60
	global_load_dwordx4 v[58:61], v[66:67], off
	global_load_dwordx4 v[62:65], v[68:69], off
	v_mov_b32_e32 v66, s11
	v_add_co_u32_e32 v67, vcc, s10, v20
	v_addc_co_u32_e32 v66, vcc, v66, v21, vcc
	v_add_co_u32_e32 v78, vcc, v67, v41
	v_addc_co_u32_e32 v79, vcc, 0, v66, vcc
	v_mov_b32_e32 v66, s11
	v_add_co_u32_e32 v67, vcc, s10, v22
	v_addc_co_u32_e32 v66, vcc, v66, v23, vcc
	v_add_co_u32_e32 v80, vcc, v67, v41
	v_addc_co_u32_e32 v81, vcc, 0, v66, vcc
	global_load_dwordx4 v[66:69], v[78:79], off
	global_load_dwordx4 v[70:73], v[80:81], off
	v_exp_f32_e32 v50, v50
	v_cmp_ngt_f32_e32 vcc, s26, v27
	v_cndmask_b32_e32 v49, 0, v49, vcc
	v_cmp_nlt_f32_e32 vcc, s27, v27
	v_cndmask_b32_e32 v78, v45, v49, vcc
	v_ldexp_f32 v27, v50, v57
	v_cmp_ngt_f32_e32 vcc, s26, v26
	v_mov_b32_e32 v50, v3
	v_cndmask_b32_e32 v27, 0, v27, vcc
	v_cmp_nlt_f32_e32 vcc, s27, v26
	v_pk_add_f32 v[74:75], v[74:75], v[50:51] op_sel_hi:[1,0] neg_lo:[0,1] neg_hi:[0,1]
	v_cndmask_b32_e32 v26, v45, v27, vcc
	v_mul_f32_e32 v27, 0x3fb8aa3b, v75
	v_fma_f32 v49, v75, s25, -v27
	v_rndne_f32_e32 v50, v27
	v_fmac_f32_e32 v49, 0x32a5705f, v75
	v_sub_f32_e32 v27, v27, v50
	v_add_f32_e32 v27, v27, v49
	v_exp_f32_e32 v27, v27
	v_cvt_i32_f32_e32 v49, v50
	v_cmp_ngt_f32_e32 vcc, s26, v75
	v_pk_add_f32 v[76:77], v[76:77], v[2:3] neg_lo:[0,1] neg_hi:[0,1]
	v_cvt_f16_f32_e32 v50, v26
	v_ldexp_f32 v27, v27, v49
	v_mul_f32_e32 v49, 0x3fb8aa3b, v74
	v_fma_f32 v79, v74, s25, -v49
	v_rndne_f32_e32 v80, v49
	v_fmac_f32_e32 v79, 0x32a5705f, v74
	v_sub_f32_e32 v49, v49, v80
	v_add_f32_e32 v49, v49, v79
	v_exp_f32_e32 v49, v49
	v_cvt_i32_f32_e32 v80, v80
	v_cndmask_b32_e32 v27, 0, v27, vcc
	v_cmp_nlt_f32_e32 vcc, s27, v75
	v_cndmask_b32_e32 v79, v45, v27, vcc
	v_ldexp_f32 v27, v49, v80
	v_mul_f32_e32 v49, 0x3fb8aa3b, v77
	v_fma_f32 v75, v77, s25, -v49
	v_rndne_f32_e32 v80, v49
	v_fmac_f32_e32 v75, 0x32a5705f, v77
	v_sub_f32_e32 v49, v49, v80
	v_add_f32_e32 v49, v49, v75
	v_exp_f32_e32 v49, v49
	v_cvt_i32_f32_e32 v80, v80
	v_cmp_ngt_f32_e32 vcc, s26, v74
	v_cndmask_b32_e32 v27, 0, v27, vcc
	v_cmp_nlt_f32_e32 vcc, s27, v74
	v_cndmask_b32_e32 v27, v45, v27, vcc
	v_pk_add_f32 v[74:75], v[26:27], v[78:79]
	v_ldexp_f32 v26, v49, v80
	v_mul_f32_e32 v49, 0x3fb8aa3b, v76
	v_cvt_f16_f32_e32 v57, v78
	v_fma_f32 v78, v76, s25, -v49
	v_rndne_f32_e32 v80, v49
	v_fmac_f32_e32 v78, 0x32a5705f, v76
	v_sub_f32_e32 v49, v49, v80
	v_add_f32_e32 v49, v49, v78
	v_exp_f32_e32 v49, v49
	v_cvt_i32_f32_e32 v78, v80
	v_cmp_ngt_f32_e32 vcc, s26, v77
	v_cndmask_b32_e32 v26, 0, v26, vcc
	v_cmp_nlt_f32_e32 vcc, s27, v77
	v_cndmask_b32_e32 v77, v45, v26, vcc
	v_ldexp_f32 v26, v49, v78
	v_cvt_f16_f32_e32 v27, v27
	v_cvt_f16_f32_e32 v49, v79
	v_cmp_ngt_f32_e32 vcc, s26, v76
	v_cndmask_b32_e32 v26, 0, v26, vcc
	v_cmp_nlt_f32_e32 vcc, s27, v76
	v_cndmask_b32_e32 v76, v45, v26, vcc
	v_pk_fma_f32 v[4:5], v[4:5], v[76:77], v[74:75]
	v_add_u32_e32 v74, v35, v28
	v_pack_b32_f16 v27, v50, v27
	v_pack_b32_f16 v49, v57, v49
	ds_write2_b32 v74, v27, v49 offset1:32
	s_waitcnt vmcnt(3)
	ds_write_b128 v36, v[58:61]
	s_waitcnt vmcnt(2)
	ds_write_b128 v37, v[62:65]
	s_waitcnt vmcnt(1)
	ds_write_b128 v38, v[66:69]
	s_waitcnt vmcnt(0)
	ds_write_b128 v39, v[70:73]
	s_waitcnt lgkmcnt(0)
	s_barrier
	ds_read2_b64 v[58:61], v40 offset1:32
	ds_read_b128 v[62:65], v35
	v_cvt_f16_f32_e32 v78, v77
	v_cvt_f16_f32_e32 v26, v76
	ds_read_b128 v[66:69], v35 offset:16
	ds_read_b128 v[70:73], v35 offset:32
	ds_read_b128 v[74:77], v35 offset:48
	v_pk_mul_f16 v27, v78, v46 op_sel_hi:[0,1]
	s_waitcnt lgkmcnt(3)
	v_pk_mul_f16 v46, v58, v62 op_sel_hi:[1,0]
	v_pk_fma_f16 v50, v26, v48, v46 op_sel_hi:[0,1,1]
	v_pk_mul_f16 v46, v58, v62 op_sel:[0,1]
	v_pk_fma_f16 v57, v78, v47, v46 op_sel_hi:[0,1,1]
	v_pk_mul_f16 v46, v59, v62 op_sel_hi:[1,0]
	v_pk_fma_f16 v24, v26, v24, v46 op_sel_hi:[0,1,1]
	ds_read2_b64 v[46:49], v40 offset0:64 offset1:96
	v_pk_fma_f16 v26, v59, v62, v27 op_sel:[0,1,0]
	v_pk_fma_f16 v27, v60, v63, v50 op_sel_hi:[1,0,1]
	v_pk_fma_f16 v50, v60, v63, v57 op_sel:[0,1,0]
	v_pk_fma_f16 v24, v61, v63, v24 op_sel_hi:[1,0,1]
	v_pk_fma_f16 v26, v61, v63, v26 op_sel:[0,1,0]
	ds_read2_b64 v[58:61], v40 offset0:128 offset1:160
	s_waitcnt lgkmcnt(1)
	v_pk_fma_f16 v27, v46, v64, v27 op_sel_hi:[1,0,1]
	v_pk_fma_f16 v46, v46, v64, v50 op_sel:[0,1,0]
	v_pk_fma_f16 v24, v47, v64, v24 op_sel_hi:[1,0,1]
	v_pk_fma_f16 v26, v47, v64, v26 op_sel:[0,1,0]
	v_pk_fma_f16 v46, v48, v65, v46 op_sel:[0,1,0]
	v_pk_fma_f16 v27, v48, v65, v27 op_sel_hi:[1,0,1]
	v_pk_fma_f16 v24, v49, v65, v24 op_sel_hi:[1,0,1]
	v_pk_fma_f16 v26, v49, v65, v26 op_sel:[0,1,0]
	s_waitcnt lgkmcnt(0)
	v_pk_fma_f16 v50, v58, v66, v46 op_sel:[0,1,0]
	ds_read2_b64 v[46:49], v40 offset0:192 offset1:224
	v_pk_fma_f16 v27, v58, v66, v27 op_sel_hi:[1,0,1]
	v_pk_fma_f16 v27, v60, v67, v27 op_sel_hi:[1,0,1]
	v_pk_fma_f16 v50, v60, v67, v50 op_sel:[0,1,0]
	v_pk_fma_f16 v24, v59, v66, v24 op_sel_hi:[1,0,1]
	v_pk_fma_f16 v26, v59, v66, v26 op_sel:[0,1,0]
	s_waitcnt lgkmcnt(0)
	v_pk_fma_f16 v27, v46, v68, v27 op_sel_hi:[1,0,1]
	v_pk_fma_f16 v46, v46, v68, v50 op_sel:[0,1,0]
	v_add_u32_e32 v50, 0x800, v40
	v_pk_fma_f16 v24, v61, v67, v24 op_sel_hi:[1,0,1]
	v_pk_fma_f16 v26, v61, v67, v26 op_sel:[0,1,0]
	ds_read2_b64 v[58:61], v50 offset1:32
	v_pk_fma_f16 v24, v47, v68, v24 op_sel_hi:[1,0,1]
	v_pk_fma_f16 v26, v47, v68, v26 op_sel:[0,1,0]
	v_pk_fma_f16 v46, v48, v69, v46 op_sel:[0,1,0]
	v_pk_fma_f16 v27, v48, v69, v27 op_sel_hi:[1,0,1]
	v_pk_fma_f16 v24, v49, v69, v24 op_sel_hi:[1,0,1]
	v_pk_fma_f16 v26, v49, v69, v26 op_sel:[0,1,0]
	s_waitcnt lgkmcnt(0)
	v_pk_fma_f16 v57, v58, v70, v46 op_sel:[0,1,0]
	ds_read2_b64 v[46:49], v50 offset0:64 offset1:96
	v_pk_fma_f16 v27, v58, v70, v27 op_sel_hi:[1,0,1]
	v_pk_fma_f16 v24, v59, v70, v24 op_sel_hi:[1,0,1]
	v_pk_fma_f16 v26, v59, v70, v26 op_sel:[0,1,0]
	v_pk_fma_f16 v27, v60, v71, v27 op_sel_hi:[1,0,1]
	v_pk_fma_f16 v57, v60, v71, v57 op_sel:[0,1,0]
	;; [unrolled: 2-line block ×3, first 2 shown]
	ds_read2_b64 v[58:61], v50 offset0:128 offset1:160
	s_waitcnt lgkmcnt(1)
	v_pk_fma_f16 v27, v46, v72, v27 op_sel_hi:[1,0,1]
	v_pk_fma_f16 v46, v46, v72, v57 op_sel:[0,1,0]
	v_pk_fma_f16 v24, v47, v72, v24 op_sel_hi:[1,0,1]
	v_pk_fma_f16 v26, v47, v72, v26 op_sel:[0,1,0]
	v_pk_fma_f16 v46, v48, v73, v46 op_sel:[0,1,0]
	v_pk_fma_f16 v27, v48, v73, v27 op_sel_hi:[1,0,1]
	v_pk_fma_f16 v24, v49, v73, v24 op_sel_hi:[1,0,1]
	v_pk_fma_f16 v26, v49, v73, v26 op_sel:[0,1,0]
	s_waitcnt lgkmcnt(0)
	v_pk_fma_f16 v57, v58, v74, v46 op_sel:[0,1,0]
	ds_read2_b64 v[46:49], v50 offset0:192 offset1:224
	v_pk_fma_f16 v27, v58, v74, v27 op_sel_hi:[1,0,1]
	v_pk_fma_f16 v27, v60, v75, v27 op_sel_hi:[1,0,1]
	v_pk_fma_f16 v50, v60, v75, v57 op_sel:[0,1,0]
	v_pk_fma_f16 v24, v59, v74, v24 op_sel_hi:[1,0,1]
	v_pk_fma_f16 v26, v59, v74, v26 op_sel:[0,1,0]
	s_waitcnt lgkmcnt(0)
	v_pk_fma_f16 v27, v46, v76, v27 op_sel_hi:[1,0,1]
	v_pk_fma_f16 v46, v46, v76, v50 op_sel:[0,1,0]
	v_add_u32_e32 v50, 0x1000, v40
	v_pk_fma_f16 v24, v61, v75, v24 op_sel_hi:[1,0,1]
	v_pk_fma_f16 v26, v61, v75, v26 op_sel:[0,1,0]
	ds_read2_b64 v[58:61], v50 offset1:32
	ds_read_b128 v[62:65], v35 offset:64
	ds_read2_b64 v[66:69], v50 offset0:64 offset1:96
	v_pk_fma_f16 v24, v47, v76, v24 op_sel_hi:[1,0,1]
	v_pk_fma_f16 v26, v47, v76, v26 op_sel:[0,1,0]
	v_pk_fma_f16 v27, v48, v77, v27 op_sel_hi:[1,0,1]
	v_pk_fma_f16 v57, v48, v77, v46 op_sel:[0,1,0]
	;; [unrolled: 2-line block ×3, first 2 shown]
	s_waitcnt lgkmcnt(1)
	v_pk_fma_f16 v27, v58, v62, v27 op_sel_hi:[1,0,1]
	v_pk_fma_f16 v57, v58, v62, v57 op_sel:[0,1,0]
	v_pk_fma_f16 v24, v59, v62, v24 op_sel_hi:[1,0,1]
	v_pk_fma_f16 v26, v59, v62, v26 op_sel:[0,1,0]
	ds_read_b128 v[46:49], v35 offset:80
	v_pk_fma_f16 v27, v60, v63, v27 op_sel_hi:[1,0,1]
	v_pk_fma_f16 v57, v60, v63, v57 op_sel:[0,1,0]
	v_pk_fma_f16 v24, v61, v63, v24 op_sel_hi:[1,0,1]
	v_pk_fma_f16 v26, v61, v63, v26 op_sel:[0,1,0]
	ds_read2_b64 v[58:61], v50 offset0:128 offset1:160
	s_waitcnt lgkmcnt(2)
	v_pk_fma_f16 v27, v66, v64, v27 op_sel_hi:[1,0,1]
	v_pk_fma_f16 v57, v66, v64, v57 op_sel:[0,1,0]
	v_pk_fma_f16 v24, v67, v64, v24 op_sel_hi:[1,0,1]
	v_pk_fma_f16 v26, v67, v64, v26 op_sel:[0,1,0]
	v_pk_fma_f16 v27, v68, v65, v27 op_sel_hi:[1,0,1]
	v_pk_fma_f16 v57, v68, v65, v57 op_sel:[0,1,0]
	v_pk_fma_f16 v24, v69, v65, v24 op_sel_hi:[1,0,1]
	v_pk_fma_f16 v26, v69, v65, v26 op_sel:[0,1,0]
	ds_read2_b64 v[62:65], v50 offset0:192 offset1:224
	s_waitcnt lgkmcnt(1)
	v_pk_fma_f16 v27, v58, v46, v27 op_sel_hi:[1,0,1]
	v_pk_fma_f16 v57, v58, v46, v57 op_sel:[0,1,0]
	v_pk_fma_f16 v24, v59, v46, v24 op_sel_hi:[1,0,1]
	v_pk_fma_f16 v26, v59, v46, v26 op_sel:[0,1,0]
	v_add_u32_e32 v50, 0x1800, v40
	v_pk_fma_f16 v27, v60, v47, v27 op_sel_hi:[1,0,1]
	v_pk_fma_f16 v46, v60, v47, v57 op_sel:[0,1,0]
	v_pk_fma_f16 v24, v61, v47, v24 op_sel_hi:[1,0,1]
	v_pk_fma_f16 v26, v61, v47, v26 op_sel:[0,1,0]
	ds_read2_b64 v[58:61], v50 offset1:32
	ds_read_b128 v[66:69], v35 offset:96
	s_waitcnt lgkmcnt(2)
	v_pk_fma_f16 v27, v62, v48, v27 op_sel_hi:[1,0,1]
	v_pk_fma_f16 v46, v62, v48, v46 op_sel:[0,1,0]
	v_pk_fma_f16 v24, v63, v48, v24 op_sel_hi:[1,0,1]
	v_pk_fma_f16 v26, v63, v48, v26 op_sel:[0,1,0]
	v_pk_fma_f16 v27, v64, v49, v27 op_sel_hi:[1,0,1]
	v_pk_fma_f16 v57, v64, v49, v46 op_sel:[0,1,0]
	v_pk_fma_f16 v24, v65, v49, v24 op_sel_hi:[1,0,1]
	v_pk_fma_f16 v26, v65, v49, v26 op_sel:[0,1,0]
	ds_read2_b64 v[62:65], v50 offset0:64 offset1:96
	s_waitcnt lgkmcnt(1)
	v_pk_fma_f16 v27, v58, v66, v27 op_sel_hi:[1,0,1]
	v_pk_fma_f16 v57, v58, v66, v57 op_sel:[0,1,0]
	v_pk_fma_f16 v24, v59, v66, v24 op_sel_hi:[1,0,1]
	v_pk_fma_f16 v26, v59, v66, v26 op_sel:[0,1,0]
	ds_read_b128 v[46:49], v35 offset:112
	v_pk_fma_f16 v27, v60, v67, v27 op_sel_hi:[1,0,1]
	v_pk_fma_f16 v57, v60, v67, v57 op_sel:[0,1,0]
	v_pk_fma_f16 v24, v61, v67, v24 op_sel_hi:[1,0,1]
	v_pk_fma_f16 v26, v61, v67, v26 op_sel:[0,1,0]
	ds_read2_b64 v[58:61], v50 offset0:128 offset1:160
	s_waitcnt lgkmcnt(2)
	v_pk_fma_f16 v27, v62, v68, v27 op_sel_hi:[1,0,1]
	v_pk_fma_f16 v57, v62, v68, v57 op_sel:[0,1,0]
	v_pk_fma_f16 v24, v63, v68, v24 op_sel_hi:[1,0,1]
	v_pk_fma_f16 v26, v63, v68, v26 op_sel:[0,1,0]
	v_pk_fma_f16 v27, v64, v69, v27 op_sel_hi:[1,0,1]
	v_pk_fma_f16 v57, v64, v69, v57 op_sel:[0,1,0]
	v_pk_fma_f16 v24, v65, v69, v24 op_sel_hi:[1,0,1]
	v_pk_fma_f16 v26, v65, v69, v26 op_sel:[0,1,0]
	ds_read2_b64 v[62:65], v50 offset0:192 offset1:224
	s_waitcnt lgkmcnt(1)
	v_pk_fma_f16 v27, v58, v46, v27 op_sel_hi:[1,0,1]
	v_pk_fma_f16 v57, v58, v46, v57 op_sel:[0,1,0]
	v_pk_fma_f16 v24, v59, v46, v24 op_sel_hi:[1,0,1]
	v_pk_fma_f16 v26, v59, v46, v26 op_sel:[0,1,0]
	v_add_u32_e32 v50, 0x2000, v40
	v_pk_fma_f16 v27, v60, v47, v27 op_sel_hi:[1,0,1]
	v_pk_fma_f16 v46, v60, v47, v57 op_sel:[0,1,0]
	v_pk_fma_f16 v24, v61, v47, v24 op_sel_hi:[1,0,1]
	v_pk_fma_f16 v26, v61, v47, v26 op_sel:[0,1,0]
	ds_read2_b64 v[58:61], v50 offset1:32
	ds_read_b128 v[66:69], v35 offset:128
	s_waitcnt lgkmcnt(2)
	v_pk_fma_f16 v27, v62, v48, v27 op_sel_hi:[1,0,1]
	v_pk_fma_f16 v46, v62, v48, v46 op_sel:[0,1,0]
	v_pk_fma_f16 v24, v63, v48, v24 op_sel_hi:[1,0,1]
	v_pk_fma_f16 v26, v63, v48, v26 op_sel:[0,1,0]
	v_pk_fma_f16 v27, v64, v49, v27 op_sel_hi:[1,0,1]
	v_pk_fma_f16 v57, v64, v49, v46 op_sel:[0,1,0]
	v_pk_fma_f16 v24, v65, v49, v24 op_sel_hi:[1,0,1]
	v_pk_fma_f16 v26, v65, v49, v26 op_sel:[0,1,0]
	ds_read2_b64 v[62:65], v50 offset0:64 offset1:96
	s_waitcnt lgkmcnt(1)
	v_pk_fma_f16 v27, v58, v66, v27 op_sel_hi:[1,0,1]
	v_pk_fma_f16 v57, v58, v66, v57 op_sel:[0,1,0]
	v_pk_fma_f16 v24, v59, v66, v24 op_sel_hi:[1,0,1]
	v_pk_fma_f16 v26, v59, v66, v26 op_sel:[0,1,0]
	ds_read_b128 v[46:49], v35 offset:144
	v_pk_fma_f16 v27, v60, v67, v27 op_sel_hi:[1,0,1]
	v_pk_fma_f16 v57, v60, v67, v57 op_sel:[0,1,0]
	v_pk_fma_f16 v24, v61, v67, v24 op_sel_hi:[1,0,1]
	v_pk_fma_f16 v26, v61, v67, v26 op_sel:[0,1,0]
	ds_read2_b64 v[58:61], v50 offset0:128 offset1:160
	s_waitcnt lgkmcnt(2)
	v_pk_fma_f16 v27, v62, v68, v27 op_sel_hi:[1,0,1]
	v_pk_fma_f16 v57, v62, v68, v57 op_sel:[0,1,0]
	v_pk_fma_f16 v24, v63, v68, v24 op_sel_hi:[1,0,1]
	v_pk_fma_f16 v26, v63, v68, v26 op_sel:[0,1,0]
	v_pk_fma_f16 v27, v64, v69, v27 op_sel_hi:[1,0,1]
	v_pk_fma_f16 v57, v64, v69, v57 op_sel:[0,1,0]
	v_pk_fma_f16 v24, v65, v69, v24 op_sel_hi:[1,0,1]
	v_pk_fma_f16 v26, v65, v69, v26 op_sel:[0,1,0]
	ds_read2_b64 v[62:65], v50 offset0:192 offset1:224
	s_waitcnt lgkmcnt(1)
	v_pk_fma_f16 v27, v58, v46, v27 op_sel_hi:[1,0,1]
	v_pk_fma_f16 v57, v58, v46, v57 op_sel:[0,1,0]
	v_pk_fma_f16 v24, v59, v46, v24 op_sel_hi:[1,0,1]
	v_pk_fma_f16 v26, v59, v46, v26 op_sel:[0,1,0]
	v_add_u32_e32 v50, 0x2800, v40
	v_pk_fma_f16 v27, v60, v47, v27 op_sel_hi:[1,0,1]
	v_pk_fma_f16 v46, v60, v47, v57 op_sel:[0,1,0]
	v_pk_fma_f16 v24, v61, v47, v24 op_sel_hi:[1,0,1]
	v_pk_fma_f16 v26, v61, v47, v26 op_sel:[0,1,0]
	ds_read2_b64 v[58:61], v50 offset1:32
	ds_read_b128 v[66:69], v35 offset:160
	s_waitcnt lgkmcnt(2)
	v_pk_fma_f16 v27, v62, v48, v27 op_sel_hi:[1,0,1]
	v_pk_fma_f16 v46, v62, v48, v46 op_sel:[0,1,0]
	v_pk_fma_f16 v24, v63, v48, v24 op_sel_hi:[1,0,1]
	v_pk_fma_f16 v26, v63, v48, v26 op_sel:[0,1,0]
	v_pk_fma_f16 v27, v64, v49, v27 op_sel_hi:[1,0,1]
	v_pk_fma_f16 v57, v64, v49, v46 op_sel:[0,1,0]
	v_pk_fma_f16 v24, v65, v49, v24 op_sel_hi:[1,0,1]
	v_pk_fma_f16 v26, v65, v49, v26 op_sel:[0,1,0]
	ds_read2_b64 v[62:65], v50 offset0:64 offset1:96
	s_waitcnt lgkmcnt(1)
	v_pk_fma_f16 v27, v58, v66, v27 op_sel_hi:[1,0,1]
	v_pk_fma_f16 v57, v58, v66, v57 op_sel:[0,1,0]
	v_pk_fma_f16 v24, v59, v66, v24 op_sel_hi:[1,0,1]
	v_pk_fma_f16 v26, v59, v66, v26 op_sel:[0,1,0]
	ds_read_b128 v[46:49], v35 offset:176
	v_pk_fma_f16 v27, v60, v67, v27 op_sel_hi:[1,0,1]
	v_pk_fma_f16 v57, v60, v67, v57 op_sel:[0,1,0]
	v_pk_fma_f16 v24, v61, v67, v24 op_sel_hi:[1,0,1]
	v_pk_fma_f16 v26, v61, v67, v26 op_sel:[0,1,0]
	ds_read2_b64 v[58:61], v50 offset0:128 offset1:160
	s_waitcnt lgkmcnt(2)
	v_pk_fma_f16 v27, v62, v68, v27 op_sel_hi:[1,0,1]
	v_pk_fma_f16 v57, v62, v68, v57 op_sel:[0,1,0]
	v_pk_fma_f16 v24, v63, v68, v24 op_sel_hi:[1,0,1]
	v_pk_fma_f16 v26, v63, v68, v26 op_sel:[0,1,0]
	v_pk_fma_f16 v27, v64, v69, v27 op_sel_hi:[1,0,1]
	v_pk_fma_f16 v57, v64, v69, v57 op_sel:[0,1,0]
	v_pk_fma_f16 v24, v65, v69, v24 op_sel_hi:[1,0,1]
	v_pk_fma_f16 v26, v65, v69, v26 op_sel:[0,1,0]
	ds_read2_b64 v[62:65], v50 offset0:192 offset1:224
	s_waitcnt lgkmcnt(1)
	v_pk_fma_f16 v27, v58, v46, v27 op_sel_hi:[1,0,1]
	v_pk_fma_f16 v57, v58, v46, v57 op_sel:[0,1,0]
	v_pk_fma_f16 v24, v59, v46, v24 op_sel_hi:[1,0,1]
	v_pk_fma_f16 v26, v59, v46, v26 op_sel:[0,1,0]
	v_add_u32_e32 v50, 0x3000, v40
	v_pk_fma_f16 v27, v60, v47, v27 op_sel_hi:[1,0,1]
	v_pk_fma_f16 v46, v60, v47, v57 op_sel:[0,1,0]
	v_pk_fma_f16 v24, v61, v47, v24 op_sel_hi:[1,0,1]
	v_pk_fma_f16 v26, v61, v47, v26 op_sel:[0,1,0]
	ds_read2_b64 v[58:61], v50 offset1:32
	ds_read_b128 v[66:69], v35 offset:192
	s_waitcnt lgkmcnt(2)
	v_pk_fma_f16 v27, v62, v48, v27 op_sel_hi:[1,0,1]
	v_pk_fma_f16 v46, v62, v48, v46 op_sel:[0,1,0]
	v_pk_fma_f16 v24, v63, v48, v24 op_sel_hi:[1,0,1]
	v_pk_fma_f16 v26, v63, v48, v26 op_sel:[0,1,0]
	v_pk_fma_f16 v27, v64, v49, v27 op_sel_hi:[1,0,1]
	v_pk_fma_f16 v57, v64, v49, v46 op_sel:[0,1,0]
	v_pk_fma_f16 v24, v65, v49, v24 op_sel_hi:[1,0,1]
	v_pk_fma_f16 v26, v65, v49, v26 op_sel:[0,1,0]
	ds_read2_b64 v[62:65], v50 offset0:64 offset1:96
	s_waitcnt lgkmcnt(1)
	v_pk_fma_f16 v27, v58, v66, v27 op_sel_hi:[1,0,1]
	v_pk_fma_f16 v57, v58, v66, v57 op_sel:[0,1,0]
	v_pk_fma_f16 v24, v59, v66, v24 op_sel_hi:[1,0,1]
	v_pk_fma_f16 v26, v59, v66, v26 op_sel:[0,1,0]
	ds_read_b128 v[46:49], v35 offset:208
	v_pk_fma_f16 v27, v60, v67, v27 op_sel_hi:[1,0,1]
	v_pk_fma_f16 v57, v60, v67, v57 op_sel:[0,1,0]
	v_pk_fma_f16 v24, v61, v67, v24 op_sel_hi:[1,0,1]
	v_pk_fma_f16 v26, v61, v67, v26 op_sel:[0,1,0]
	ds_read2_b64 v[58:61], v50 offset0:128 offset1:160
	s_waitcnt lgkmcnt(2)
	v_pk_fma_f16 v27, v62, v68, v27 op_sel_hi:[1,0,1]
	v_pk_fma_f16 v57, v62, v68, v57 op_sel:[0,1,0]
	v_pk_fma_f16 v24, v63, v68, v24 op_sel_hi:[1,0,1]
	v_pk_fma_f16 v26, v63, v68, v26 op_sel:[0,1,0]
	v_pk_fma_f16 v27, v64, v69, v27 op_sel_hi:[1,0,1]
	v_pk_fma_f16 v57, v64, v69, v57 op_sel:[0,1,0]
	v_pk_fma_f16 v24, v65, v69, v24 op_sel_hi:[1,0,1]
	v_pk_fma_f16 v26, v65, v69, v26 op_sel:[0,1,0]
	ds_read2_b64 v[62:65], v50 offset0:192 offset1:224
	s_waitcnt lgkmcnt(1)
	v_pk_fma_f16 v27, v58, v46, v27 op_sel_hi:[1,0,1]
	v_pk_fma_f16 v57, v58, v46, v57 op_sel:[0,1,0]
	v_pk_fma_f16 v24, v59, v46, v24 op_sel_hi:[1,0,1]
	v_pk_fma_f16 v26, v59, v46, v26 op_sel:[0,1,0]
	v_add_u32_e32 v50, 0x3800, v40
	v_pk_fma_f16 v27, v60, v47, v27 op_sel_hi:[1,0,1]
	v_pk_fma_f16 v46, v60, v47, v57 op_sel:[0,1,0]
	v_pk_fma_f16 v24, v61, v47, v24 op_sel_hi:[1,0,1]
	v_pk_fma_f16 v26, v61, v47, v26 op_sel:[0,1,0]
	ds_read2_b64 v[58:61], v50 offset1:32
	ds_read_b128 v[66:69], v35 offset:224
	s_waitcnt lgkmcnt(2)
	v_pk_fma_f16 v27, v62, v48, v27 op_sel_hi:[1,0,1]
	v_pk_fma_f16 v46, v62, v48, v46 op_sel:[0,1,0]
	v_pk_fma_f16 v24, v63, v48, v24 op_sel_hi:[1,0,1]
	v_pk_fma_f16 v26, v63, v48, v26 op_sel:[0,1,0]
	v_pk_fma_f16 v27, v64, v49, v27 op_sel_hi:[1,0,1]
	v_pk_fma_f16 v57, v64, v49, v46 op_sel:[0,1,0]
	v_pk_fma_f16 v24, v65, v49, v24 op_sel_hi:[1,0,1]
	v_pk_fma_f16 v26, v65, v49, v26 op_sel:[0,1,0]
	ds_read2_b64 v[62:65], v50 offset0:64 offset1:96
	s_waitcnt lgkmcnt(1)
	v_pk_fma_f16 v27, v58, v66, v27 op_sel_hi:[1,0,1]
	v_pk_fma_f16 v57, v58, v66, v57 op_sel:[0,1,0]
	v_pk_fma_f16 v24, v59, v66, v24 op_sel_hi:[1,0,1]
	v_pk_fma_f16 v26, v59, v66, v26 op_sel:[0,1,0]
	v_pk_fma_f16 v27, v60, v67, v27 op_sel_hi:[1,0,1]
	v_pk_fma_f16 v57, v60, v67, v57 op_sel:[0,1,0]
	v_pk_fma_f16 v24, v61, v67, v24 op_sel_hi:[1,0,1]
	v_pk_fma_f16 v26, v61, v67, v26 op_sel:[0,1,0]
	ds_read_b128 v[46:49], v35 offset:240
	s_waitcnt lgkmcnt(1)
	v_pk_fma_f16 v27, v62, v68, v27 op_sel_hi:[1,0,1]
	v_pk_fma_f16 v57, v62, v68, v57 op_sel:[0,1,0]
	v_pk_fma_f16 v24, v63, v68, v24 op_sel_hi:[1,0,1]
	v_pk_fma_f16 v26, v63, v68, v26 op_sel:[0,1,0]
	ds_read2_b64 v[58:61], v50 offset0:128 offset1:160
	v_pk_fma_f16 v27, v64, v69, v27 op_sel_hi:[1,0,1]
	v_pk_fma_f16 v57, v64, v69, v57 op_sel:[0,1,0]
	v_pk_fma_f16 v24, v65, v69, v24 op_sel_hi:[1,0,1]
	v_pk_fma_f16 v26, v65, v69, v26 op_sel:[0,1,0]
	ds_read2_b64 v[62:65], v50 offset0:192 offset1:224
	s_waitcnt lgkmcnt(0)
	s_barrier
	s_load_dword s10, s[8:9], 0x4
	v_pk_fma_f16 v27, v58, v46, v27 op_sel_hi:[1,0,1]
	v_pk_fma_f16 v57, v58, v46, v57 op_sel:[0,1,0]
	v_pk_fma_f16 v24, v59, v46, v24 op_sel_hi:[1,0,1]
	v_pk_fma_f16 v26, v59, v46, v26 op_sel:[0,1,0]
	;; [unrolled: 2-line block ×4, first 2 shown]
	s_waitcnt lgkmcnt(0)
	s_lshl_b32 s10, s10, 6
	v_pk_fma_f16 v27, v62, v48, v27 op_sel_hi:[1,0,1]
	v_pk_fma_f16 v46, v62, v48, v46 op_sel:[0,1,0]
	v_pk_fma_f16 v24, v63, v48, v24 op_sel_hi:[1,0,1]
	v_pk_fma_f16 v26, v63, v48, v26 op_sel:[0,1,0]
	s_add_i32 s6, s10, s6
	v_pk_fma_f16 v48, v64, v49, v27 op_sel_hi:[1,0,1]
	v_pk_fma_f16 v47, v64, v49, v46 op_sel:[0,1,0]
	v_pk_fma_f16 v24, v65, v49, v24 op_sel_hi:[1,0,1]
	s_cmp_ge_i32 s6, s28
	v_pk_fma_f16 v46, v65, v49, v26 op_sel:[0,1,0]
	s_cbranch_scc1 .LBB77_26
.LBB77_10:                              ; =>This Inner Loop Header: Depth=1
	s_mul_hi_i32 s11, s6, s15
	s_mul_i32 s10, s6, s15
	s_lshl_b64 s[10:11], s[10:11], 2
	s_add_u32 s10, s18, s10
	s_addc_u32 s11, s19, s11
	v_mov_b32_e32 v26, s11
	v_add_co_u32_e32 v27, vcc, s10, v8
	v_addc_co_u32_e32 v49, vcc, v26, v9, vcc
	v_add_co_u32_e32 v26, vcc, v27, v41
	v_addc_co_u32_e32 v27, vcc, 0, v49, vcc
	v_mov_b32_e32 v49, s11
	v_add_co_u32_e32 v50, vcc, s10, v10
	v_addc_co_u32_e32 v49, vcc, v49, v11, vcc
	v_add_co_u32_e32 v50, vcc, v50, v41
	v_addc_co_u32_e32 v51, vcc, 0, v49, vcc
	global_load_dwordx4 v[52:55], v[26:27], off
	global_load_dwordx4 v[56:59], v[50:51], off
	v_mov_b32_e32 v26, s11
	v_add_co_u32_e32 v27, vcc, s10, v12
	v_addc_co_u32_e32 v49, vcc, v26, v13, vcc
	v_add_co_u32_e32 v26, vcc, v27, v41
	v_addc_co_u32_e32 v27, vcc, 0, v49, vcc
	v_mov_b32_e32 v49, s11
	v_add_co_u32_e32 v50, vcc, s10, v14
	v_addc_co_u32_e32 v49, vcc, v49, v15, vcc
	v_add_co_u32_e32 v50, vcc, v50, v41
	v_addc_co_u32_e32 v51, vcc, 0, v49, vcc
	global_load_dwordx4 v[60:63], v[26:27], off
	global_load_dwordx4 v[64:67], v[50:51], off
	v_mov_b32_e32 v51, 0
	v_mov_b32_e32 v49, 0
	;; [unrolled: 1-line block ×3, first 2 shown]
	s_waitcnt vmcnt(3)
	ds_write_b128 v29, v[52:55]
	s_waitcnt vmcnt(2)
	ds_write_b128 v30, v[56:59]
	;; [unrolled: 2-line block ×4, first 2 shown]
	s_waitcnt lgkmcnt(0)
	s_barrier
	ds_read_b128 v[54:57], v34
	ds_read_b128 v[58:61], v33
	ds_read_b128 v[62:65], v33 offset:8704
	ds_read_b128 v[66:69], v34 offset:256
	s_waitcnt lgkmcnt(2)
	;;#ASMSTART
	v_dot2_f32_f16 v51, v58, v54, v51
	;;#ASMEND
	;;#ASMSTART
	v_dot2_f32_f16 v51, v59, v55, v51
	;;#ASMEND
	;; [unrolled: 3-line block ×4, first 2 shown]
	s_waitcnt lgkmcnt(0)
	;;#ASMSTART
	v_dot2_f32_f16 v49, v58, v66, v49
	;;#ASMEND
	;;#ASMSTART
	v_dot2_f32_f16 v49, v59, v67, v49
	;;#ASMEND
	v_mov_b32_e32 v52, 0
	;;#ASMSTART
	v_dot2_f32_f16 v49, v60, v68, v49
	;;#ASMEND
	;;#ASMSTART
	v_dot2_f32_f16 v49, v61, v69, v49
	;;#ASMEND
	;;#ASMSTART
	v_dot2_f32_f16 v52, v62, v54, v52
	;;#ASMEND
	;;#ASMSTART
	v_dot2_f32_f16 v52, v63, v55, v52
	;;#ASMEND
	;;#ASMSTART
	v_dot2_f32_f16 v52, v64, v56, v52
	;;#ASMEND
	;;#ASMSTART
	v_dot2_f32_f16 v52, v65, v57, v52
	;;#ASMEND
	;;#ASMSTART
	v_dot2_f32_f16 v50, v62, v66, v50
	;;#ASMEND
	;;#ASMSTART
	v_dot2_f32_f16 v50, v63, v67, v50
	;;#ASMEND
	;;#ASMSTART
	v_dot2_f32_f16 v50, v64, v68, v50
	;;#ASMEND
	;;#ASMSTART
	v_dot2_f32_f16 v50, v65, v69, v50
	;;#ASMEND
	ds_read_b128 v[54:57], v34 offset:16
	ds_read_b128 v[58:61], v33 offset:16
	ds_read_b128 v[62:65], v33 offset:8720
	ds_read_b128 v[66:69], v34 offset:272
	s_waitcnt lgkmcnt(2)
	;;#ASMSTART
	v_dot2_f32_f16 v51, v58, v54, v51
	;;#ASMEND
	;;#ASMSTART
	v_dot2_f32_f16 v51, v59, v55, v51
	;;#ASMEND
	;;#ASMSTART
	v_dot2_f32_f16 v51, v60, v56, v51
	;;#ASMEND
	;;#ASMSTART
	v_dot2_f32_f16 v51, v61, v57, v51
	;;#ASMEND
	s_waitcnt lgkmcnt(0)
	;;#ASMSTART
	v_dot2_f32_f16 v49, v58, v66, v49
	;;#ASMEND
	;;#ASMSTART
	v_dot2_f32_f16 v49, v59, v67, v49
	;;#ASMEND
	;;#ASMSTART
	v_dot2_f32_f16 v49, v60, v68, v49
	;;#ASMEND
	;;#ASMSTART
	v_dot2_f32_f16 v49, v61, v69, v49
	;;#ASMEND
	;;#ASMSTART
	v_dot2_f32_f16 v52, v62, v54, v52
	;;#ASMEND
	;;#ASMSTART
	v_dot2_f32_f16 v52, v63, v55, v52
	;;#ASMEND
	;;#ASMSTART
	v_dot2_f32_f16 v52, v64, v56, v52
	;;#ASMEND
	;;#ASMSTART
	v_dot2_f32_f16 v52, v65, v57, v52
	;;#ASMEND
	;;#ASMSTART
	v_dot2_f32_f16 v50, v62, v66, v50
	;;#ASMEND
	;;#ASMSTART
	v_dot2_f32_f16 v50, v63, v67, v50
	;;#ASMEND
	;;#ASMSTART
	v_dot2_f32_f16 v50, v64, v68, v50
	;;#ASMEND
	;;#ASMSTART
	v_dot2_f32_f16 v50, v65, v69, v50
	;;#ASMEND
	ds_read_b128 v[54:57], v34 offset:32
	ds_read_b128 v[58:61], v33 offset:32
	ds_read_b128 v[62:65], v33 offset:8736
	ds_read_b128 v[66:69], v34 offset:288
	s_waitcnt lgkmcnt(2)
	;;#ASMSTART
	v_dot2_f32_f16 v51, v58, v54, v51
	;;#ASMEND
	;;#ASMSTART
	v_dot2_f32_f16 v51, v59, v55, v51
	;;#ASMEND
	;;#ASMSTART
	v_dot2_f32_f16 v51, v60, v56, v51
	;;#ASMEND
	;;#ASMSTART
	v_dot2_f32_f16 v51, v61, v57, v51
	;;#ASMEND
	s_waitcnt lgkmcnt(0)
	;;#ASMSTART
	v_dot2_f32_f16 v49, v58, v66, v49
	;;#ASMEND
	;;#ASMSTART
	v_dot2_f32_f16 v49, v59, v67, v49
	;;#ASMEND
	;; [unrolled: 54-line block ×15, first 2 shown]
	;;#ASMSTART
	v_dot2_f32_f16 v49, v60, v68, v49
	;;#ASMEND
	;;#ASMSTART
	v_dot2_f32_f16 v49, v61, v69, v49
	;;#ASMEND
	;; [unrolled: 3-line block ×9, first 2 shown]
	v_cmp_nlt_f32_e64 s[10:11], |v51|, s24
	;;#ASMSTART
	v_dot2_f32_f16 v50, v65, v69, v50
	;;#ASMEND
                                        ; implicit-def: $vgpr53
	s_and_saveexec_b64 s[36:37], s[10:11]
	s_xor_b64 s[10:11], exec, s[36:37]
	s_cbranch_execz .LBB77_12
; %bb.11:                               ;   in Loop: Header=BB77_10 Depth=1
	v_add_f32_e64 v26, |v51|, |v51|
	v_mul_f32_e32 v27, 0x3fb8aa3b, v26
	v_rndne_f32_e32 v53, v27
	v_sub_f32_e32 v54, v27, v53
	v_fma_f32 v27, v26, s25, -v27
	v_fmac_f32_e32 v27, 0x32a5705f, v26
	v_add_f32_e32 v27, v54, v27
	v_cvt_i32_f32_e32 v53, v53
	v_exp_f32_e32 v27, v27
	v_cmp_ngt_f32_e32 vcc, s26, v26
	v_ldexp_f32 v27, v27, v53
	v_cndmask_b32_e32 v27, 0, v27, vcc
	v_cmp_nlt_f32_e32 vcc, s27, v26
	v_cndmask_b32_e32 v26, v45, v27, vcc
	v_add_f32_e32 v26, 1.0, v26
	v_rcp_f32_e32 v26, v26
	v_fma_f32 v53, v26, -2.0, 1.0
.LBB77_12:                              ;   in Loop: Header=BB77_10 Depth=1
	s_andn2_saveexec_b64 s[10:11], s[10:11]
; %bb.13:                               ;   in Loop: Header=BB77_10 Depth=1
	v_mul_f32_e32 v26, v51, v51
	v_mov_b32_e32 v27, 0x3ca908c9
	v_fmac_f32_e32 v27, 0xbbbac73d, v26
	v_fma_f32 v27, v26, v27, v42
	v_fma_f32 v27, v26, v27, v43
	;; [unrolled: 1-line block ×3, first 2 shown]
	v_mul_f32_e64 v27, |v51|, v27
	v_fma_f32 v53, v26, v27, |v51|
; %bb.14:                               ;   in Loop: Header=BB77_10 Depth=1
	s_or_b64 exec, exec, s[10:11]
	v_add_u32_e32 v26, s6, v6
	v_ashrrev_i32_e32 v27, 31, v26
	v_lshlrev_b64 v[26:27], 1, v[26:27]
	v_mov_b32_e32 v54, s31
	v_add_co_u32_e32 v26, vcc, s30, v26
	v_addc_co_u32_e32 v27, vcc, v54, v27, vcc
	flat_load_ushort v57, v[26:27]
	v_cmp_nlt_f32_e64 s[10:11], |v52|, s24
                                        ; implicit-def: $vgpr54
	s_and_saveexec_b64 s[36:37], s[10:11]
	s_xor_b64 s[10:11], exec, s[36:37]
	s_cbranch_execz .LBB77_16
; %bb.15:                               ;   in Loop: Header=BB77_10 Depth=1
	v_add_f32_e64 v54, |v52|, |v52|
	v_mul_f32_e32 v55, 0x3fb8aa3b, v54
	v_rndne_f32_e32 v56, v55
	v_sub_f32_e32 v58, v55, v56
	v_fma_f32 v55, v54, s25, -v55
	v_fmac_f32_e32 v55, 0x32a5705f, v54
	v_add_f32_e32 v55, v58, v55
	v_cvt_i32_f32_e32 v56, v56
	v_exp_f32_e32 v55, v55
	v_cmp_ngt_f32_e32 vcc, s26, v54
	v_ldexp_f32 v55, v55, v56
	v_cndmask_b32_e32 v55, 0, v55, vcc
	v_cmp_nlt_f32_e32 vcc, s27, v54
	v_cndmask_b32_e32 v54, v45, v55, vcc
	v_add_f32_e32 v54, 1.0, v54
	v_rcp_f32_e32 v54, v54
	v_fma_f32 v54, v54, -2.0, 1.0
.LBB77_16:                              ;   in Loop: Header=BB77_10 Depth=1
	s_andn2_saveexec_b64 s[10:11], s[10:11]
; %bb.17:                               ;   in Loop: Header=BB77_10 Depth=1
	v_mul_f32_e32 v54, v52, v52
	v_mov_b32_e32 v55, 0x3ca908c9
	v_fmac_f32_e32 v55, 0xbbbac73d, v54
	v_fma_f32 v55, v54, v55, v42
	v_fma_f32 v55, v54, v55, v43
	v_fma_f32 v55, v54, v55, v44
	v_mul_f32_e64 v55, |v52|, v55
	v_fma_f32 v54, v54, v55, |v52|
; %bb.18:                               ;   in Loop: Header=BB77_10 Depth=1
	s_or_b64 exec, exec, s[10:11]
	flat_load_ushort v64, v[26:27] offset:64
	v_and_b32_e32 v27, 0x60, v7
	v_bfi_b32 v26, s34, v53, v51
	v_add_u32_e32 v51, 32, v27
	v_xor_b32_e32 v56, 16, v7
	v_cmp_lt_i32_e32 vcc, v56, v51
	v_cndmask_b32_e32 v27, v7, v56, vcc
	v_lshlrev_b32_e32 v58, 2, v27
	v_bfi_b32 v27, s34, v54, v52
	s_waitcnt vmcnt(0) lgkmcnt(0)
	v_fma_mix_f32 v26, v26, s0, v57 op_sel_hi:[0,0,1]
	v_add_f32_e32 v53, 0x40051340, v26
	v_cmp_nlt_f32_e64 s[10:11], |v49|, s24
                                        ; implicit-def: $vgpr66
	v_fma_mix_f32 v27, v27, s0, v64 op_sel_hi:[0,0,1]
	v_add_f32_e32 v52, 0x40051340, v27
	v_max3_f32 v53, v2, v53, v52
	ds_bpermute_b32 v54, v58, v53
	v_xor_b32_e32 v52, 8, v7
	v_cmp_lt_i32_e32 vcc, v52, v51
	v_cndmask_b32_e32 v55, v7, v52, vcc
	v_lshlrev_b32_e32 v59, 2, v55
	s_waitcnt lgkmcnt(0)
	v_max_f32_e32 v54, v54, v54
	v_max_f32_e32 v54, v53, v54
	ds_bpermute_b32 v55, v59, v54
	v_xor_b32_e32 v53, 4, v7
	v_cmp_lt_i32_e32 vcc, v53, v51
	v_cndmask_b32_e32 v60, v7, v53, vcc
	v_lshlrev_b32_e32 v61, 2, v60
	s_waitcnt lgkmcnt(0)
	v_max_f32_e32 v55, v55, v55
	v_max_f32_e32 v55, v54, v55
	;; [unrolled: 8-line block ×4, first 2 shown]
	ds_bpermute_b32 v65, v60, v63
	s_and_saveexec_b64 s[36:37], s[10:11]
	s_xor_b64 s[10:11], exec, s[36:37]
	s_cbranch_execz .LBB77_20
; %bb.19:                               ;   in Loop: Header=BB77_10 Depth=1
	v_add_f32_e64 v66, |v49|, |v49|
	v_mul_f32_e32 v67, 0x3fb8aa3b, v66
	v_rndne_f32_e32 v68, v67
	v_sub_f32_e32 v69, v67, v68
	v_fma_f32 v67, v66, s25, -v67
	v_fmac_f32_e32 v67, 0x32a5705f, v66
	v_add_f32_e32 v67, v69, v67
	v_cvt_i32_f32_e32 v68, v68
	v_exp_f32_e32 v67, v67
	v_cmp_ngt_f32_e32 vcc, s26, v66
	v_ldexp_f32 v67, v67, v68
	v_cndmask_b32_e32 v67, 0, v67, vcc
	v_cmp_nlt_f32_e32 vcc, s27, v66
	v_cndmask_b32_e32 v66, v45, v67, vcc
	v_add_f32_e32 v66, 1.0, v66
	v_rcp_f32_e32 v66, v66
	v_fma_f32 v66, v66, -2.0, 1.0
.LBB77_20:                              ;   in Loop: Header=BB77_10 Depth=1
	s_andn2_saveexec_b64 s[10:11], s[10:11]
; %bb.21:                               ;   in Loop: Header=BB77_10 Depth=1
	v_mul_f32_e32 v66, v49, v49
	v_mov_b32_e32 v67, 0x3ca908c9
	v_fmac_f32_e32 v67, 0xbbbac73d, v66
	v_fma_f32 v67, v66, v67, v42
	v_fma_f32 v67, v66, v67, v43
	;; [unrolled: 1-line block ×3, first 2 shown]
	v_mul_f32_e64 v67, |v49|, v67
	v_fma_f32 v66, v66, v67, |v49|
; %bb.22:                               ;   in Loop: Header=BB77_10 Depth=1
	s_or_b64 exec, exec, s[10:11]
	v_cmp_nlt_f32_e64 s[10:11], |v50|, s24
                                        ; implicit-def: $vgpr67
	s_and_saveexec_b64 s[36:37], s[10:11]
	s_xor_b64 s[10:11], exec, s[36:37]
	s_cbranch_execz .LBB77_24
; %bb.23:                               ;   in Loop: Header=BB77_10 Depth=1
	v_add_f32_e64 v67, |v50|, |v50|
	v_mul_f32_e32 v68, 0x3fb8aa3b, v67
	v_rndne_f32_e32 v69, v68
	v_sub_f32_e32 v70, v68, v69
	v_fma_f32 v68, v67, s25, -v68
	v_fmac_f32_e32 v68, 0x32a5705f, v67
	v_add_f32_e32 v68, v70, v68
	v_cvt_i32_f32_e32 v69, v69
	v_exp_f32_e32 v68, v68
	v_cmp_ngt_f32_e32 vcc, s26, v67
	v_ldexp_f32 v68, v68, v69
	v_cndmask_b32_e32 v68, 0, v68, vcc
	v_cmp_nlt_f32_e32 vcc, s27, v67
	v_cndmask_b32_e32 v67, v45, v68, vcc
	v_add_f32_e32 v67, 1.0, v67
	v_rcp_f32_e32 v67, v67
	v_fma_f32 v67, v67, -2.0, 1.0
.LBB77_24:                              ;   in Loop: Header=BB77_10 Depth=1
	s_andn2_saveexec_b64 s[10:11], s[10:11]
	s_cbranch_execz .LBB77_9
; %bb.25:                               ;   in Loop: Header=BB77_10 Depth=1
	v_mul_f32_e32 v67, v50, v50
	v_mov_b32_e32 v68, 0x3ca908c9
	v_fmac_f32_e32 v68, 0xbbbac73d, v67
	v_fma_f32 v68, v67, v68, v42
	v_fma_f32 v68, v67, v68, v43
	;; [unrolled: 1-line block ×3, first 2 shown]
	v_mul_f32_e64 v68, |v50|, v68
	v_fma_f32 v67, v67, v68, |v50|
	s_branch .LBB77_9
.LBB77_26:
	v_cmp_lt_i32_e32 vcc, v56, v51
	v_cndmask_b32_e32 v6, v7, v56, vcc
	v_lshlrev_b32_e32 v6, 2, v6
	ds_bpermute_b32 v8, v6, v4
	ds_bpermute_b32 v9, v6, v5
	v_cmp_lt_i32_e32 vcc, v52, v51
	v_cndmask_b32_e32 v6, v7, v52, vcc
	v_lshlrev_b32_e32 v6, 2, v6
	v_cmp_lt_i32_e32 vcc, v53, v51
	s_waitcnt lgkmcnt(0)
	v_pk_add_f32 v[4:5], v[4:5], v[8:9]
	ds_bpermute_b32 v8, v6, v4
	ds_bpermute_b32 v9, v6, v5
	v_cndmask_b32_e32 v6, v7, v53, vcc
	v_lshlrev_b32_e32 v6, 2, v6
	v_cmp_lt_i32_e32 vcc, v54, v51
	s_cmp_lg_u64 s[16:17], 0
	s_waitcnt lgkmcnt(0)
	v_pk_add_f32 v[4:5], v[4:5], v[8:9]
	ds_bpermute_b32 v8, v6, v4
	ds_bpermute_b32 v9, v6, v5
	v_cndmask_b32_e32 v6, v7, v54, vcc
	v_lshlrev_b32_e32 v6, 2, v6
	v_cmp_lt_i32_e32 vcc, v55, v51
	s_cselect_b64 s[0:1], -1, 0
	s_waitcnt lgkmcnt(0)
	v_pk_add_f32 v[4:5], v[4:5], v[8:9]
	ds_bpermute_b32 v8, v6, v4
	ds_bpermute_b32 v9, v6, v5
	v_cndmask_b32_e32 v6, v7, v55, vcc
	v_lshlrev_b32_e32 v7, 2, v6
	s_cmp_eq_u32 s7, 0
	s_cselect_b64 s[8:9], -1, 0
	s_waitcnt lgkmcnt(0)
	v_pk_add_f32 v[4:5], v[4:5], v[8:9]
	ds_bpermute_b32 v6, v7, v4
	ds_bpermute_b32 v7, v7, v5
	s_and_b64 s[0:1], s[8:9], s[0:1]
	s_and_b64 vcc, exec, s[0:1]
	s_waitcnt lgkmcnt(0)
	v_pk_add_f32 v[4:5], v[4:5], v[6:7]
	s_cbranch_vccz .LBB77_28
; %bb.27:
	v_add_u32_e32 v6, s29, v25
	v_ashrrev_i32_e32 v7, 31, v6
	v_lshlrev_b64 v[6:7], 2, v[6:7]
	v_mov_b32_e32 v8, s17
	v_add_co_u32_e32 v6, vcc, s16, v6
	v_addc_co_u32_e32 v7, vcc, v8, v7, vcc
	global_load_dwordx2 v[6:7], v[6:7], off
	v_max_f32_e32 v8, v3, v3
	v_max_f32_e32 v10, v2, v2
	s_mov_b32 s0, 0x3fb8aa3b
	s_mov_b32 s1, 0xc2ce8ed0
	;; [unrolled: 1-line block ×3, first 2 shown]
	v_mov_b32_e32 v11, 0x7f800000
	s_waitcnt vmcnt(0)
	v_max_f32_e32 v9, v7, v7
	v_max_f32_e32 v12, v6, v6
	;; [unrolled: 1-line block ×4, first 2 shown]
	v_pk_add_f32 v[2:3], v[2:3], v[8:9] neg_lo:[0,1] neg_hi:[0,1]
	v_mul_f32_e32 v10, 0x3fb8aa3b, v3
	v_pk_add_f32 v[6:7], v[6:7], v[8:9] neg_lo:[0,1] neg_hi:[0,1]
	v_mul_f32_e32 v12, 0x3fb8aa3b, v2
	v_fma_f32 v15, v3, s0, -v10
	v_rndne_f32_e32 v16, v10
	v_mul_f32_e32 v13, 0x3fb8aa3b, v7
	v_fma_f32 v17, v2, s0, -v12
	v_rndne_f32_e32 v18, v12
	v_fmac_f32_e32 v15, 0x32a5705f, v3
	v_sub_f32_e32 v10, v10, v16
	v_mul_f32_e32 v14, 0x3fb8aa3b, v6
	v_fma_f32 v19, v7, s0, -v13
	v_rndne_f32_e32 v20, v13
	v_fmac_f32_e32 v17, 0x32a5705f, v2
	v_sub_f32_e32 v12, v12, v18
	v_add_f32_e32 v10, v10, v15
	v_fma_f32 v21, v6, s0, -v14
	v_rndne_f32_e32 v22, v14
	v_cvt_i32_f32_e32 v16, v16
	v_fmac_f32_e32 v19, 0x32a5705f, v7
	v_sub_f32_e32 v13, v13, v20
	v_add_f32_e32 v12, v12, v17
	v_exp_f32_e32 v10, v10
	v_cvt_i32_f32_e32 v18, v18
	v_fmac_f32_e32 v21, 0x32a5705f, v6
	v_sub_f32_e32 v14, v14, v22
	v_add_f32_e32 v13, v13, v19
	v_exp_f32_e32 v12, v12
	v_cvt_i32_f32_e32 v20, v20
	v_add_f32_e32 v14, v14, v21
	v_exp_f32_e32 v13, v13
	v_cvt_i32_f32_e32 v22, v22
	v_exp_f32_e32 v14, v14
	v_ldexp_f32 v10, v10, v16
	v_cmp_ngt_f32_e32 vcc, s1, v3
	v_ldexp_f32 v12, v12, v18
	v_cndmask_b32_e32 v10, 0, v10, vcc
	v_cmp_ngt_f32_e32 vcc, s1, v2
	v_ldexp_f32 v13, v13, v20
	v_cndmask_b32_e32 v12, 0, v12, vcc
	v_cmp_ngt_f32_e32 vcc, s1, v7
	v_ldexp_f32 v14, v14, v22
	v_cndmask_b32_e32 v13, 0, v13, vcc
	v_cmp_ngt_f32_e32 vcc, s1, v6
	v_cndmask_b32_e32 v14, 0, v14, vcc
	v_cmp_nlt_f32_e32 vcc, s6, v3
	v_cndmask_b32_e32 v3, v11, v10, vcc
	v_cmp_nlt_f32_e32 vcc, s6, v2
	;; [unrolled: 2-line block ×4, first 2 shown]
	v_cvt_f16_f32_e32 v10, v2
	v_cndmask_b32_e32 v6, v11, v14, vcc
	v_cvt_f16_f32_e32 v11, v3
	v_pk_fma_f32 v[4:5], v[4:5], v[2:3], v[6:7]
	v_pk_mul_f16 v48, v10, v48 op_sel_hi:[0,1]
	v_pk_mul_f16 v24, v10, v24 op_sel_hi:[0,1]
	;; [unrolled: 1-line block ×4, first 2 shown]
	v_pk_mov_b32 v[2:3], v[8:9], v[8:9] op_sel:[0,1]
.LBB77_28:
	v_cmp_gt_i32_e32 vcc, s2, v1
	s_and_saveexec_b64 s[0:1], vcc
	s_cbranch_execz .LBB77_37
; %bb.29:
	s_load_dword s6, s[4:5], 0xd4
	v_mov_b32_e32 v6, 1.0
	s_waitcnt lgkmcnt(0)
	s_cmp_lg_u32 s6, 1
	s_cselect_b64 s[0:1], -1, 0
	s_cmp_eq_u32 s6, 1
	s_cselect_b64 s[4:5], -1, 0
	s_and_b64 vcc, exec, s[0:1]
	s_cbranch_vccnz .LBB77_31
; %bb.30:
	v_div_scale_f32 v6, s[8:9], v4, v4, 1.0
	v_rcp_f32_e32 v7, v6
	v_div_scale_f32 v8, vcc, 1.0, v4, 1.0
	v_fma_f32 v9, -v6, v7, 1.0
	v_fmac_f32_e32 v7, v9, v7
	v_mul_f32_e32 v9, v8, v7
	v_fma_f32 v10, -v6, v9, v8
	v_fmac_f32_e32 v9, v10, v7
	v_fma_f32 v6, -v6, v9, v8
	v_div_fmas_f32 v6, v6, v7, v9
	v_div_fixup_f32 v6, v6, v4, 1.0
.LBB77_31:
	s_mul_i32 s33, s33, s2
	v_add_u32_e32 v1, s33, v1
	v_mul_lo_u32 v1, v1, s3
	v_add3_u32 v1, s29, v25, v1
	v_cmp_eq_u32_e32 vcc, 0, v0
	v_mul_lo_u32 v0, s6, v1
	v_add_u32_e32 v0, s7, v0
	v_cvt_f32_f16_sdwa v11, v48 dst_sel:DWORD dst_unused:UNUSED_PAD src0_sel:WORD_1
	v_cvt_f32_f16_e32 v10, v48
	v_cvt_f32_f16_sdwa v13, v24 dst_sel:DWORD dst_unused:UNUSED_PAD src0_sel:WORD_1
	v_cvt_f32_f16_e32 v12, v24
	v_lshl_add_u32 v8, v0, 7, v28
	v_mov_b32_e32 v9, 0
	v_lshlrev_b64 v[8:9], 2, v[8:9]
	s_and_b64 s[0:1], vcc, s[0:1]
	v_mov_b32_e32 v1, s21
	v_add_co_u32_e32 v14, vcc, s20, v8
	v_addc_co_u32_e32 v15, vcc, v1, v9, vcc
	v_pk_mul_f32 v[8:9], v[6:7], v[10:11] op_sel_hi:[0,1]
	v_pk_mul_f32 v[10:11], v[6:7], v[12:13] op_sel_hi:[0,1]
	global_store_dwordx4 v[14:15], v[8:11], off
	s_and_saveexec_b64 s[2:3], s[0:1]
	s_cbranch_execz .LBB77_33
; %bb.32:
	v_ashrrev_i32_e32 v1, 31, v0
	v_lshlrev_b64 v[6:7], 3, v[0:1]
	v_mov_b32_e32 v1, s23
	v_add_co_u32_e32 v6, vcc, s22, v6
	v_addc_co_u32_e32 v7, vcc, v1, v7, vcc
	v_mov_b32_e32 v8, v2
	v_mov_b32_e32 v9, v4
	global_store_dwordx2 v[6:7], v[8:9], off
.LBB77_33:
	s_or_b64 exec, exec, s[2:3]
	s_andn2_b64 vcc, exec, s[4:5]
	v_mov_b32_e32 v2, 1.0
	s_cbranch_vccnz .LBB77_35
; %bb.34:
	v_div_scale_f32 v1, s[2:3], v5, v5, 1.0
	v_rcp_f32_e32 v2, v1
	v_div_scale_f32 v4, vcc, 1.0, v5, 1.0
	v_fma_f32 v6, -v1, v2, 1.0
	v_fmac_f32_e32 v2, v6, v2
	v_mul_f32_e32 v6, v4, v2
	v_fma_f32 v7, -v1, v6, v4
	v_fmac_f32_e32 v6, v7, v2
	v_fma_f32 v1, -v1, v6, v4
	v_div_fmas_f32 v1, v1, v2, v6
	v_div_fixup_f32 v2, v1, v5, 1.0
.LBB77_35:
	v_add_u32_e32 v0, s6, v0
	v_cvt_f32_f16_sdwa v9, v47 dst_sel:DWORD dst_unused:UNUSED_PAD src0_sel:WORD_1
	v_cvt_f32_f16_e32 v8, v47
	v_cvt_f32_f16_sdwa v11, v46 dst_sel:DWORD dst_unused:UNUSED_PAD src0_sel:WORD_1
	v_cvt_f32_f16_e32 v10, v46
	v_lshl_add_u32 v6, v0, 7, v28
	v_mov_b32_e32 v7, 0
	v_lshlrev_b64 v[6:7], 2, v[6:7]
	v_mov_b32_e32 v1, s21
	v_add_co_u32_e32 v12, vcc, s20, v6
	v_addc_co_u32_e32 v13, vcc, v1, v7, vcc
	v_pk_mul_f32 v[6:7], v[2:3], v[8:9] op_sel_hi:[0,1]
	v_pk_mul_f32 v[8:9], v[2:3], v[10:11] op_sel_hi:[0,1]
	global_store_dwordx4 v[12:13], v[6:9], off
	s_and_b64 exec, exec, s[0:1]
	s_cbranch_execz .LBB77_37
; %bb.36:
	v_ashrrev_i32_e32 v1, 31, v0
	v_lshlrev_b64 v[0:1], 3, v[0:1]
	v_mov_b32_e32 v2, s23
	v_add_co_u32_e32 v0, vcc, s22, v0
	v_addc_co_u32_e32 v1, vcc, v2, v1, vcc
	v_mov_b32_e32 v4, v3
	global_store_dwordx2 v[0:1], v[4:5], off
.LBB77_37:
	s_endpgm
	.section	.rodata,"a",@progbits
	.p2align	6, 0x0
	.amdhsa_kernel _ZL15flash_attn_tileILi128ELi128ELi4ELi4ELb1EEvPKcS1_S1_S1_S1_PKiPfP15HIP_vector_typeIfLj2EEffffjfiS5_IjLj3EEiiiiiiiiiiiliiliiiiil
		.amdhsa_group_segment_fixed_size 23552
		.amdhsa_private_segment_fixed_size 0
		.amdhsa_kernarg_size 464
		.amdhsa_user_sgpr_count 6
		.amdhsa_user_sgpr_private_segment_buffer 1
		.amdhsa_user_sgpr_dispatch_ptr 0
		.amdhsa_user_sgpr_queue_ptr 0
		.amdhsa_user_sgpr_kernarg_segment_ptr 1
		.amdhsa_user_sgpr_dispatch_id 0
		.amdhsa_user_sgpr_flat_scratch_init 0
		.amdhsa_user_sgpr_kernarg_preload_length 0
		.amdhsa_user_sgpr_kernarg_preload_offset 0
		.amdhsa_user_sgpr_private_segment_size 0
		.amdhsa_uses_dynamic_stack 0
		.amdhsa_system_sgpr_private_segment_wavefront_offset 0
		.amdhsa_system_sgpr_workgroup_id_x 1
		.amdhsa_system_sgpr_workgroup_id_y 1
		.amdhsa_system_sgpr_workgroup_id_z 1
		.amdhsa_system_sgpr_workgroup_info 0
		.amdhsa_system_vgpr_workitem_id 1
		.amdhsa_next_free_vgpr 82
		.amdhsa_next_free_sgpr 40
		.amdhsa_accum_offset 84
		.amdhsa_reserve_vcc 1
		.amdhsa_reserve_flat_scratch 0
		.amdhsa_float_round_mode_32 0
		.amdhsa_float_round_mode_16_64 0
		.amdhsa_float_denorm_mode_32 3
		.amdhsa_float_denorm_mode_16_64 3
		.amdhsa_dx10_clamp 1
		.amdhsa_ieee_mode 1
		.amdhsa_fp16_overflow 0
		.amdhsa_tg_split 0
		.amdhsa_exception_fp_ieee_invalid_op 0
		.amdhsa_exception_fp_denorm_src 0
		.amdhsa_exception_fp_ieee_div_zero 0
		.amdhsa_exception_fp_ieee_overflow 0
		.amdhsa_exception_fp_ieee_underflow 0
		.amdhsa_exception_fp_ieee_inexact 0
		.amdhsa_exception_int_div_zero 0
	.end_amdhsa_kernel
	.section	.text._ZL15flash_attn_tileILi128ELi128ELi4ELi4ELb1EEvPKcS1_S1_S1_S1_PKiPfP15HIP_vector_typeIfLj2EEffffjfiS5_IjLj3EEiiiiiiiiiiiliiliiiiil,"axG",@progbits,_ZL15flash_attn_tileILi128ELi128ELi4ELi4ELb1EEvPKcS1_S1_S1_S1_PKiPfP15HIP_vector_typeIfLj2EEffffjfiS5_IjLj3EEiiiiiiiiiiiliiliiiiil,comdat
.Lfunc_end77:
	.size	_ZL15flash_attn_tileILi128ELi128ELi4ELi4ELb1EEvPKcS1_S1_S1_S1_PKiPfP15HIP_vector_typeIfLj2EEffffjfiS5_IjLj3EEiiiiiiiiiiiliiliiiiil, .Lfunc_end77-_ZL15flash_attn_tileILi128ELi128ELi4ELi4ELb1EEvPKcS1_S1_S1_S1_PKiPfP15HIP_vector_typeIfLj2EEffffjfiS5_IjLj3EEiiiiiiiiiiiliiliiiiil
                                        ; -- End function
	.section	.AMDGPU.csdata,"",@progbits
; Kernel info:
; codeLenInByte = 10388
; NumSgprs: 44
; NumVgprs: 82
; NumAgprs: 0
; TotalNumVgprs: 82
; ScratchSize: 0
; MemoryBound: 0
; FloatMode: 240
; IeeeMode: 1
; LDSByteSize: 23552 bytes/workgroup (compile time only)
; SGPRBlocks: 5
; VGPRBlocks: 10
; NumSGPRsForWavesPerEU: 44
; NumVGPRsForWavesPerEU: 82
; AccumOffset: 84
; Occupancy: 2
; WaveLimiterHint : 1
; COMPUTE_PGM_RSRC2:SCRATCH_EN: 0
; COMPUTE_PGM_RSRC2:USER_SGPR: 6
; COMPUTE_PGM_RSRC2:TRAP_HANDLER: 0
; COMPUTE_PGM_RSRC2:TGID_X_EN: 1
; COMPUTE_PGM_RSRC2:TGID_Y_EN: 1
; COMPUTE_PGM_RSRC2:TGID_Z_EN: 1
; COMPUTE_PGM_RSRC2:TIDIG_COMP_CNT: 1
; COMPUTE_PGM_RSRC3_GFX90A:ACCUM_OFFSET: 20
; COMPUTE_PGM_RSRC3_GFX90A:TG_SPLIT: 0
	.section	.text._ZL15flash_attn_tileILi128ELi128ELi2ELi4ELb1EEvPKcS1_S1_S1_S1_PKiPfP15HIP_vector_typeIfLj2EEffffjfiS5_IjLj3EEiiiiiiiiiiiliiliiiiil,"axG",@progbits,_ZL15flash_attn_tileILi128ELi128ELi2ELi4ELb1EEvPKcS1_S1_S1_S1_PKiPfP15HIP_vector_typeIfLj2EEffffjfiS5_IjLj3EEiiiiiiiiiiiliiliiiiil,comdat
	.globl	_ZL15flash_attn_tileILi128ELi128ELi2ELi4ELb1EEvPKcS1_S1_S1_S1_PKiPfP15HIP_vector_typeIfLj2EEffffjfiS5_IjLj3EEiiiiiiiiiiiliiliiiiil ; -- Begin function _ZL15flash_attn_tileILi128ELi128ELi2ELi4ELb1EEvPKcS1_S1_S1_S1_PKiPfP15HIP_vector_typeIfLj2EEffffjfiS5_IjLj3EEiiiiiiiiiiiliiliiiiil
	.p2align	8
	.type	_ZL15flash_attn_tileILi128ELi128ELi2ELi4ELb1EEvPKcS1_S1_S1_S1_PKiPfP15HIP_vector_typeIfLj2EEffffjfiS5_IjLj3EEiiiiiiiiiiiliiliiiiil,@function
_ZL15flash_attn_tileILi128ELi128ELi2ELi4ELb1EEvPKcS1_S1_S1_S1_PKiPfP15HIP_vector_typeIfLj2EEffffjfiS5_IjLj3EEiiiiiiiiiiiliiliiiiil: ; @_ZL15flash_attn_tileILi128ELi128ELi2ELi4ELb1EEvPKcS1_S1_S1_S1_PKiPfP15HIP_vector_typeIfLj2EEffffjfiS5_IjLj3EEiiiiiiiiiiiliiliiiiil
; %bb.0:
	s_load_dwordx4 s[0:3], s[4:5], 0x5c
	s_load_dwordx2 s[28:29], s[4:5], 0x80
	s_load_dwordx2 s[34:35], s[4:5], 0xb8
	s_mov_b64 s[30:31], 0
	s_waitcnt lgkmcnt(0)
	s_ashr_i32 s9, s3, 31
	s_lshr_b32 s9, s9, 30
	s_add_i32 s9, s3, s9
	s_ashr_i32 s9, s9, 2
	v_cvt_f32_u32_e32 v1, s9
	s_sub_i32 s10, 0, s9
	v_rcp_iflag_f32_e32 v1, v1
	v_mul_f32_e32 v1, 0x4f7ffffe, v1
	v_cvt_u32_f32_e32 v1, v1
	v_readfirstlane_b32 s11, v1
	s_mul_i32 s10, s10, s11
	s_mul_hi_u32 s10, s11, s10
	s_add_i32 s11, s11, s10
	s_mul_hi_u32 s10, s8, s11
	s_mul_i32 s11, s10, s9
	s_sub_i32 s11, s8, s11
	s_add_i32 s12, s10, 1
	s_sub_i32 s13, s11, s9
	s_cmp_ge_u32 s11, s9
	s_cselect_b32 s10, s12, s10
	s_cselect_b32 s11, s13, s11
	s_add_i32 s12, s10, 1
	s_cmp_ge_u32 s11, s9
	s_cselect_b32 s33, s12, s10
	s_abs_i32 s9, s29
	v_cvt_f32_u32_e32 v1, s9
	s_lshl_b32 s8, s8, 2
	s_mul_i32 s12, s33, s3
	s_xor_b32 s10, s3, s29
	v_rcp_iflag_f32_e32 v1, v1
	s_sub_i32 s13, 0, s9
	s_sub_i32 s29, s8, s12
	s_abs_i32 s11, s3
	v_mul_f32_e32 v1, 0x4f7ffffe, v1
	v_cvt_u32_f32_e32 v1, v1
	s_ashr_i32 s10, s10, 31
	v_readfirstlane_b32 s8, v1
	s_mul_i32 s13, s13, s8
	s_mul_hi_u32 s12, s8, s13
	s_add_i32 s8, s8, s12
	s_mul_hi_u32 s8, s11, s8
	s_mul_i32 s12, s8, s9
	s_sub_i32 s11, s11, s12
	s_add_i32 s13, s8, 1
	s_sub_i32 s12, s11, s9
	s_cmp_ge_u32 s11, s9
	s_cselect_b32 s8, s13, s8
	s_cselect_b32 s11, s12, s11
	s_add_i32 s12, s8, 1
	s_cmp_ge_u32 s11, s9
	s_cselect_b32 s8, s12, s8
	s_xor_b32 s8, s8, s10
	s_sub_i32 s37, s8, s10
	s_abs_i32 s36, s37
	v_cvt_f32_u32_e32 v1, s36
	s_load_dwordx16 s[8:23], s[4:5], 0x0
	v_rcp_iflag_f32_e32 v1, v1
	s_waitcnt lgkmcnt(0)
	s_cmp_eq_u64 s[14:15], 0
	v_mul_f32_e32 v1, 0x4f7ffffe, v1
	v_cvt_u32_f32_e32 v1, v1
	v_readfirstlane_b32 s24, v1
	s_cbranch_scc1 .LBB78_2
; %bb.1:
	s_abs_i32 s25, s34
	v_cvt_f32_u32_e32 v1, s25
	s_sub_i32 s34, 0, s25
	s_abs_i32 s31, s33
	s_ashr_i32 s30, s33, 31
	v_rcp_iflag_f32_e32 v1, v1
	s_load_dwordx2 s[26:27], s[4:5], 0xc8
	v_mul_f32_e32 v1, 0x4f7ffffe, v1
	v_cvt_u32_f32_e32 v1, v1
	v_readfirstlane_b32 s38, v1
	s_mul_i32 s34, s34, s38
	s_mul_hi_u32 s34, s38, s34
	s_add_i32 s38, s38, s34
	s_mul_hi_u32 s34, s31, s38
	s_mul_i32 s34, s34, s25
	s_sub_i32 s31, s31, s34
	s_sub_i32 s34, s31, s25
	s_cmp_ge_u32 s31, s25
	s_cselect_b32 s31, s34, s31
	s_sub_i32 s34, s31, s25
	s_cmp_ge_u32 s31, s25
	s_cselect_b32 s25, s34, s31
	s_xor_b32 s25, s25, s30
	s_sub_i32 s25, s25, s30
	s_ashr_i32 s30, s25, 31
	s_waitcnt lgkmcnt(0)
	s_mul_i32 s27, s25, s27
	s_mul_hi_u32 s31, s25, s26
	s_add_i32 s27, s31, s27
	s_mul_i32 s30, s30, s26
	s_add_i32 s27, s27, s30
	s_mul_i32 s25, s25, s26
	s_add_u32 s30, s14, s25
	s_addc_u32 s31, s15, s27
.LBB78_2:
	s_load_dwordx4 s[40:43], s[4:5], 0x70
	v_bfe_u32 v4, v0, 10, 10
	v_and_b32_e32 v1, 3, v4
	v_lshrrev_b32_e32 v5, 2, v4
	v_lshl_add_u32 v22, s6, 1, v5
	s_waitcnt lgkmcnt(0)
	s_mul_i32 s14, s33, s42
	s_ashr_i32 s25, s14, 31
	s_mul_i32 s15, s29, s41
	s_add_u32 s8, s8, s14
	s_addc_u32 s9, s9, s25
	s_ashr_i32 s14, s15, 31
	s_add_u32 s15, s8, s15
	s_addc_u32 s14, s9, s14
	s_ashr_i32 s25, s41, 31
	v_mov_b32_e32 v2, s41
	v_alignbit_b32 v2, s25, v2, 2
	v_mad_u64_u32 v[6:7], s[8:9], v2, v1, 0
	v_mov_b32_e32 v2, v7
	s_lshr_b32 s8, s25, 2
	v_mad_u64_u32 v[2:3], s[8:9], s8, v1, v[2:3]
	v_mov_b32_e32 v7, v2
	v_mul_hi_u32 v2, s0, v22
	v_add_u32_e32 v2, v22, v2
	v_lshrrev_b32_e32 v2, s1, v2
	v_mul_lo_u32 v2, v2, s2
	s_ashr_i32 s8, s40, 31
	v_mov_b32_e32 v3, s40
	v_sub_u32_e32 v2, v22, v2
	v_alignbit_b32 v3, s8, v3, 2
	v_mad_u64_u32 v[8:9], s[0:1], v3, v2, 0
	v_mov_b32_e32 v10, v9
	s_lshr_b32 s0, s8, 2
	v_mad_u64_u32 v[10:11], s[0:1], s0, v2, v[10:11]
	v_lshlrev_b64 v[6:7], 2, v[6:7]
	v_mov_b32_e32 v9, v10
	v_mov_b32_e32 v3, s14
	v_add_co_u32_e32 v5, vcc, s15, v6
	v_addc_co_u32_e32 v3, vcc, v3, v7, vcc
	v_lshlrev_b64 v[6:7], 2, v[8:9]
	v_and_b32_e32 v0, 0x3ff, v0
	v_add_co_u32_e32 v5, vcc, v5, v6
	v_addc_co_u32_e32 v3, vcc, v3, v7, vcc
	v_lshlrev_b32_e32 v6, 4, v0
	v_add_co_u32_e32 v6, vcc, v5, v6
	v_addc_co_u32_e32 v7, vcc, 0, v3, vcc
	global_load_dwordx4 v[6:9], v[6:7], off
	s_load_dword s0, s[4:5], 0x40
	v_lshlrev_b32_e32 v3, 6, v4
	v_lshlrev_b32_e32 v5, 1, v0
	v_add_lshl_u32 v3, v3, v5, 2
	s_cmp_eq_u64 s[18:19], 0
	s_waitcnt vmcnt(0) lgkmcnt(0)
	v_pk_mul_f32 v[6:7], v[6:7], s[0:1] op_sel_hi:[1,0]
	v_pk_mul_f32 v[8:9], v[8:9], s[0:1] op_sel_hi:[1,0]
	v_cvt_f16_f32_e32 v10, v7
	v_cvt_f16_f32_e32 v7, v9
	v_cvt_f16_f32_e32 v8, v8
	v_cvt_f16_f32_e32 v6, v6
	v_pack_b32_f16 v7, v8, v7
	v_pack_b32_f16 v6, v6, v10
	ds_write_b64 v3, v[6:7] offset:17408
	s_waitcnt lgkmcnt(0)
	s_barrier
	s_cbranch_scc1 .LBB78_4
; %bb.3:
	s_load_dword s0, s[4:5], 0xd0
	s_mov_b32 s1, 0
	s_waitcnt lgkmcnt(0)
	s_mul_i32 s0, s0, s33
	s_add_i32 s0, s0, s6
	s_lshl_b64 s[0:1], s[0:1], 2
	s_add_u32 s0, s18, s0
	s_addc_u32 s1, s19, s1
	s_load_dword s28, s[0:1], 0x0
.LBB78_4:
	s_lshl_b32 s6, s7, 6
	s_waitcnt lgkmcnt(0)
	s_cmp_lt_i32 s6, s28
	v_mbcnt_lo_u32_b32 v12, -1, 0
	s_cbranch_scc1 .LBB78_6
; %bb.5:
	v_mbcnt_hi_u32_b32 v3, -1, v12
	v_and_b32_e32 v5, 0x60, v3
	s_mov_b32 s8, 0
	v_add_u32_e32 v47, 32, v5
	v_xor_b32_e32 v21, 16, v3
	v_xor_b32_e32 v46, 8, v3
	;; [unrolled: 1-line block ×5, first 2 shown]
	s_mov_b64 s[0:1], 0
	s_mov_b32 s9, 0xfeffffff
	s_branch .LBB78_7
.LBB78_6:
	s_mov_b64 s[0:1], -1
                                        ; implicit-def: $sgpr9
                                        ; implicit-def: $sgpr8
                                        ; implicit-def: $vgpr3
                                        ; implicit-def: $vgpr47
                                        ; implicit-def: $vgpr21
                                        ; implicit-def: $vgpr46
                                        ; implicit-def: $vgpr48
                                        ; implicit-def: $vgpr49
                                        ; implicit-def: $vgpr50
.LBB78_7:
	v_lshlrev_b32_e32 v23, 2, v0
	s_andn2_b64 vcc, exec, s[0:1]
	v_mov_b32_e32 v20, s9
	v_mov_b32_e32 v51, s8
	;; [unrolled: 1-line block ×4, first 2 shown]
	s_cbranch_vccnz .LBB78_19
; %bb.8:
	s_sub_i32 s0, 0, s36
	s_mul_i32 s0, s0, s24
	s_mul_hi_u32 s0, s24, s0
	s_abs_i32 s19, s29
	s_add_i32 s24, s24, s0
	s_mul_hi_u32 s34, s19, s24
	s_load_dwordx4 s[24:27], s[4:5], 0x98
	s_load_dword s14, s[4:5], 0x54
	s_load_dwordx2 s[0:1], s[4:5], 0x8c
	s_ashr_i32 s38, s29, 31
	s_ashr_i32 s37, s37, 31
	s_waitcnt lgkmcnt(0)
	s_ashr_i32 s15, s26, 2
	s_ashr_i32 s26, s35, 1
	;; [unrolled: 1-line block ×4, first 2 shown]
	s_mul_i32 s25, s33, s25
	s_mul_hi_u32 s35, s33, s24
	s_add_i32 s25, s35, s25
	s_mul_i32 s35, s0, s24
	s_add_i32 s25, s25, s35
	s_mul_i32 s24, s33, s24
	s_add_u32 s10, s10, s24
	s_addc_u32 s11, s11, s25
	s_mul_i32 s25, s34, s36
	s_sub_i32 s19, s19, s25
	s_xor_b32 s24, s38, s37
	s_add_i32 s25, s34, 1
	s_sub_i32 s35, s19, s36
	s_cmp_ge_u32 s19, s36
	s_cselect_b32 s25, s25, s34
	s_cselect_b32 s19, s35, s19
	s_add_i32 s34, s25, 1
	s_cmp_ge_u32 s19, s36
	s_load_dwordx2 s[8:9], s[4:5], 0xa8
	s_cselect_b32 s19, s34, s25
	s_xor_b32 s19, s19, s24
	s_sub_i32 s19, s19, s24
	s_mul_i32 s1, s19, s1
	s_ashr_i32 s24, s1, 31
	s_add_u32 s10, s10, s1
	s_waitcnt lgkmcnt(0)
	s_mul_i32 s1, s33, s9
	s_mul_hi_u32 s9, s33, s8
	s_addc_u32 s11, s11, s24
	s_add_i32 s1, s9, s1
	s_mul_i32 s0, s0, s8
	s_add_i32 s1, s1, s0
	s_mul_i32 s0, s33, s8
	s_add_u32 s0, s12, s0
	s_mul_i32 s19, s19, s27
	s_addc_u32 s1, s13, s1
	s_ashr_i32 s8, s19, 31
	v_lshrrev_b32_e32 v3, 4, v0
	v_and_b32_e32 v6, 60, v23
	s_add_u32 s12, s0, s19
	v_lshl_add_u32 v5, v4, 1, v3
	v_lshlrev_b32_e32 v7, 2, v6
	s_movk_i32 s0, 0x110
	s_addc_u32 s13, s1, s8
	v_mad_u32_u24 v24, v5, s0, v7
	v_mul_lo_u32 v8, s18, v5
	s_lshl_b32 s0, s18, 4
	v_add_u32_e32 v10, s0, v8
	v_add_u32_e32 v14, s0, v10
	v_mov_b32_e32 v3, 0x4400
	v_add_u32_e32 v16, s0, v14
	v_lshl_add_u32 v28, v4, 8, v3
	v_mad_u64_u32 v[2:3], s[0:1], v2, s26, v[0:1]
	v_mul_lo_u32 v18, s15, v5
	s_lshl_b32 s0, s15, 4
	v_add_u32_e32 v20, s0, v18
	v_add_u32_e32 v46, s0, v20
	v_mov_b32_e32 v3, 0x4c00
	v_add_u32_e32 v48, s0, v46
	v_ashrrev_i32_e32 v9, 31, v8
	v_ashrrev_i32_e32 v11, 31, v10
	;; [unrolled: 1-line block ×4, first 2 shown]
	v_lshl_add_u32 v30, v4, 7, v3
	v_lshl_or_b32 v32, v5, 8, v7
	v_ashrrev_i32_e32 v19, 31, v18
	v_ashrrev_i32_e32 v21, 31, v20
	;; [unrolled: 1-line block ×4, first 2 shown]
	s_add_u32 s0, s4, 0xd0
	v_mov_b32_e32 v42, 0
	v_add_u32_e32 v25, 0x1100, v24
	v_add_u32_e32 v26, 0x2200, v24
	;; [unrolled: 1-line block ×3, first 2 shown]
	v_mul_u32_u24_e32 v29, 0x110, v0
	v_lshl_add_u32 v31, v0, 1, v30
	v_add_u32_e32 v33, 0x1000, v32
	v_add_u32_e32 v34, 0x2000, v32
	v_add_u32_e32 v35, 0x3000, v32
	v_lshlrev_b32_e32 v36, 3, v0
	s_addc_u32 s1, s5, 0
	v_mov_b32_e32 v45, 0xfeffffff
	v_lshlrev_b64 v[4:5], 2, v[8:9]
	v_lshlrev_b32_e32 v37, 2, v6
	v_lshlrev_b64 v[6:7], 2, v[10:11]
	v_lshlrev_b64 v[8:9], 2, v[14:15]
	v_lshlrev_b64 v[10:11], 2, v[16:17]
	s_mov_b32 s19, 0x3f200000
	s_mov_b32 s24, 0x3fb8aa3b
	;; [unrolled: 1-line block ×4, first 2 shown]
	v_mov_b32_e32 v38, 0xbd5c1c4e
	v_mov_b32_e32 v39, 0x3e088382
	;; [unrolled: 1-line block ×3, first 2 shown]
	s_brev_b32 s27, -2
	v_mbcnt_hi_u32_b32 v3, -1, v12
	v_lshlrev_b64 v[12:13], 2, v[18:19]
	v_lshlrev_b64 v[14:15], 2, v[20:21]
	;; [unrolled: 1-line block ×4, first 2 shown]
	v_mov_b32_e32 v41, 0x7f800000
	v_mov_b32_e32 v43, 0
	;; [unrolled: 1-line block ×3, first 2 shown]
.LBB78_9:                               ; =>This Inner Loop Header: Depth=1
	s_mul_hi_i32 s9, s6, s18
	s_mul_i32 s8, s6, s18
	s_lshl_b64 s[8:9], s[8:9], 2
	s_add_u32 s8, s10, s8
	s_addc_u32 s9, s11, s9
	v_mov_b32_e32 v20, s9
	v_add_co_u32_e32 v21, vcc, s8, v4
	v_addc_co_u32_e32 v46, vcc, v20, v5, vcc
	v_add_co_u32_e32 v20, vcc, v21, v37
	v_addc_co_u32_e32 v21, vcc, 0, v46, vcc
	v_mov_b32_e32 v46, s9
	v_add_co_u32_e32 v47, vcc, s8, v6
	v_addc_co_u32_e32 v46, vcc, v46, v7, vcc
	v_add_co_u32_e32 v54, vcc, v47, v37
	v_addc_co_u32_e32 v55, vcc, 0, v46, vcc
	global_load_dwordx4 v[46:49], v[20:21], off
	global_load_dwordx4 v[50:53], v[54:55], off
	v_mov_b32_e32 v20, s9
	v_add_co_u32_e32 v21, vcc, s8, v8
	v_addc_co_u32_e32 v54, vcc, v20, v9, vcc
	v_add_co_u32_e32 v20, vcc, v21, v37
	v_addc_co_u32_e32 v21, vcc, 0, v54, vcc
	v_mov_b32_e32 v54, s9
	v_add_co_u32_e32 v55, vcc, s8, v10
	v_addc_co_u32_e32 v54, vcc, v54, v11, vcc
	v_add_co_u32_e32 v62, vcc, v55, v37
	v_addc_co_u32_e32 v63, vcc, 0, v54, vcc
	global_load_dwordx4 v[54:57], v[20:21], off
	global_load_dwordx4 v[58:61], v[62:63], off
	s_waitcnt vmcnt(3)
	ds_write_b128 v24, v[46:49]
	s_waitcnt vmcnt(2)
	ds_write_b128 v25, v[50:53]
	;; [unrolled: 2-line block ×4, first 2 shown]
	s_waitcnt lgkmcnt(0)
	s_barrier
	ds_read_b128 v[48:51], v29
	ds_read_b128 v[52:55], v28
	v_mov_b32_e32 v46, 0
	ds_read_b128 v[56:59], v29 offset:8704
	s_waitcnt lgkmcnt(1)
	;;#ASMSTART
	v_dot2_f32_f16 v46, v48, v52, v46
	;;#ASMEND
	;;#ASMSTART
	v_dot2_f32_f16 v46, v49, v53, v46
	;;#ASMEND
	v_mov_b32_e32 v47, 0
	;;#ASMSTART
	v_dot2_f32_f16 v46, v50, v54, v46
	;;#ASMEND
	;;#ASMSTART
	v_dot2_f32_f16 v46, v51, v55, v46
	;;#ASMEND
	s_waitcnt lgkmcnt(0)
	;;#ASMSTART
	v_dot2_f32_f16 v47, v56, v52, v47
	;;#ASMEND
	;;#ASMSTART
	v_dot2_f32_f16 v47, v57, v53, v47
	;;#ASMEND
	;;#ASMSTART
	v_dot2_f32_f16 v47, v58, v54, v47
	;;#ASMEND
	;;#ASMSTART
	v_dot2_f32_f16 v47, v59, v55, v47
	;;#ASMEND
	ds_read_b128 v[48:51], v29 offset:16
	ds_read_b128 v[52:55], v28 offset:16
	ds_read_b128 v[56:59], v29 offset:8720
	s_waitcnt lgkmcnt(1)
	;;#ASMSTART
	v_dot2_f32_f16 v46, v48, v52, v46
	;;#ASMEND
	;;#ASMSTART
	v_dot2_f32_f16 v46, v49, v53, v46
	;;#ASMEND
	;;#ASMSTART
	v_dot2_f32_f16 v46, v50, v54, v46
	;;#ASMEND
	;;#ASMSTART
	v_dot2_f32_f16 v46, v51, v55, v46
	;;#ASMEND
	s_waitcnt lgkmcnt(0)
	;;#ASMSTART
	v_dot2_f32_f16 v47, v56, v52, v47
	;;#ASMEND
	;;#ASMSTART
	v_dot2_f32_f16 v47, v57, v53, v47
	;;#ASMEND
	;;#ASMSTART
	v_dot2_f32_f16 v47, v58, v54, v47
	;;#ASMEND
	;;#ASMSTART
	v_dot2_f32_f16 v47, v59, v55, v47
	;;#ASMEND
	ds_read_b128 v[48:51], v29 offset:32
	ds_read_b128 v[52:55], v28 offset:32
	ds_read_b128 v[56:59], v29 offset:8736
	s_waitcnt lgkmcnt(1)
	;;#ASMSTART
	v_dot2_f32_f16 v46, v48, v52, v46
	;;#ASMEND
	;;#ASMSTART
	v_dot2_f32_f16 v46, v49, v53, v46
	;;#ASMEND
	;; [unrolled: 29-line block ×15, first 2 shown]
	;;#ASMSTART
	v_dot2_f32_f16 v46, v50, v54, v46
	;;#ASMEND
	;;#ASMSTART
	v_dot2_f32_f16 v46, v51, v55, v46
	;;#ASMEND
	s_waitcnt lgkmcnt(0)
	;;#ASMSTART
	v_dot2_f32_f16 v47, v56, v52, v47
	;;#ASMEND
	;;#ASMSTART
	v_dot2_f32_f16 v47, v57, v53, v47
	;;#ASMEND
	;; [unrolled: 3-line block ×3, first 2 shown]
	v_cmp_nlt_f32_e64 s[8:9], |v46|, s19
	;;#ASMSTART
	v_dot2_f32_f16 v47, v59, v55, v47
	;;#ASMEND
                                        ; implicit-def: $vgpr49
	s_and_saveexec_b64 s[34:35], s[8:9]
	s_xor_b64 s[8:9], exec, s[34:35]
	s_cbranch_execz .LBB78_11
; %bb.10:                               ;   in Loop: Header=BB78_9 Depth=1
	v_add_f32_e64 v20, |v46|, |v46|
	v_mul_f32_e32 v21, 0x3fb8aa3b, v20
	v_rndne_f32_e32 v48, v21
	v_sub_f32_e32 v49, v21, v48
	v_fma_f32 v21, v20, s24, -v21
	v_fmac_f32_e32 v21, 0x32a5705f, v20
	v_add_f32_e32 v21, v49, v21
	v_cvt_i32_f32_e32 v48, v48
	v_exp_f32_e32 v21, v21
	v_cmp_ngt_f32_e32 vcc, s25, v20
	v_ldexp_f32 v21, v21, v48
	v_cndmask_b32_e32 v21, 0, v21, vcc
	v_cmp_nlt_f32_e32 vcc, s26, v20
	v_cndmask_b32_e32 v20, v41, v21, vcc
	v_add_f32_e32 v20, 1.0, v20
	v_rcp_f32_e32 v20, v20
	v_fma_f32 v49, v20, -2.0, 1.0
.LBB78_11:                              ;   in Loop: Header=BB78_9 Depth=1
	s_andn2_saveexec_b64 s[8:9], s[8:9]
; %bb.12:                               ;   in Loop: Header=BB78_9 Depth=1
	v_mul_f32_e32 v20, v46, v46
	v_mov_b32_e32 v21, 0x3ca908c9
	v_fmac_f32_e32 v21, 0xbbbac73d, v20
	v_fma_f32 v21, v20, v21, v38
	v_fma_f32 v21, v20, v21, v39
	v_fma_f32 v21, v20, v21, v40
	v_mul_f32_e64 v21, |v46|, v21
	v_fma_f32 v49, v20, v21, |v46|
; %bb.13:                               ;   in Loop: Header=BB78_9 Depth=1
	s_or_b64 exec, exec, s[8:9]
	v_add_u32_e32 v20, s6, v2
	v_ashrrev_i32_e32 v21, 31, v20
	v_lshlrev_b64 v[20:21], 1, v[20:21]
	v_mov_b32_e32 v48, s31
	v_add_co_u32_e32 v20, vcc, s30, v20
	v_addc_co_u32_e32 v21, vcc, v48, v21, vcc
	flat_load_ushort v48, v[20:21]
	v_cmp_nlt_f32_e64 s[8:9], |v47|, s19
                                        ; implicit-def: $vgpr50
	s_and_saveexec_b64 s[34:35], s[8:9]
	s_xor_b64 s[8:9], exec, s[34:35]
	s_cbranch_execz .LBB78_15
; %bb.14:                               ;   in Loop: Header=BB78_9 Depth=1
	v_add_f32_e64 v50, |v47|, |v47|
	v_mul_f32_e32 v51, 0x3fb8aa3b, v50
	v_rndne_f32_e32 v52, v51
	v_sub_f32_e32 v53, v51, v52
	v_fma_f32 v51, v50, s24, -v51
	v_fmac_f32_e32 v51, 0x32a5705f, v50
	v_add_f32_e32 v51, v53, v51
	v_cvt_i32_f32_e32 v52, v52
	v_exp_f32_e32 v51, v51
	v_cmp_ngt_f32_e32 vcc, s25, v50
	v_ldexp_f32 v51, v51, v52
	v_cndmask_b32_e32 v51, 0, v51, vcc
	v_cmp_nlt_f32_e32 vcc, s26, v50
	v_cndmask_b32_e32 v50, v41, v51, vcc
	v_add_f32_e32 v50, 1.0, v50
	v_rcp_f32_e32 v50, v50
	v_fma_f32 v50, v50, -2.0, 1.0
.LBB78_15:                              ;   in Loop: Header=BB78_9 Depth=1
	s_andn2_saveexec_b64 s[8:9], s[8:9]
; %bb.16:                               ;   in Loop: Header=BB78_9 Depth=1
	v_mul_f32_e32 v50, v47, v47
	v_mov_b32_e32 v51, 0x3ca908c9
	v_fmac_f32_e32 v51, 0xbbbac73d, v50
	v_fma_f32 v51, v50, v51, v38
	v_fma_f32 v51, v50, v51, v39
	;; [unrolled: 1-line block ×3, first 2 shown]
	v_mul_f32_e64 v51, |v47|, v51
	v_fma_f32 v50, v50, v51, |v47|
; %bb.17:                               ;   in Loop: Header=BB78_9 Depth=1
	s_or_b64 exec, exec, s[8:9]
	flat_load_ushort v20, v[20:21] offset:64
	v_bfi_b32 v52, s27, v50, v47
	v_and_b32_e32 v47, 0x60, v3
	s_mul_hi_i32 s9, s6, s15
	s_mul_i32 s8, s6, s15
	v_xor_b32_e32 v21, 16, v3
	v_add_u32_e32 v47, 32, v47
	s_lshl_b64 s[8:9], s[8:9], 2
	v_bfi_b32 v49, s27, v49, v46
	v_xor_b32_e32 v46, 8, v3
	v_cmp_lt_i32_e32 vcc, v21, v47
	s_add_u32 s8, s12, s8
	s_waitcnt vmcnt(0) lgkmcnt(0)
	v_fma_mix_f32 v72, v49, s14, v48 op_sel_hi:[0,0,1]
	v_cndmask_b32_e32 v48, v3, v21, vcc
	v_cmp_lt_i32_e32 vcc, v46, v47
	s_addc_u32 s9, s13, s9
	v_cndmask_b32_e32 v49, v3, v46, vcc
	v_lshlrev_b32_e32 v54, 2, v48
	v_mov_b32_e32 v48, s9
	v_add_co_u32_e32 v55, vcc, s8, v12
	v_addc_co_u32_e32 v56, vcc, v48, v13, vcc
	v_lshlrev_b32_e32 v73, 2, v49
	v_mov_b32_e32 v49, s9
	v_add_co_u32_e32 v57, vcc, s8, v14
	v_addc_co_u32_e32 v58, vcc, v49, v15, vcc
	v_mov_b32_e32 v50, s9
	v_add_co_u32_e32 v59, vcc, s8, v16
	v_addc_co_u32_e32 v60, vcc, v50, v17, vcc
	;; [unrolled: 3-line block ×3, first 2 shown]
	v_add_co_u32_e32 v48, vcc, v55, v37
	v_addc_co_u32_e32 v49, vcc, 0, v56, vcc
	v_add_co_u32_e32 v50, vcc, v57, v37
	v_addc_co_u32_e32 v51, vcc, 0, v58, vcc
	v_add_co_u32_e32 v68, vcc, v59, v37
	v_add_f32_e32 v53, 0x40051340, v72
	v_addc_co_u32_e32 v69, vcc, 0, v60, vcc
	v_add_co_u32_e32 v70, vcc, v61, v37
	s_barrier
	v_addc_co_u32_e32 v71, vcc, 0, v62, vcc
	v_fma_mix_f32 v74, v52, s14, v20 op_sel_hi:[0,0,1]
	v_add_f32_e32 v20, 0x40051340, v74
	v_max3_f32 v20, v45, v53, v20
	ds_bpermute_b32 v75, v54, v20
	global_load_dwordx4 v[52:55], v[48:49], off
	global_load_dwordx4 v[56:59], v[50:51], off
	;; [unrolled: 1-line block ×4, first 2 shown]
	s_waitcnt lgkmcnt(0)
	v_max_f32_e32 v48, v75, v75
	v_max_f32_e32 v20, v20, v48
	ds_bpermute_b32 v49, v73, v20
	v_xor_b32_e32 v48, 4, v3
	v_cmp_lt_i32_e32 vcc, v48, v47
	v_cndmask_b32_e32 v50, v3, v48, vcc
	v_lshlrev_b32_e32 v50, 2, v50
	s_waitcnt lgkmcnt(0)
	v_max_f32_e32 v49, v49, v49
	v_max_f32_e32 v20, v20, v49
	ds_bpermute_b32 v50, v50, v20
	v_xor_b32_e32 v49, 2, v3
	v_cmp_lt_i32_e32 vcc, v49, v47
	v_cndmask_b32_e32 v51, v3, v49, vcc
	v_lshlrev_b32_e32 v51, 2, v51
	;; [unrolled: 8-line block ×3, first 2 shown]
	s_waitcnt lgkmcnt(0)
	v_max_f32_e32 v51, v51, v51
	v_max_f32_e32 v20, v20, v51
	ds_bpermute_b32 v51, v68, v20
	s_waitcnt lgkmcnt(0)
	v_max_f32_e32 v51, v51, v51
	v_max_f32_e32 v20, v20, v51
	v_sub_f32_e32 v51, v72, v20
	v_sub_f32_e32 v68, v74, v20
	v_mul_f32_e32 v69, 0x3fb8aa3b, v51
	v_mul_f32_e32 v70, 0x3fb8aa3b, v68
	v_fma_f32 v72, v51, s24, -v69
	v_rndne_f32_e32 v73, v69
	v_fma_f32 v74, v68, s24, -v70
	v_rndne_f32_e32 v75, v70
	v_fmac_f32_e32 v72, 0x32a5705f, v51
	v_sub_f32_e32 v69, v69, v73
	v_fmac_f32_e32 v74, 0x32a5705f, v68
	v_sub_f32_e32 v70, v70, v75
	v_add_f32_e32 v69, v69, v72
	v_cvt_i32_f32_e32 v73, v73
	v_add_f32_e32 v70, v70, v74
	v_exp_f32_e32 v69, v69
	v_cvt_i32_f32_e32 v75, v75
	v_exp_f32_e32 v70, v70
	v_sub_f32_e32 v45, v45, v20
	v_mul_f32_e32 v71, 0x3fb8aa3b, v45
	v_fma_f32 v76, v45, s24, -v71
	v_rndne_f32_e32 v77, v71
	v_ldexp_f32 v69, v69, v73
	v_cmp_ngt_f32_e32 vcc, s25, v51
	v_fmac_f32_e32 v76, 0x32a5705f, v45
	v_sub_f32_e32 v71, v71, v77
	v_ldexp_f32 v70, v70, v75
	v_cndmask_b32_e32 v69, 0, v69, vcc
	v_cmp_ngt_f32_e32 vcc, s25, v68
	v_add_f32_e32 v71, v71, v76
	v_cndmask_b32_e32 v70, 0, v70, vcc
	v_cmp_nlt_f32_e32 vcc, s26, v51
	v_cvt_i32_f32_e32 v77, v77
	v_exp_f32_e32 v71, v71
	v_cndmask_b32_e32 v51, v41, v69, vcc
	v_cmp_nlt_f32_e32 vcc, s26, v68
	v_cndmask_b32_e32 v68, v41, v70, vcc
	v_cvt_f16_f32_e32 v69, v51
	v_add_f32_e32 v51, v51, v68
	v_cvt_f16_f32_e32 v68, v68
	v_ldexp_f32 v70, v71, v77
	v_cmp_ngt_f32_e32 vcc, s25, v45
	v_cndmask_b32_e32 v70, 0, v70, vcc
	v_cmp_nlt_f32_e32 vcc, s26, v45
	v_cndmask_b32_e32 v45, v41, v70, vcc
	ds_write_b16 v31, v69
	ds_write_b16 v31, v68 offset:64
	s_waitcnt vmcnt(3)
	ds_write_b128 v32, v[52:55]
	s_waitcnt vmcnt(2)
	ds_write_b128 v33, v[56:59]
	;; [unrolled: 2-line block ×4, first 2 shown]
	s_waitcnt lgkmcnt(0)
	s_barrier
	ds_read2_b64 v[52:55], v36 offset1:32
	ds_read_b128 v[56:59], v30
	v_fmac_f32_e32 v51, v44, v45
	v_cvt_f16_f32_e32 v44, v45
	ds_read_b128 v[60:63], v30 offset:16
	ds_read_b128 v[64:67], v30 offset:32
	;; [unrolled: 1-line block ×3, first 2 shown]
	ds_read2_b64 v[72:75], v36 offset0:64 offset1:96
	s_waitcnt lgkmcnt(4)
	v_pk_mul_f16 v45, v52, v56 op_sel_hi:[1,0]
	v_pk_fma_f16 v42, v42, v44, v45 op_sel_hi:[1,0,1]
	v_pk_mul_f16 v45, v53, v56 op_sel_hi:[1,0]
	v_pk_fma_f16 v43, v43, v44, v45 op_sel_hi:[1,0,1]
	v_pk_fma_f16 v42, v54, v56, v42 op_sel:[0,1,0]
	v_pk_fma_f16 v52, v55, v56, v43 op_sel:[0,1,0]
	s_waitcnt lgkmcnt(0)
	v_pk_fma_f16 v53, v72, v57, v42 op_sel_hi:[1,0,1]
	ds_read2_b64 v[42:45], v36 offset0:128 offset1:160
	v_pk_fma_f16 v52, v73, v57, v52 op_sel_hi:[1,0,1]
	v_pk_fma_f16 v56, v74, v57, v53 op_sel:[0,1,0]
	v_pk_fma_f16 v57, v75, v57, v52 op_sel:[0,1,0]
	ds_read2_b64 v[52:55], v36 offset0:192 offset1:224
	s_waitcnt lgkmcnt(1)
	v_pk_fma_f16 v42, v42, v58, v56 op_sel_hi:[1,0,1]
	v_pk_fma_f16 v43, v43, v58, v57 op_sel_hi:[1,0,1]
	v_pk_fma_f16 v42, v44, v58, v42 op_sel:[0,1,0]
	v_add_u32_e32 v57, 0x800, v36
	v_pk_fma_f16 v56, v45, v58, v43 op_sel:[0,1,0]
	s_waitcnt lgkmcnt(0)
	v_pk_fma_f16 v52, v52, v59, v42 op_sel_hi:[1,0,1]
	ds_read2_b64 v[42:45], v57 offset1:32
	v_pk_fma_f16 v53, v53, v59, v56 op_sel_hi:[1,0,1]
	v_pk_fma_f16 v56, v54, v59, v52 op_sel:[0,1,0]
	v_pk_fma_f16 v58, v55, v59, v53 op_sel:[0,1,0]
	ds_read2_b64 v[52:55], v57 offset0:64 offset1:96
	s_waitcnt lgkmcnt(1)
	v_pk_fma_f16 v42, v42, v60, v56 op_sel_hi:[1,0,1]
	v_pk_fma_f16 v43, v43, v60, v58 op_sel_hi:[1,0,1]
	v_pk_fma_f16 v42, v44, v60, v42 op_sel:[0,1,0]
	v_pk_fma_f16 v56, v45, v60, v43 op_sel:[0,1,0]
	s_waitcnt lgkmcnt(0)
	v_pk_fma_f16 v52, v52, v61, v42 op_sel_hi:[1,0,1]
	ds_read2_b64 v[42:45], v57 offset0:128 offset1:160
	v_pk_fma_f16 v53, v53, v61, v56 op_sel_hi:[1,0,1]
	v_pk_fma_f16 v56, v54, v61, v52 op_sel:[0,1,0]
	v_pk_fma_f16 v58, v55, v61, v53 op_sel:[0,1,0]
	ds_read2_b64 v[52:55], v57 offset0:192 offset1:224
	s_waitcnt lgkmcnt(1)
	v_pk_fma_f16 v42, v42, v62, v56 op_sel_hi:[1,0,1]
	v_pk_fma_f16 v43, v43, v62, v58 op_sel_hi:[1,0,1]
	v_pk_fma_f16 v42, v44, v62, v42 op_sel:[0,1,0]
	v_add_u32_e32 v57, 0x1000, v36
	v_pk_fma_f16 v56, v45, v62, v43 op_sel:[0,1,0]
	s_waitcnt lgkmcnt(0)
	v_pk_fma_f16 v52, v52, v63, v42 op_sel_hi:[1,0,1]
	ds_read2_b64 v[42:45], v57 offset1:32
	v_pk_fma_f16 v53, v53, v63, v56 op_sel_hi:[1,0,1]
	v_pk_fma_f16 v56, v54, v63, v52 op_sel:[0,1,0]
	v_pk_fma_f16 v58, v55, v63, v53 op_sel:[0,1,0]
	ds_read2_b64 v[52:55], v57 offset0:64 offset1:96
	s_waitcnt lgkmcnt(1)
	v_pk_fma_f16 v42, v42, v64, v56 op_sel_hi:[1,0,1]
	;; [unrolled: 25-line block ×3, first 2 shown]
	v_pk_fma_f16 v43, v43, v68, v58 op_sel_hi:[1,0,1]
	v_pk_fma_f16 v42, v44, v68, v42 op_sel:[0,1,0]
	v_pk_fma_f16 v56, v45, v68, v43 op_sel:[0,1,0]
	s_waitcnt lgkmcnt(0)
	v_pk_fma_f16 v52, v52, v69, v42 op_sel_hi:[1,0,1]
	ds_read2_b64 v[42:45], v57 offset0:128 offset1:160
	v_pk_fma_f16 v53, v53, v69, v56 op_sel_hi:[1,0,1]
	v_pk_fma_f16 v56, v54, v69, v52 op_sel:[0,1,0]
	v_pk_fma_f16 v58, v55, v69, v53 op_sel:[0,1,0]
	ds_read2_b64 v[52:55], v57 offset0:192 offset1:224
	s_waitcnt lgkmcnt(1)
	v_pk_fma_f16 v42, v42, v70, v56 op_sel_hi:[1,0,1]
	v_pk_fma_f16 v43, v43, v70, v58 op_sel_hi:[1,0,1]
	v_pk_fma_f16 v42, v44, v70, v42 op_sel:[0,1,0]
	v_pk_fma_f16 v43, v45, v70, v43 op_sel:[0,1,0]
	v_add_u32_e32 v64, 0x2000, v36
	s_waitcnt lgkmcnt(0)
	v_pk_fma_f16 v52, v52, v71, v42 op_sel_hi:[1,0,1]
	v_pk_fma_f16 v53, v53, v71, v43 op_sel_hi:[1,0,1]
	ds_read2_b64 v[42:45], v64 offset1:32
	ds_read_b128 v[56:59], v30 offset:64
	v_pk_fma_f16 v65, v54, v71, v52 op_sel:[0,1,0]
	v_pk_fma_f16 v66, v55, v71, v53 op_sel:[0,1,0]
	ds_read2_b64 v[52:55], v64 offset0:64 offset1:96
	ds_read_b128 v[60:63], v30 offset:80
	s_waitcnt lgkmcnt(2)
	v_pk_fma_f16 v42, v42, v56, v65 op_sel_hi:[1,0,1]
	v_pk_fma_f16 v43, v43, v56, v66 op_sel_hi:[1,0,1]
	v_pk_fma_f16 v42, v44, v56, v42 op_sel:[0,1,0]
	v_pk_fma_f16 v56, v45, v56, v43 op_sel:[0,1,0]
	s_waitcnt lgkmcnt(1)
	v_pk_fma_f16 v52, v52, v57, v42 op_sel_hi:[1,0,1]
	ds_read2_b64 v[42:45], v64 offset0:128 offset1:160
	v_pk_fma_f16 v53, v53, v57, v56 op_sel_hi:[1,0,1]
	v_pk_fma_f16 v56, v54, v57, v52 op_sel:[0,1,0]
	v_pk_fma_f16 v57, v55, v57, v53 op_sel:[0,1,0]
	ds_read2_b64 v[52:55], v64 offset0:192 offset1:224
	s_waitcnt lgkmcnt(1)
	v_pk_fma_f16 v42, v42, v58, v56 op_sel_hi:[1,0,1]
	v_pk_fma_f16 v43, v43, v58, v57 op_sel_hi:[1,0,1]
	v_pk_fma_f16 v42, v44, v58, v42 op_sel:[0,1,0]
	v_add_u32_e32 v57, 0x2800, v36
	v_pk_fma_f16 v56, v45, v58, v43 op_sel:[0,1,0]
	s_waitcnt lgkmcnt(0)
	v_pk_fma_f16 v52, v52, v59, v42 op_sel_hi:[1,0,1]
	ds_read2_b64 v[42:45], v57 offset1:32
	v_pk_fma_f16 v53, v53, v59, v56 op_sel_hi:[1,0,1]
	v_pk_fma_f16 v56, v54, v59, v52 op_sel:[0,1,0]
	v_pk_fma_f16 v58, v55, v59, v53 op_sel:[0,1,0]
	ds_read2_b64 v[52:55], v57 offset0:64 offset1:96
	s_waitcnt lgkmcnt(1)
	v_pk_fma_f16 v42, v42, v60, v56 op_sel_hi:[1,0,1]
	v_pk_fma_f16 v43, v43, v60, v58 op_sel_hi:[1,0,1]
	v_pk_fma_f16 v42, v44, v60, v42 op_sel:[0,1,0]
	v_pk_fma_f16 v56, v45, v60, v43 op_sel:[0,1,0]
	s_waitcnt lgkmcnt(0)
	v_pk_fma_f16 v52, v52, v61, v42 op_sel_hi:[1,0,1]
	ds_read2_b64 v[42:45], v57 offset0:128 offset1:160
	v_pk_fma_f16 v53, v53, v61, v56 op_sel_hi:[1,0,1]
	v_pk_fma_f16 v56, v54, v61, v52 op_sel:[0,1,0]
	v_pk_fma_f16 v58, v55, v61, v53 op_sel:[0,1,0]
	ds_read2_b64 v[52:55], v57 offset0:192 offset1:224
	s_waitcnt lgkmcnt(1)
	v_pk_fma_f16 v42, v42, v62, v56 op_sel_hi:[1,0,1]
	v_pk_fma_f16 v43, v43, v62, v58 op_sel_hi:[1,0,1]
	v_pk_fma_f16 v42, v44, v62, v42 op_sel:[0,1,0]
	v_add_u32_e32 v64, 0x3000, v36
	v_pk_fma_f16 v60, v45, v62, v43 op_sel:[0,1,0]
	s_waitcnt lgkmcnt(0)
	v_pk_fma_f16 v52, v52, v63, v42 op_sel_hi:[1,0,1]
	ds_read2_b64 v[42:45], v64 offset1:32
	ds_read_b128 v[56:59], v30 offset:96
	v_pk_fma_f16 v53, v53, v63, v60 op_sel_hi:[1,0,1]
	v_pk_fma_f16 v60, v54, v63, v52 op_sel:[0,1,0]
	v_pk_fma_f16 v65, v55, v63, v53 op_sel:[0,1,0]
	ds_read_b128 v[52:55], v30 offset:112
	s_waitcnt lgkmcnt(1)
	v_pk_fma_f16 v42, v42, v56, v60 op_sel_hi:[1,0,1]
	ds_read2_b64 v[60:63], v64 offset0:64 offset1:96
	v_pk_fma_f16 v43, v43, v56, v65 op_sel_hi:[1,0,1]
	v_pk_fma_f16 v65, v44, v56, v42 op_sel:[0,1,0]
	v_pk_fma_f16 v56, v45, v56, v43 op_sel:[0,1,0]
	ds_read2_b64 v[42:45], v64 offset0:128 offset1:160
	s_waitcnt lgkmcnt(1)
	v_pk_fma_f16 v60, v60, v57, v65 op_sel_hi:[1,0,1]
	v_pk_fma_f16 v56, v61, v57, v56 op_sel_hi:[1,0,1]
	v_pk_fma_f16 v60, v62, v57, v60 op_sel:[0,1,0]
	v_pk_fma_f16 v56, v63, v57, v56 op_sel:[0,1,0]
	s_waitcnt lgkmcnt(0)
	v_pk_fma_f16 v42, v42, v58, v60 op_sel_hi:[1,0,1]
	ds_read2_b64 v[60:63], v64 offset0:192 offset1:224
	v_pk_fma_f16 v43, v43, v58, v56 op_sel_hi:[1,0,1]
	v_add_u32_e32 v64, 0x3800, v36
	v_pk_fma_f16 v56, v44, v58, v42 op_sel:[0,1,0]
	v_pk_fma_f16 v57, v45, v58, v43 op_sel:[0,1,0]
	ds_read2_b64 v[42:45], v64 offset1:32
	s_waitcnt lgkmcnt(1)
	v_pk_fma_f16 v56, v60, v59, v56 op_sel_hi:[1,0,1]
	v_pk_fma_f16 v57, v61, v59, v57 op_sel_hi:[1,0,1]
	v_pk_fma_f16 v56, v62, v59, v56 op_sel:[0,1,0]
	v_pk_fma_f16 v60, v63, v59, v57 op_sel:[0,1,0]
	s_waitcnt lgkmcnt(0)
	v_pk_fma_f16 v42, v42, v52, v56 op_sel_hi:[1,0,1]
	ds_read2_b64 v[56:59], v64 offset0:64 offset1:96
	v_pk_fma_f16 v43, v43, v52, v60 op_sel_hi:[1,0,1]
	v_pk_fma_f16 v60, v44, v52, v42 op_sel:[0,1,0]
	v_pk_fma_f16 v52, v45, v52, v43 op_sel:[0,1,0]
	ds_read2_b64 v[42:45], v64 offset0:128 offset1:160
	s_waitcnt lgkmcnt(1)
	v_pk_fma_f16 v56, v56, v53, v60 op_sel_hi:[1,0,1]
	v_pk_fma_f16 v52, v57, v53, v52 op_sel_hi:[1,0,1]
	v_pk_fma_f16 v56, v58, v53, v56 op_sel:[0,1,0]
	v_pk_fma_f16 v52, v59, v53, v52 op_sel:[0,1,0]
	s_waitcnt lgkmcnt(0)
	v_pk_fma_f16 v42, v42, v54, v56 op_sel_hi:[1,0,1]
	ds_read2_b64 v[56:59], v64 offset0:192 offset1:224
	s_waitcnt lgkmcnt(0)
	s_barrier
	s_load_dword s8, s[0:1], 0x4
	v_pk_fma_f16 v43, v43, v54, v52 op_sel_hi:[1,0,1]
	v_pk_fma_f16 v42, v44, v54, v42 op_sel:[0,1,0]
	v_pk_fma_f16 v43, v45, v54, v43 op_sel:[0,1,0]
	v_pk_fma_f16 v42, v56, v55, v42 op_sel_hi:[1,0,1]
	s_waitcnt lgkmcnt(0)
	s_lshl_b32 s8, s8, 6
	v_pk_fma_f16 v43, v57, v55, v43 op_sel_hi:[1,0,1]
	s_add_i32 s6, s8, s6
	v_pk_fma_f16 v42, v58, v55, v42 op_sel:[0,1,0]
	s_cmp_lt_i32 s6, s28
	v_pk_fma_f16 v43, v59, v55, v43 op_sel:[0,1,0]
	s_cbranch_scc0 .LBB78_19
; %bb.18:                               ;   in Loop: Header=BB78_9 Depth=1
	v_mov_b32_e32 v45, v20
	v_mov_b32_e32 v44, v51
	s_branch .LBB78_9
.LBB78_19:
	v_cmp_lt_i32_e32 vcc, v21, v47
	v_cndmask_b32_e32 v2, v3, v21, vcc
	v_lshlrev_b32_e32 v2, 2, v2
	ds_bpermute_b32 v2, v2, v51
	v_cmp_lt_i32_e32 vcc, v46, v47
	v_cndmask_b32_e32 v4, v3, v46, vcc
	v_lshlrev_b32_e32 v4, 2, v4
	v_cmp_lt_i32_e32 vcc, v48, v47
	s_waitcnt lgkmcnt(0)
	v_add_f32_e32 v2, v51, v2
	ds_bpermute_b32 v4, v4, v2
	v_cndmask_b32_e32 v5, v3, v48, vcc
	v_lshlrev_b32_e32 v5, 2, v5
	v_cmp_lt_i32_e32 vcc, v49, v47
	s_cmp_eq_u64 s[16:17], 0
	s_waitcnt lgkmcnt(0)
	v_add_f32_e32 v2, v2, v4
	ds_bpermute_b32 v4, v5, v2
	v_cndmask_b32_e32 v5, v3, v49, vcc
	v_lshlrev_b32_e32 v5, 2, v5
	v_cmp_lt_i32_e32 vcc, v50, v47
	v_cndmask_b32_e32 v3, v3, v50, vcc
	s_waitcnt lgkmcnt(0)
	v_add_f32_e32 v2, v2, v4
	ds_bpermute_b32 v4, v5, v2
	v_lshlrev_b32_e32 v3, 2, v3
	s_cselect_b64 s[0:1], -1, 0
	s_cmp_lg_u32 s7, 0
	s_cselect_b64 s[8:9], -1, 0
	s_waitcnt lgkmcnt(0)
	v_add_f32_e32 v2, v2, v4
	ds_bpermute_b32 v3, v3, v2
	s_or_b64 s[0:1], s[8:9], s[0:1]
	s_and_b64 vcc, exec, s[0:1]
	s_waitcnt lgkmcnt(0)
	v_add_f32_e32 v21, v2, v3
	s_cbranch_vccnz .LBB78_22
; %bb.20:
	v_add_u32_e32 v2, s29, v1
	v_ashrrev_i32_e32 v3, 31, v2
	v_lshlrev_b64 v[2:3], 2, v[2:3]
	v_mov_b32_e32 v4, s17
	v_add_co_u32_e32 v2, vcc, s16, v2
	v_addc_co_u32_e32 v3, vcc, v4, v3, vcc
	global_load_dword v3, v[2:3], off
	v_max_f32_e32 v2, v20, v20
	s_mov_b32 s0, 0x3fb8aa3b
	s_mov_b32 s1, 0xc2ce8ed0
	s_waitcnt vmcnt(0)
	v_max_f32_e32 v4, v3, v3
	v_max_f32_e32 v2, v2, v4
	v_sub_f32_e32 v4, v20, v2
	v_sub_f32_e32 v3, v3, v2
	v_mul_f32_e32 v5, 0x3fb8aa3b, v4
	v_mul_f32_e32 v6, 0x3fb8aa3b, v3
	v_fma_f32 v7, v4, s0, -v5
	v_rndne_f32_e32 v8, v5
	v_fma_f32 v9, v3, s0, -v6
	v_rndne_f32_e32 v10, v6
	v_fmac_f32_e32 v7, 0x32a5705f, v4
	v_sub_f32_e32 v5, v5, v8
	v_fmac_f32_e32 v9, 0x32a5705f, v3
	v_sub_f32_e32 v6, v6, v10
	v_add_f32_e32 v5, v5, v7
	v_cvt_i32_f32_e32 v8, v8
	v_add_f32_e32 v6, v6, v9
	v_exp_f32_e32 v5, v5
	v_cvt_i32_f32_e32 v10, v10
	v_exp_f32_e32 v6, v6
	v_cmp_ngt_f32_e32 vcc, s1, v4
	v_ldexp_f32 v5, v5, v8
	s_mov_b32 s0, 0x42b17218
	v_ldexp_f32 v6, v6, v10
	v_cndmask_b32_e32 v5, 0, v5, vcc
	v_cmp_ngt_f32_e32 vcc, s1, v3
	v_mov_b32_e32 v7, 0x7f800000
	v_cndmask_b32_e32 v6, 0, v6, vcc
	v_cmp_nlt_f32_e32 vcc, s0, v4
	v_cndmask_b32_e32 v4, v7, v5, vcc
	v_cvt_f16_f32_e32 v5, v4
	v_cmp_nlt_f32_e32 vcc, s0, v3
	v_cndmask_b32_e32 v3, v7, v6, vcc
	v_fmac_f32_e32 v3, v21, v4
	v_pk_mul_f16 v42, v5, v42 op_sel_hi:[0,1]
	v_pk_mul_f16 v43, v5, v43 op_sel_hi:[0,1]
	v_pk_mov_b32 v[20:21], v[2:3], v[2:3] op_sel:[0,1]
	v_cmp_gt_i32_e32 vcc, s2, v22
	s_and_saveexec_b64 s[0:1], vcc
	s_cbranch_execnz .LBB78_23
.LBB78_21:
	s_endpgm
.LBB78_22:
	v_mov_b32_e32 v3, v21
	v_cmp_gt_i32_e32 vcc, s2, v22
	s_and_saveexec_b64 s[0:1], vcc
	s_cbranch_execz .LBB78_21
.LBB78_23:
	v_div_scale_f32 v2, s[0:1], v3, v3, 1.0
	v_rcp_f32_e32 v4, v2
	s_load_dword s4, s[4:5], 0xd4
	s_mul_i32 s33, s33, s2
	v_cvt_f32_f16_sdwa v9, v42 dst_sel:DWORD dst_unused:UNUSED_PAD src0_sel:WORD_1
	v_fma_f32 v5, -v2, v4, 1.0
	v_fmac_f32_e32 v4, v5, v4
	v_div_scale_f32 v5, vcc, 1.0, v3, 1.0
	v_mul_f32_e32 v6, v5, v4
	v_fma_f32 v7, -v2, v6, v5
	v_fmac_f32_e32 v6, v7, v4
	v_fma_f32 v2, -v2, v6, v5
	s_waitcnt lgkmcnt(0)
	s_cmp_lg_u32 s4, 1
	v_div_fmas_f32 v2, v2, v4, v6
	v_div_fixup_f32 v2, v2, v3, 1.0
	s_cselect_b64 s[0:1], -1, 0
	v_cndmask_b32_e64 v6, v2, 1.0, s[0:1]
	v_add_u32_e32 v2, s33, v22
	v_mul_lo_u32 v2, v2, s3
	v_add3_u32 v1, s29, v1, v2
	v_mul_lo_u32 v1, s4, v1
	v_add_u32_e32 v2, s7, v1
	v_lshl_add_u32 v4, v2, 7, v23
	v_mov_b32_e32 v5, 0
	v_lshlrev_b64 v[4:5], 2, v[4:5]
	v_cvt_f32_f16_e32 v8, v42
	v_cvt_f32_f16_sdwa v11, v43 dst_sel:DWORD dst_unused:UNUSED_PAD src0_sel:WORD_1
	v_cvt_f32_f16_e32 v10, v43
	v_mov_b32_e32 v1, s21
	v_add_co_u32_e32 v12, vcc, s20, v4
	v_addc_co_u32_e32 v13, vcc, v1, v5, vcc
	v_cmp_eq_u32_e32 vcc, 0, v0
	v_pk_mul_f32 v[4:5], v[6:7], v[8:9] op_sel_hi:[0,1]
	v_pk_mul_f32 v[6:7], v[6:7], v[10:11] op_sel_hi:[0,1]
	s_and_b64 s[0:1], vcc, s[0:1]
	global_store_dwordx4 v[12:13], v[4:7], off
	s_and_b64 exec, exec, s[0:1]
	s_cbranch_execz .LBB78_21
; %bb.24:
	v_ashrrev_i32_e32 v3, 31, v2
	v_lshlrev_b64 v[0:1], 3, v[2:3]
	v_mov_b32_e32 v2, s23
	v_add_co_u32_e32 v0, vcc, s22, v0
	v_addc_co_u32_e32 v1, vcc, v2, v1, vcc
	global_store_dwordx2 v[0:1], v[20:21], off
	s_endpgm
	.section	.rodata,"a",@progbits
	.p2align	6, 0x0
	.amdhsa_kernel _ZL15flash_attn_tileILi128ELi128ELi2ELi4ELb1EEvPKcS1_S1_S1_S1_PKiPfP15HIP_vector_typeIfLj2EEffffjfiS5_IjLj3EEiiiiiiiiiiiliiliiiiil
		.amdhsa_group_segment_fixed_size 20480
		.amdhsa_private_segment_fixed_size 0
		.amdhsa_kernarg_size 464
		.amdhsa_user_sgpr_count 6
		.amdhsa_user_sgpr_private_segment_buffer 1
		.amdhsa_user_sgpr_dispatch_ptr 0
		.amdhsa_user_sgpr_queue_ptr 0
		.amdhsa_user_sgpr_kernarg_segment_ptr 1
		.amdhsa_user_sgpr_dispatch_id 0
		.amdhsa_user_sgpr_flat_scratch_init 0
		.amdhsa_user_sgpr_kernarg_preload_length 0
		.amdhsa_user_sgpr_kernarg_preload_offset 0
		.amdhsa_user_sgpr_private_segment_size 0
		.amdhsa_uses_dynamic_stack 0
		.amdhsa_system_sgpr_private_segment_wavefront_offset 0
		.amdhsa_system_sgpr_workgroup_id_x 1
		.amdhsa_system_sgpr_workgroup_id_y 1
		.amdhsa_system_sgpr_workgroup_id_z 1
		.amdhsa_system_sgpr_workgroup_info 0
		.amdhsa_system_vgpr_workitem_id 1
		.amdhsa_next_free_vgpr 78
		.amdhsa_next_free_sgpr 44
		.amdhsa_accum_offset 80
		.amdhsa_reserve_vcc 1
		.amdhsa_reserve_flat_scratch 0
		.amdhsa_float_round_mode_32 0
		.amdhsa_float_round_mode_16_64 0
		.amdhsa_float_denorm_mode_32 3
		.amdhsa_float_denorm_mode_16_64 3
		.amdhsa_dx10_clamp 1
		.amdhsa_ieee_mode 1
		.amdhsa_fp16_overflow 0
		.amdhsa_tg_split 0
		.amdhsa_exception_fp_ieee_invalid_op 0
		.amdhsa_exception_fp_denorm_src 0
		.amdhsa_exception_fp_ieee_div_zero 0
		.amdhsa_exception_fp_ieee_overflow 0
		.amdhsa_exception_fp_ieee_underflow 0
		.amdhsa_exception_fp_ieee_inexact 0
		.amdhsa_exception_int_div_zero 0
	.end_amdhsa_kernel
	.section	.text._ZL15flash_attn_tileILi128ELi128ELi2ELi4ELb1EEvPKcS1_S1_S1_S1_PKiPfP15HIP_vector_typeIfLj2EEffffjfiS5_IjLj3EEiiiiiiiiiiiliiliiiiil,"axG",@progbits,_ZL15flash_attn_tileILi128ELi128ELi2ELi4ELb1EEvPKcS1_S1_S1_S1_PKiPfP15HIP_vector_typeIfLj2EEffffjfiS5_IjLj3EEiiiiiiiiiiiliiliiiiil,comdat
.Lfunc_end78:
	.size	_ZL15flash_attn_tileILi128ELi128ELi2ELi4ELb1EEvPKcS1_S1_S1_S1_PKiPfP15HIP_vector_typeIfLj2EEffffjfiS5_IjLj3EEiiiiiiiiiiiliiliiiiil, .Lfunc_end78-_ZL15flash_attn_tileILi128ELi128ELi2ELi4ELb1EEvPKcS1_S1_S1_S1_PKiPfP15HIP_vector_typeIfLj2EEffffjfiS5_IjLj3EEiiiiiiiiiiiliiliiiiil
                                        ; -- End function
	.section	.AMDGPU.csdata,"",@progbits
; Kernel info:
; codeLenInByte = 6740
; NumSgprs: 48
; NumVgprs: 78
; NumAgprs: 0
; TotalNumVgprs: 78
; ScratchSize: 0
; MemoryBound: 0
; FloatMode: 240
; IeeeMode: 1
; LDSByteSize: 20480 bytes/workgroup (compile time only)
; SGPRBlocks: 5
; VGPRBlocks: 9
; NumSGPRsForWavesPerEU: 48
; NumVGPRsForWavesPerEU: 78
; AccumOffset: 80
; Occupancy: 3
; WaveLimiterHint : 1
; COMPUTE_PGM_RSRC2:SCRATCH_EN: 0
; COMPUTE_PGM_RSRC2:USER_SGPR: 6
; COMPUTE_PGM_RSRC2:TRAP_HANDLER: 0
; COMPUTE_PGM_RSRC2:TGID_X_EN: 1
; COMPUTE_PGM_RSRC2:TGID_Y_EN: 1
; COMPUTE_PGM_RSRC2:TGID_Z_EN: 1
; COMPUTE_PGM_RSRC2:TIDIG_COMP_CNT: 1
; COMPUTE_PGM_RSRC3_GFX90A:ACCUM_OFFSET: 19
; COMPUTE_PGM_RSRC3_GFX90A:TG_SPLIT: 0
	.section	.text._ZL15flash_attn_tileILi128ELi128ELi1ELi4ELb1EEvPKcS1_S1_S1_S1_PKiPfP15HIP_vector_typeIfLj2EEffffjfiS5_IjLj3EEiiiiiiiiiiiliiliiiiil,"axG",@progbits,_ZL15flash_attn_tileILi128ELi128ELi1ELi4ELb1EEvPKcS1_S1_S1_S1_PKiPfP15HIP_vector_typeIfLj2EEffffjfiS5_IjLj3EEiiiiiiiiiiiliiliiiiil,comdat
	.globl	_ZL15flash_attn_tileILi128ELi128ELi1ELi4ELb1EEvPKcS1_S1_S1_S1_PKiPfP15HIP_vector_typeIfLj2EEffffjfiS5_IjLj3EEiiiiiiiiiiiliiliiiiil ; -- Begin function _ZL15flash_attn_tileILi128ELi128ELi1ELi4ELb1EEvPKcS1_S1_S1_S1_PKiPfP15HIP_vector_typeIfLj2EEffffjfiS5_IjLj3EEiiiiiiiiiiiliiliiiiil
	.p2align	8
	.type	_ZL15flash_attn_tileILi128ELi128ELi1ELi4ELb1EEvPKcS1_S1_S1_S1_PKiPfP15HIP_vector_typeIfLj2EEffffjfiS5_IjLj3EEiiiiiiiiiiiliiliiiiil,@function
_ZL15flash_attn_tileILi128ELi128ELi1ELi4ELb1EEvPKcS1_S1_S1_S1_PKiPfP15HIP_vector_typeIfLj2EEffffjfiS5_IjLj3EEiiiiiiiiiiiliiliiiiil: ; @_ZL15flash_attn_tileILi128ELi128ELi1ELi4ELb1EEvPKcS1_S1_S1_S1_PKiPfP15HIP_vector_typeIfLj2EEffffjfiS5_IjLj3EEiiiiiiiiiiiliiliiiiil
; %bb.0:
	s_load_dwordx4 s[0:3], s[4:5], 0x5c
	s_load_dwordx2 s[28:29], s[4:5], 0x80
	s_load_dwordx2 s[34:35], s[4:5], 0xb8
	s_mov_b64 s[30:31], 0
	s_waitcnt lgkmcnt(0)
	s_ashr_i32 s9, s3, 31
	s_lshr_b32 s9, s9, 30
	s_add_i32 s9, s3, s9
	s_ashr_i32 s9, s9, 2
	v_cvt_f32_u32_e32 v1, s9
	s_sub_i32 s10, 0, s9
	v_rcp_iflag_f32_e32 v1, v1
	v_mul_f32_e32 v1, 0x4f7ffffe, v1
	v_cvt_u32_f32_e32 v1, v1
	v_readfirstlane_b32 s11, v1
	s_mul_i32 s10, s10, s11
	s_mul_hi_u32 s10, s11, s10
	s_add_i32 s11, s11, s10
	s_mul_hi_u32 s10, s8, s11
	s_mul_i32 s11, s10, s9
	s_sub_i32 s11, s8, s11
	s_add_i32 s12, s10, 1
	s_sub_i32 s13, s11, s9
	s_cmp_ge_u32 s11, s9
	s_cselect_b32 s10, s12, s10
	s_cselect_b32 s11, s13, s11
	s_add_i32 s12, s10, 1
	s_cmp_ge_u32 s11, s9
	s_cselect_b32 s33, s12, s10
	s_abs_i32 s9, s29
	v_cvt_f32_u32_e32 v1, s9
	s_lshl_b32 s8, s8, 2
	s_mul_i32 s12, s33, s3
	s_xor_b32 s10, s3, s29
	v_rcp_iflag_f32_e32 v1, v1
	s_sub_i32 s13, 0, s9
	s_sub_i32 s29, s8, s12
	s_abs_i32 s11, s3
	v_mul_f32_e32 v1, 0x4f7ffffe, v1
	v_cvt_u32_f32_e32 v1, v1
	s_ashr_i32 s10, s10, 31
	v_readfirstlane_b32 s8, v1
	s_mul_i32 s13, s13, s8
	s_mul_hi_u32 s12, s8, s13
	s_add_i32 s8, s8, s12
	s_mul_hi_u32 s8, s11, s8
	s_mul_i32 s12, s8, s9
	s_sub_i32 s11, s11, s12
	s_add_i32 s13, s8, 1
	s_sub_i32 s12, s11, s9
	s_cmp_ge_u32 s11, s9
	s_cselect_b32 s8, s13, s8
	s_cselect_b32 s11, s12, s11
	s_add_i32 s12, s8, 1
	s_cmp_ge_u32 s11, s9
	s_cselect_b32 s8, s12, s8
	s_xor_b32 s8, s8, s10
	s_sub_i32 s37, s8, s10
	s_abs_i32 s36, s37
	v_cvt_f32_u32_e32 v1, s36
	s_load_dwordx16 s[8:23], s[4:5], 0x0
	v_rcp_iflag_f32_e32 v1, v1
	s_waitcnt lgkmcnt(0)
	s_cmp_eq_u64 s[14:15], 0
	v_mul_f32_e32 v1, 0x4f7ffffe, v1
	v_cvt_u32_f32_e32 v1, v1
	v_readfirstlane_b32 s24, v1
	s_cbranch_scc1 .LBB79_2
; %bb.1:
	s_abs_i32 s25, s34
	v_cvt_f32_u32_e32 v1, s25
	s_sub_i32 s34, 0, s25
	s_abs_i32 s31, s33
	s_ashr_i32 s30, s33, 31
	v_rcp_iflag_f32_e32 v1, v1
	s_load_dwordx2 s[26:27], s[4:5], 0xc8
	v_mul_f32_e32 v1, 0x4f7ffffe, v1
	v_cvt_u32_f32_e32 v1, v1
	v_readfirstlane_b32 s38, v1
	s_mul_i32 s34, s34, s38
	s_mul_hi_u32 s34, s38, s34
	s_add_i32 s38, s38, s34
	s_mul_hi_u32 s34, s31, s38
	s_mul_i32 s34, s34, s25
	s_sub_i32 s31, s31, s34
	s_sub_i32 s34, s31, s25
	s_cmp_ge_u32 s31, s25
	s_cselect_b32 s31, s34, s31
	s_sub_i32 s34, s31, s25
	s_cmp_ge_u32 s31, s25
	s_cselect_b32 s25, s34, s31
	s_xor_b32 s25, s25, s30
	s_sub_i32 s25, s25, s30
	s_ashr_i32 s30, s25, 31
	s_waitcnt lgkmcnt(0)
	s_mul_i32 s27, s25, s27
	s_mul_hi_u32 s31, s25, s26
	s_add_i32 s27, s31, s27
	s_mul_i32 s30, s30, s26
	s_add_i32 s27, s27, s30
	s_mul_i32 s25, s25, s26
	s_add_u32 s30, s14, s25
	s_addc_u32 s31, s15, s27
.LBB79_2:
	s_load_dwordx4 s[40:43], s[4:5], 0x70
	v_bfe_u32 v4, v0, 10, 10
	v_and_b32_e32 v38, 3, v4
	v_lshrrev_b32_e32 v1, 2, v4
	v_add_u32_e32 v1, s6, v1
	s_waitcnt lgkmcnt(0)
	s_mul_i32 s14, s33, s42
	s_ashr_i32 s25, s14, 31
	s_mul_i32 s15, s29, s41
	s_add_u32 s8, s8, s14
	s_addc_u32 s9, s9, s25
	s_ashr_i32 s14, s15, 31
	s_add_u32 s15, s8, s15
	s_addc_u32 s14, s9, s14
	s_ashr_i32 s25, s41, 31
	v_mov_b32_e32 v2, s41
	v_alignbit_b32 v2, s25, v2, 2
	v_mad_u64_u32 v[6:7], s[8:9], v2, v38, 0
	v_mov_b32_e32 v2, v7
	s_lshr_b32 s8, s25, 2
	v_mad_u64_u32 v[2:3], s[8:9], s8, v38, v[2:3]
	v_mov_b32_e32 v7, v2
	v_mul_hi_u32 v2, s0, v1
	v_add_u32_e32 v2, v1, v2
	v_lshrrev_b32_e32 v2, s1, v2
	v_mul_lo_u32 v2, v2, s2
	s_ashr_i32 s8, s40, 31
	v_mov_b32_e32 v3, s40
	v_sub_u32_e32 v2, v1, v2
	v_alignbit_b32 v3, s8, v3, 2
	v_mad_u64_u32 v[8:9], s[0:1], v3, v2, 0
	v_mov_b32_e32 v10, v9
	s_lshr_b32 s0, s8, 2
	v_mad_u64_u32 v[10:11], s[0:1], s0, v2, v[10:11]
	v_lshlrev_b64 v[6:7], 2, v[6:7]
	v_mov_b32_e32 v9, v10
	v_mov_b32_e32 v3, s14
	v_add_co_u32_e32 v5, vcc, s15, v6
	v_addc_co_u32_e32 v3, vcc, v3, v7, vcc
	v_lshlrev_b64 v[6:7], 2, v[8:9]
	v_and_b32_e32 v0, 0x3ff, v0
	v_add_co_u32_e32 v5, vcc, v5, v6
	v_addc_co_u32_e32 v3, vcc, v3, v7, vcc
	v_lshlrev_b32_e32 v6, 4, v0
	v_add_co_u32_e32 v6, vcc, v5, v6
	v_addc_co_u32_e32 v7, vcc, 0, v3, vcc
	global_load_dwordx4 v[6:9], v[6:7], off
	s_load_dword s0, s[4:5], 0x40
	v_lshlrev_b32_e32 v3, 6, v4
	v_lshlrev_b32_e32 v5, 1, v0
	v_add_lshl_u32 v3, v3, v5, 2
	s_cmp_eq_u64 s[18:19], 0
	s_waitcnt vmcnt(0) lgkmcnt(0)
	v_pk_mul_f32 v[6:7], v[6:7], s[0:1] op_sel_hi:[1,0]
	v_pk_mul_f32 v[8:9], v[8:9], s[0:1] op_sel_hi:[1,0]
	v_cvt_f16_f32_e32 v10, v7
	v_cvt_f16_f32_e32 v7, v9
	;; [unrolled: 1-line block ×4, first 2 shown]
	v_pack_b32_f16 v7, v8, v7
	v_pack_b32_f16 v6, v6, v10
	ds_write_b64 v3, v[6:7] offset:17408
	s_waitcnt lgkmcnt(0)
	s_barrier
	s_cbranch_scc1 .LBB79_4
; %bb.3:
	s_load_dword s0, s[4:5], 0xd0
	s_mov_b32 s1, 0
	s_waitcnt lgkmcnt(0)
	s_mul_i32 s0, s0, s33
	s_add_i32 s0, s0, s6
	s_lshl_b64 s[0:1], s[0:1], 2
	s_add_u32 s0, s18, s0
	s_addc_u32 s1, s19, s1
	s_load_dword s28, s[0:1], 0x0
.LBB79_4:
	s_lshl_b32 s6, s7, 6
	s_waitcnt lgkmcnt(0)
	s_cmp_lt_i32 s6, s28
	v_mbcnt_lo_u32_b32 v20, -1, 0
	s_cbranch_scc1 .LBB79_6
; %bb.5:
	v_mbcnt_hi_u32_b32 v3, -1, v20
	v_and_b32_e32 v5, 0x60, v3
	s_mov_b32 s8, 0
	v_add_u32_e32 v72, 32, v5
	v_xor_b32_e32 v37, 16, v3
	v_xor_b32_e32 v70, 8, v3
	;; [unrolled: 1-line block ×5, first 2 shown]
	s_mov_b64 s[0:1], 0
	s_mov_b32 s9, 0xfeffffff
	s_branch .LBB79_7
.LBB79_6:
	s_mov_b64 s[0:1], -1
                                        ; implicit-def: $sgpr9
                                        ; implicit-def: $sgpr8
                                        ; implicit-def: $vgpr3
                                        ; implicit-def: $vgpr72
                                        ; implicit-def: $vgpr37
                                        ; implicit-def: $vgpr70
                                        ; implicit-def: $vgpr71
                                        ; implicit-def: $vgpr73
                                        ; implicit-def: $vgpr74
.LBB79_7:
	v_lshlrev_b32_e32 v39, 2, v0
	s_andn2_b64 vcc, exec, s[0:1]
	v_mov_b32_e32 v36, s9
	v_mov_b32_e32 v75, s8
	;; [unrolled: 1-line block ×4, first 2 shown]
	s_cbranch_vccnz .LBB79_19
; %bb.8:
	s_sub_i32 s0, 0, s36
	s_mul_i32 s0, s0, s24
	s_mul_hi_u32 s0, s24, s0
	s_abs_i32 s19, s29
	s_add_i32 s24, s24, s0
	s_mul_hi_u32 s34, s19, s24
	s_load_dwordx4 s[24:27], s[4:5], 0x98
	s_load_dword s14, s[4:5], 0x54
	s_load_dwordx2 s[0:1], s[4:5], 0x8c
	s_ashr_i32 s38, s29, 31
	s_ashr_i32 s37, s37, 31
	s_waitcnt lgkmcnt(0)
	s_ashr_i32 s15, s26, 2
	s_ashr_i32 s26, s35, 1
	;; [unrolled: 1-line block ×4, first 2 shown]
	s_mul_i32 s25, s33, s25
	s_mul_hi_u32 s35, s33, s24
	s_add_i32 s25, s35, s25
	s_mul_i32 s35, s0, s24
	s_add_i32 s25, s25, s35
	s_mul_i32 s24, s33, s24
	s_add_u32 s10, s10, s24
	s_addc_u32 s11, s11, s25
	s_mul_i32 s25, s34, s36
	s_sub_i32 s19, s19, s25
	s_xor_b32 s24, s38, s37
	s_add_i32 s25, s34, 1
	s_sub_i32 s35, s19, s36
	s_cmp_ge_u32 s19, s36
	s_cselect_b32 s25, s25, s34
	s_cselect_b32 s19, s35, s19
	s_add_i32 s34, s25, 1
	s_cmp_ge_u32 s19, s36
	s_load_dwordx2 s[8:9], s[4:5], 0xa8
	s_cselect_b32 s19, s34, s25
	s_xor_b32 s19, s19, s24
	s_sub_i32 s19, s19, s24
	s_mul_i32 s1, s19, s1
	s_ashr_i32 s24, s1, 31
	s_add_u32 s10, s10, s1
	s_waitcnt lgkmcnt(0)
	s_mul_i32 s1, s33, s9
	s_mul_hi_u32 s9, s33, s8
	s_addc_u32 s11, s11, s24
	s_add_i32 s1, s9, s1
	s_mul_i32 s0, s0, s8
	s_add_i32 s1, s1, s0
	s_mul_i32 s0, s33, s8
	s_add_u32 s0, s12, s0
	s_mul_i32 s19, s19, s27
	s_addc_u32 s1, s13, s1
	s_ashr_i32 s8, s19, 31
	v_lshrrev_b32_e32 v3, 4, v0
	v_and_b32_e32 v6, 60, v39
	s_add_u32 s12, s0, s19
	v_lshl_add_u32 v5, v4, 1, v3
	v_lshlrev_b32_e32 v7, 2, v6
	s_movk_i32 s0, 0x110
	s_addc_u32 s13, s1, s8
	v_mad_u32_u24 v40, v5, s0, v7
	v_mul_lo_u32 v8, s18, v5
	s_lshl_b32 s0, s18, 3
	v_add_u32_e32 v10, s0, v8
	v_add_u32_e32 v12, s0, v10
	;; [unrolled: 1-line block ×6, first 2 shown]
	v_mov_b32_e32 v3, 0x4400
	v_add_u32_e32 v24, s0, v22
	v_lshl_add_u32 v48, v4, 8, v3
	v_mad_u64_u32 v[2:3], s[0:1], v2, s26, v[0:1]
	v_mul_lo_u32 v26, s15, v5
	s_lshl_b32 s0, s15, 3
	v_add_u32_e32 v28, s0, v26
	v_add_u32_e32 v30, s0, v28
	;; [unrolled: 1-line block ×6, first 2 shown]
	v_mov_b32_e32 v3, 0x4800
	v_add_u32_e32 v72, s0, v70
	v_ashrrev_i32_e32 v9, 31, v8
	v_ashrrev_i32_e32 v11, 31, v10
	;; [unrolled: 1-line block ×8, first 2 shown]
	v_lshl_add_u32 v50, v4, 7, v3
	v_lshl_or_b32 v52, v5, 8, v7
	v_ashrrev_i32_e32 v27, 31, v26
	v_ashrrev_i32_e32 v29, 31, v28
	;; [unrolled: 1-line block ×8, first 2 shown]
	s_add_u32 s0, s4, 0xd0
	v_mov_b32_e32 v66, 0
	v_add_u32_e32 v41, 0x880, v40
	v_add_u32_e32 v42, 0x1100, v40
	v_add_u32_e32 v43, 0x1980, v40
	v_add_u32_e32 v44, 0x2200, v40
	v_add_u32_e32 v45, 0x2a80, v40
	v_add_u32_e32 v46, 0x3300, v40
	v_add_u32_e32 v47, 0x3b80, v40
	v_mul_u32_u24_e32 v49, 0x110, v0
	v_lshl_add_u32 v51, v0, 1, v50
	v_add_u32_e32 v53, 0x800, v52
	v_add_u32_e32 v54, 0x1000, v52
	;; [unrolled: 1-line block ×7, first 2 shown]
	v_lshlrev_b32_e32 v60, 3, v0
	s_addc_u32 s1, s5, 0
	v_mov_b32_e32 v69, 0xfeffffff
	v_lshlrev_b64 v[4:5], 2, v[8:9]
	v_lshlrev_b32_e32 v61, 2, v6
	v_lshlrev_b64 v[6:7], 2, v[10:11]
	v_lshlrev_b64 v[8:9], 2, v[12:13]
	;; [unrolled: 1-line block ×7, first 2 shown]
	s_mov_b32 s19, 0x3f200000
	s_mov_b32 s24, 0x3fb8aa3b
	;; [unrolled: 1-line block ×4, first 2 shown]
	v_mov_b32_e32 v62, 0xbd5c1c4e
	v_mov_b32_e32 v63, 0x3e088382
	;; [unrolled: 1-line block ×3, first 2 shown]
	s_brev_b32 s27, -2
	v_mbcnt_hi_u32_b32 v3, -1, v20
	v_lshlrev_b64 v[20:21], 2, v[26:27]
	v_lshlrev_b64 v[22:23], 2, v[28:29]
	;; [unrolled: 1-line block ×8, first 2 shown]
	v_mov_b32_e32 v65, 0x7f800000
	v_mov_b32_e32 v67, 0
	;; [unrolled: 1-line block ×3, first 2 shown]
.LBB79_9:                               ; =>This Inner Loop Header: Depth=1
	s_mul_hi_i32 s9, s6, s18
	s_mul_i32 s8, s6, s18
	s_lshl_b64 s[8:9], s[8:9], 2
	s_add_u32 s8, s10, s8
	s_addc_u32 s9, s11, s9
	v_mov_b32_e32 v36, s9
	v_add_co_u32_e32 v37, vcc, s8, v4
	v_addc_co_u32_e32 v70, vcc, v36, v5, vcc
	v_add_co_u32_e32 v36, vcc, v37, v61
	v_addc_co_u32_e32 v37, vcc, 0, v70, vcc
	v_mov_b32_e32 v70, s9
	v_add_co_u32_e32 v71, vcc, s8, v6
	v_addc_co_u32_e32 v70, vcc, v70, v7, vcc
	v_add_co_u32_e32 v78, vcc, v71, v61
	v_addc_co_u32_e32 v79, vcc, 0, v70, vcc
	global_load_dwordx4 v[70:73], v[36:37], off
	global_load_dwordx4 v[74:77], v[78:79], off
	v_mov_b32_e32 v36, s9
	v_add_co_u32_e32 v37, vcc, s8, v8
	v_addc_co_u32_e32 v78, vcc, v36, v9, vcc
	v_add_co_u32_e32 v36, vcc, v37, v61
	v_addc_co_u32_e32 v37, vcc, 0, v78, vcc
	v_mov_b32_e32 v78, s9
	v_add_co_u32_e32 v79, vcc, s8, v10
	v_addc_co_u32_e32 v78, vcc, v78, v11, vcc
	v_add_co_u32_e32 v86, vcc, v79, v61
	v_addc_co_u32_e32 v87, vcc, 0, v78, vcc
	global_load_dwordx4 v[78:81], v[36:37], off
	global_load_dwordx4 v[82:85], v[86:87], off
	;; [unrolled: 12-line block ×4, first 2 shown]
	s_waitcnt vmcnt(7)
	ds_write_b128 v40, v[70:73]
	s_waitcnt vmcnt(6)
	ds_write_b128 v41, v[74:77]
	;; [unrolled: 2-line block ×8, first 2 shown]
	s_waitcnt lgkmcnt(0)
	s_barrier
	ds_read_b128 v[72:75], v49
	ds_read_b128 v[76:79], v48
	ds_read_b128 v[80:83], v49 offset:8704
	v_mov_b32_e32 v70, 0
	s_waitcnt lgkmcnt(1)
	;;#ASMSTART
	v_dot2_f32_f16 v70, v72, v76, v70
	;;#ASMEND
	;;#ASMSTART
	v_dot2_f32_f16 v70, v73, v77, v70
	;;#ASMEND
	;; [unrolled: 3-line block ×3, first 2 shown]
	v_mov_b32_e32 v71, 0
	;;#ASMSTART
	v_dot2_f32_f16 v70, v75, v79, v70
	;;#ASMEND
	s_waitcnt lgkmcnt(0)
	;;#ASMSTART
	v_dot2_f32_f16 v71, v80, v76, v71
	;;#ASMEND
	;;#ASMSTART
	v_dot2_f32_f16 v71, v81, v77, v71
	;;#ASMEND
	;;#ASMSTART
	v_dot2_f32_f16 v71, v82, v78, v71
	;;#ASMEND
	;;#ASMSTART
	v_dot2_f32_f16 v71, v83, v79, v71
	;;#ASMEND
	ds_read_b128 v[72:75], v49 offset:16
	ds_read_b128 v[76:79], v48 offset:16
	ds_read_b128 v[80:83], v49 offset:8720
	s_waitcnt lgkmcnt(1)
	;;#ASMSTART
	v_dot2_f32_f16 v70, v72, v76, v70
	;;#ASMEND
	;;#ASMSTART
	v_dot2_f32_f16 v70, v73, v77, v70
	;;#ASMEND
	;;#ASMSTART
	v_dot2_f32_f16 v70, v74, v78, v70
	;;#ASMEND
	;;#ASMSTART
	v_dot2_f32_f16 v70, v75, v79, v70
	;;#ASMEND
	s_waitcnt lgkmcnt(0)
	;;#ASMSTART
	v_dot2_f32_f16 v71, v80, v76, v71
	;;#ASMEND
	;;#ASMSTART
	v_dot2_f32_f16 v71, v81, v77, v71
	;;#ASMEND
	;;#ASMSTART
	v_dot2_f32_f16 v71, v82, v78, v71
	;;#ASMEND
	;;#ASMSTART
	v_dot2_f32_f16 v71, v83, v79, v71
	;;#ASMEND
	ds_read_b128 v[72:75], v49 offset:32
	ds_read_b128 v[76:79], v48 offset:32
	ds_read_b128 v[80:83], v49 offset:8736
	s_waitcnt lgkmcnt(1)
	;;#ASMSTART
	v_dot2_f32_f16 v70, v72, v76, v70
	;;#ASMEND
	;;#ASMSTART
	v_dot2_f32_f16 v70, v73, v77, v70
	;;#ASMEND
	;;#ASMSTART
	v_dot2_f32_f16 v70, v74, v78, v70
	;;#ASMEND
	;; [unrolled: 29-line block ×15, first 2 shown]
	;;#ASMSTART
	v_dot2_f32_f16 v70, v75, v79, v70
	;;#ASMEND
	s_waitcnt lgkmcnt(0)
	;;#ASMSTART
	v_dot2_f32_f16 v71, v80, v76, v71
	;;#ASMEND
	;;#ASMSTART
	v_dot2_f32_f16 v71, v81, v77, v71
	;;#ASMEND
	;; [unrolled: 3-line block ×3, first 2 shown]
	v_cmp_nlt_f32_e64 s[8:9], |v70|, s19
	;;#ASMSTART
	v_dot2_f32_f16 v71, v83, v79, v71
	;;#ASMEND
                                        ; implicit-def: $vgpr73
	s_and_saveexec_b64 s[34:35], s[8:9]
	s_xor_b64 s[8:9], exec, s[34:35]
	s_cbranch_execz .LBB79_11
; %bb.10:                               ;   in Loop: Header=BB79_9 Depth=1
	v_add_f32_e64 v36, |v70|, |v70|
	v_mul_f32_e32 v37, 0x3fb8aa3b, v36
	v_rndne_f32_e32 v72, v37
	v_sub_f32_e32 v73, v37, v72
	v_fma_f32 v37, v36, s24, -v37
	v_fmac_f32_e32 v37, 0x32a5705f, v36
	v_add_f32_e32 v37, v73, v37
	v_cvt_i32_f32_e32 v72, v72
	v_exp_f32_e32 v37, v37
	v_cmp_ngt_f32_e32 vcc, s25, v36
	v_ldexp_f32 v37, v37, v72
	v_cndmask_b32_e32 v37, 0, v37, vcc
	v_cmp_nlt_f32_e32 vcc, s26, v36
	v_cndmask_b32_e32 v36, v65, v37, vcc
	v_add_f32_e32 v36, 1.0, v36
	v_rcp_f32_e32 v36, v36
	v_fma_f32 v73, v36, -2.0, 1.0
.LBB79_11:                              ;   in Loop: Header=BB79_9 Depth=1
	s_andn2_saveexec_b64 s[8:9], s[8:9]
; %bb.12:                               ;   in Loop: Header=BB79_9 Depth=1
	v_mul_f32_e32 v36, v70, v70
	v_mov_b32_e32 v37, 0x3ca908c9
	v_fmac_f32_e32 v37, 0xbbbac73d, v36
	v_fma_f32 v37, v36, v37, v62
	v_fma_f32 v37, v36, v37, v63
	;; [unrolled: 1-line block ×3, first 2 shown]
	v_mul_f32_e64 v37, |v70|, v37
	v_fma_f32 v73, v36, v37, |v70|
; %bb.13:                               ;   in Loop: Header=BB79_9 Depth=1
	s_or_b64 exec, exec, s[8:9]
	v_add_u32_e32 v36, s6, v2
	v_ashrrev_i32_e32 v37, 31, v36
	v_lshlrev_b64 v[36:37], 1, v[36:37]
	v_mov_b32_e32 v72, s31
	v_add_co_u32_e32 v36, vcc, s30, v36
	v_addc_co_u32_e32 v37, vcc, v72, v37, vcc
	flat_load_ushort v72, v[36:37]
	v_cmp_nlt_f32_e64 s[8:9], |v71|, s19
                                        ; implicit-def: $vgpr74
	s_and_saveexec_b64 s[34:35], s[8:9]
	s_xor_b64 s[8:9], exec, s[34:35]
	s_cbranch_execz .LBB79_15
; %bb.14:                               ;   in Loop: Header=BB79_9 Depth=1
	v_add_f32_e64 v74, |v71|, |v71|
	v_mul_f32_e32 v75, 0x3fb8aa3b, v74
	v_rndne_f32_e32 v76, v75
	v_sub_f32_e32 v77, v75, v76
	v_fma_f32 v75, v74, s24, -v75
	v_fmac_f32_e32 v75, 0x32a5705f, v74
	v_add_f32_e32 v75, v77, v75
	v_cvt_i32_f32_e32 v76, v76
	v_exp_f32_e32 v75, v75
	v_cmp_ngt_f32_e32 vcc, s25, v74
	v_ldexp_f32 v75, v75, v76
	v_cndmask_b32_e32 v75, 0, v75, vcc
	v_cmp_nlt_f32_e32 vcc, s26, v74
	v_cndmask_b32_e32 v74, v65, v75, vcc
	v_add_f32_e32 v74, 1.0, v74
	v_rcp_f32_e32 v74, v74
	v_fma_f32 v74, v74, -2.0, 1.0
.LBB79_15:                              ;   in Loop: Header=BB79_9 Depth=1
	s_andn2_saveexec_b64 s[8:9], s[8:9]
; %bb.16:                               ;   in Loop: Header=BB79_9 Depth=1
	v_mul_f32_e32 v74, v71, v71
	v_mov_b32_e32 v75, 0x3ca908c9
	v_fmac_f32_e32 v75, 0xbbbac73d, v74
	v_fma_f32 v75, v74, v75, v62
	v_fma_f32 v75, v74, v75, v63
	;; [unrolled: 1-line block ×3, first 2 shown]
	v_mul_f32_e64 v75, |v71|, v75
	v_fma_f32 v74, v74, v75, |v71|
; %bb.17:                               ;   in Loop: Header=BB79_9 Depth=1
	s_or_b64 exec, exec, s[8:9]
	flat_load_ushort v36, v[36:37] offset:64
	v_bfi_b32 v73, s27, v73, v70
	v_bfi_b32 v76, s27, v74, v71
	v_and_b32_e32 v74, 0x60, v3
	v_xor_b32_e32 v37, 16, v3
	s_mul_hi_i32 s9, s6, s15
	s_mul_i32 s8, s6, s15
	s_waitcnt vmcnt(0) lgkmcnt(0)
	v_fma_mix_f32 v110, v73, s14, v72 op_sel_hi:[0,0,1]
	v_add_u32_e32 v72, 32, v74
	v_xor_b32_e32 v70, 8, v3
	s_lshl_b64 s[8:9], s[8:9], 2
	v_cmp_lt_i32_e32 vcc, v37, v72
	v_xor_b32_e32 v71, 4, v3
	v_cndmask_b32_e32 v74, v3, v37, vcc
	v_cmp_lt_i32_e32 vcc, v70, v72
	s_add_u32 s8, s12, s8
	v_cndmask_b32_e32 v75, v3, v70, vcc
	v_cmp_lt_i32_e32 vcc, v71, v72
	s_addc_u32 s9, s13, s9
	v_cndmask_b32_e32 v77, v3, v71, vcc
	v_lshlrev_b32_e32 v78, 2, v74
	v_mov_b32_e32 v74, s9
	v_add_co_u32_e32 v84, vcc, s8, v20
	v_addc_co_u32_e32 v85, vcc, v74, v21, vcc
	v_lshlrev_b32_e32 v79, 2, v75
	v_mov_b32_e32 v75, s9
	v_add_co_u32_e32 v87, vcc, s8, v22
	v_addc_co_u32_e32 v88, vcc, v75, v23, vcc
	v_lshlrev_b32_e32 v86, 2, v77
	v_mov_b32_e32 v77, s9
	v_add_co_u32_e32 v89, vcc, s8, v24
	v_addc_co_u32_e32 v77, vcc, v77, v25, vcc
	v_add_f32_e32 v73, 0x40051340, v110
	v_mov_b32_e32 v80, s9
	v_add_co_u32_e32 v90, vcc, s8, v26
	v_addc_co_u32_e32 v80, vcc, v80, v27, vcc
	v_mov_b32_e32 v81, s9
	v_add_co_u32_e32 v91, vcc, s8, v28
	v_addc_co_u32_e32 v81, vcc, v81, v29, vcc
	;; [unrolled: 3-line block ×4, first 2 shown]
	v_add_co_u32_e32 v74, vcc, v84, v61
	v_addc_co_u32_e32 v75, vcc, 0, v85, vcc
	v_add_co_u32_e32 v84, vcc, v87, v61
	v_addc_co_u32_e32 v85, vcc, 0, v88, vcc
	;; [unrolled: 2-line block ×5, first 2 shown]
	v_add_co_u32_e32 v106, vcc, v92, v61
	v_fma_mix_f32 v111, v76, s14, v36 op_sel_hi:[0,0,1]
	v_add_f32_e32 v36, 0x40051340, v111
	v_max3_f32 v36, v69, v73, v36
	ds_bpermute_b32 v73, v78, v36
	v_addc_co_u32_e32 v107, vcc, 0, v82, vcc
	s_waitcnt lgkmcnt(0)
	s_barrier
	v_max_f32_e32 v73, v73, v73
	v_max_f32_e32 v36, v36, v73
	ds_bpermute_b32 v73, v79, v36
	s_waitcnt lgkmcnt(0)
	global_load_dwordx4 v[76:79], v[74:75], off
	global_load_dwordx4 v[80:83], v[84:85], off
	v_add_co_u32_e32 v74, vcc, v108, v61
	v_max_f32_e32 v73, v73, v73
	v_max_f32_e32 v36, v36, v73
	ds_bpermute_b32 v73, v86, v36
	v_addc_co_u32_e32 v75, vcc, 0, v109, vcc
	global_load_dwordx4 v[84:87], v[100:101], off
	global_load_dwordx4 v[88:91], v[102:103], off
	;; [unrolled: 1-line block ×4, first 2 shown]
	v_add_co_u32_e32 v100, vcc, s8, v34
	s_waitcnt lgkmcnt(0)
	v_max_f32_e32 v73, v73, v73
	v_max_f32_e32 v36, v36, v73
	v_mov_b32_e32 v73, s9
	v_addc_co_u32_e32 v73, vcc, v73, v35, vcc
	v_add_co_u32_e32 v108, vcc, v100, v61
	v_addc_co_u32_e32 v109, vcc, 0, v73, vcc
	global_load_dwordx4 v[100:103], v[74:75], off
	global_load_dwordx4 v[104:107], v[108:109], off
	v_xor_b32_e32 v73, 2, v3
	v_cmp_lt_i32_e32 vcc, v73, v72
	v_cndmask_b32_e32 v74, v3, v73, vcc
	v_lshlrev_b32_e32 v74, 2, v74
	ds_bpermute_b32 v74, v74, v36
	s_waitcnt lgkmcnt(0)
	v_max_f32_e32 v74, v74, v74
	v_max_f32_e32 v36, v36, v74
	v_xor_b32_e32 v74, 1, v3
	v_cmp_lt_i32_e32 vcc, v74, v72
	v_cndmask_b32_e32 v75, v3, v74, vcc
	v_lshlrev_b32_e32 v75, 2, v75
	ds_bpermute_b32 v75, v75, v36
	s_waitcnt lgkmcnt(0)
	v_max_f32_e32 v75, v75, v75
	v_max_f32_e32 v36, v36, v75
	v_sub_f32_e32 v75, v110, v36
	v_mul_f32_e32 v108, 0x3fb8aa3b, v75
	v_fma_f32 v109, v75, s24, -v108
	v_rndne_f32_e32 v110, v108
	v_fmac_f32_e32 v109, 0x32a5705f, v75
	v_sub_f32_e32 v108, v108, v110
	v_add_f32_e32 v108, v108, v109
	v_exp_f32_e32 v108, v108
	v_cvt_i32_f32_e32 v109, v110
	v_sub_f32_e32 v69, v69, v36
	v_cmp_ngt_f32_e32 vcc, s25, v75
	v_ldexp_f32 v108, v108, v109
	v_sub_f32_e32 v109, v111, v36
	v_mul_f32_e32 v110, 0x3fb8aa3b, v109
	v_fma_f32 v111, v109, s24, -v110
	v_rndne_f32_e32 v112, v110
	v_fmac_f32_e32 v111, 0x32a5705f, v109
	v_sub_f32_e32 v110, v110, v112
	v_add_f32_e32 v110, v110, v111
	v_exp_f32_e32 v110, v110
	v_cvt_i32_f32_e32 v111, v112
	v_cndmask_b32_e32 v108, 0, v108, vcc
	v_cmp_nlt_f32_e32 vcc, s26, v75
	v_cndmask_b32_e32 v75, v65, v108, vcc
	v_ldexp_f32 v110, v110, v111
	v_mul_f32_e32 v111, 0x3fb8aa3b, v69
	v_fma_f32 v112, v69, s24, -v111
	v_rndne_f32_e32 v113, v111
	v_fmac_f32_e32 v112, 0x32a5705f, v69
	v_sub_f32_e32 v111, v111, v113
	v_cmp_ngt_f32_e32 vcc, s25, v109
	v_add_f32_e32 v111, v111, v112
	v_cndmask_b32_e32 v110, 0, v110, vcc
	v_exp_f32_e32 v111, v111
	v_cvt_i32_f32_e32 v112, v113
	v_cmp_nlt_f32_e32 vcc, s26, v109
	v_cvt_f16_f32_e32 v108, v75
	v_cndmask_b32_e32 v109, v65, v110, vcc
	v_add_f32_e32 v75, v75, v109
	v_cvt_f16_f32_e32 v109, v109
	v_ldexp_f32 v110, v111, v112
	v_cmp_ngt_f32_e32 vcc, s25, v69
	v_cndmask_b32_e32 v110, 0, v110, vcc
	v_cmp_nlt_f32_e32 vcc, s26, v69
	v_cndmask_b32_e32 v69, v65, v110, vcc
	v_fmac_f32_e32 v75, v68, v69
	v_cvt_f16_f32_e32 v68, v69
	ds_write_b16 v51, v108
	ds_write_b16 v51, v109 offset:64
	s_waitcnt vmcnt(7)
	ds_write_b128 v52, v[76:79]
	s_waitcnt vmcnt(6)
	ds_write_b128 v53, v[80:83]
	;; [unrolled: 2-line block ×8, first 2 shown]
	s_waitcnt lgkmcnt(0)
	s_barrier
	ds_read2_b64 v[76:79], v60 offset1:32
	ds_read_b128 v[80:83], v50
	ds_read_b128 v[84:87], v50 offset:16
	ds_read_b128 v[88:91], v50 offset:32
	ds_read_b128 v[92:95], v50 offset:48
	ds_read2_b64 v[96:99], v60 offset0:64 offset1:96
	s_waitcnt lgkmcnt(4)
	v_pk_mul_f16 v69, v76, v80 op_sel_hi:[1,0]
	v_pk_fma_f16 v66, v66, v68, v69 op_sel_hi:[1,0,1]
	v_pk_mul_f16 v69, v77, v80 op_sel_hi:[1,0]
	v_pk_fma_f16 v67, v67, v68, v69 op_sel_hi:[1,0,1]
	v_pk_fma_f16 v66, v78, v80, v66 op_sel:[0,1,0]
	v_pk_fma_f16 v76, v79, v80, v67 op_sel:[0,1,0]
	s_waitcnt lgkmcnt(0)
	v_pk_fma_f16 v77, v96, v81, v66 op_sel_hi:[1,0,1]
	ds_read2_b64 v[66:69], v60 offset0:128 offset1:160
	v_pk_fma_f16 v76, v97, v81, v76 op_sel_hi:[1,0,1]
	v_pk_fma_f16 v80, v98, v81, v77 op_sel:[0,1,0]
	v_pk_fma_f16 v81, v99, v81, v76 op_sel:[0,1,0]
	ds_read2_b64 v[76:79], v60 offset0:192 offset1:224
	s_waitcnt lgkmcnt(1)
	v_pk_fma_f16 v66, v66, v82, v80 op_sel_hi:[1,0,1]
	v_pk_fma_f16 v67, v67, v82, v81 op_sel_hi:[1,0,1]
	v_pk_fma_f16 v66, v68, v82, v66 op_sel:[0,1,0]
	v_add_u32_e32 v81, 0x800, v60
	v_pk_fma_f16 v80, v69, v82, v67 op_sel:[0,1,0]
	s_waitcnt lgkmcnt(0)
	v_pk_fma_f16 v76, v76, v83, v66 op_sel_hi:[1,0,1]
	ds_read2_b64 v[66:69], v81 offset1:32
	v_pk_fma_f16 v77, v77, v83, v80 op_sel_hi:[1,0,1]
	v_pk_fma_f16 v80, v78, v83, v76 op_sel:[0,1,0]
	v_pk_fma_f16 v82, v79, v83, v77 op_sel:[0,1,0]
	ds_read2_b64 v[76:79], v81 offset0:64 offset1:96
	s_waitcnt lgkmcnt(1)
	v_pk_fma_f16 v66, v66, v84, v80 op_sel_hi:[1,0,1]
	v_pk_fma_f16 v67, v67, v84, v82 op_sel_hi:[1,0,1]
	v_pk_fma_f16 v66, v68, v84, v66 op_sel:[0,1,0]
	v_pk_fma_f16 v80, v69, v84, v67 op_sel:[0,1,0]
	s_waitcnt lgkmcnt(0)
	v_pk_fma_f16 v76, v76, v85, v66 op_sel_hi:[1,0,1]
	ds_read2_b64 v[66:69], v81 offset0:128 offset1:160
	v_pk_fma_f16 v77, v77, v85, v80 op_sel_hi:[1,0,1]
	v_pk_fma_f16 v80, v78, v85, v76 op_sel:[0,1,0]
	v_pk_fma_f16 v82, v79, v85, v77 op_sel:[0,1,0]
	ds_read2_b64 v[76:79], v81 offset0:192 offset1:224
	s_waitcnt lgkmcnt(1)
	v_pk_fma_f16 v66, v66, v86, v80 op_sel_hi:[1,0,1]
	v_pk_fma_f16 v67, v67, v86, v82 op_sel_hi:[1,0,1]
	v_pk_fma_f16 v66, v68, v86, v66 op_sel:[0,1,0]
	v_add_u32_e32 v81, 0x1000, v60
	v_pk_fma_f16 v80, v69, v86, v67 op_sel:[0,1,0]
	s_waitcnt lgkmcnt(0)
	v_pk_fma_f16 v76, v76, v87, v66 op_sel_hi:[1,0,1]
	ds_read2_b64 v[66:69], v81 offset1:32
	v_pk_fma_f16 v77, v77, v87, v80 op_sel_hi:[1,0,1]
	v_pk_fma_f16 v80, v78, v87, v76 op_sel:[0,1,0]
	v_pk_fma_f16 v82, v79, v87, v77 op_sel:[0,1,0]
	ds_read2_b64 v[76:79], v81 offset0:64 offset1:96
	s_waitcnt lgkmcnt(1)
	v_pk_fma_f16 v66, v66, v88, v80 op_sel_hi:[1,0,1]
	;; [unrolled: 25-line block ×3, first 2 shown]
	v_pk_fma_f16 v67, v67, v92, v82 op_sel_hi:[1,0,1]
	v_pk_fma_f16 v66, v68, v92, v66 op_sel:[0,1,0]
	v_pk_fma_f16 v80, v69, v92, v67 op_sel:[0,1,0]
	s_waitcnt lgkmcnt(0)
	v_pk_fma_f16 v76, v76, v93, v66 op_sel_hi:[1,0,1]
	ds_read2_b64 v[66:69], v81 offset0:128 offset1:160
	v_pk_fma_f16 v77, v77, v93, v80 op_sel_hi:[1,0,1]
	v_pk_fma_f16 v80, v78, v93, v76 op_sel:[0,1,0]
	v_pk_fma_f16 v82, v79, v93, v77 op_sel:[0,1,0]
	ds_read2_b64 v[76:79], v81 offset0:192 offset1:224
	s_waitcnt lgkmcnt(1)
	v_pk_fma_f16 v66, v66, v94, v80 op_sel_hi:[1,0,1]
	v_pk_fma_f16 v67, v67, v94, v82 op_sel_hi:[1,0,1]
	v_pk_fma_f16 v66, v68, v94, v66 op_sel:[0,1,0]
	v_pk_fma_f16 v67, v69, v94, v67 op_sel:[0,1,0]
	v_add_u32_e32 v88, 0x2000, v60
	s_waitcnt lgkmcnt(0)
	v_pk_fma_f16 v76, v76, v95, v66 op_sel_hi:[1,0,1]
	v_pk_fma_f16 v77, v77, v95, v67 op_sel_hi:[1,0,1]
	ds_read2_b64 v[66:69], v88 offset1:32
	ds_read_b128 v[80:83], v50 offset:64
	v_pk_fma_f16 v89, v78, v95, v76 op_sel:[0,1,0]
	v_pk_fma_f16 v90, v79, v95, v77 op_sel:[0,1,0]
	ds_read2_b64 v[76:79], v88 offset0:64 offset1:96
	ds_read_b128 v[84:87], v50 offset:80
	s_waitcnt lgkmcnt(2)
	v_pk_fma_f16 v66, v66, v80, v89 op_sel_hi:[1,0,1]
	v_pk_fma_f16 v67, v67, v80, v90 op_sel_hi:[1,0,1]
	v_pk_fma_f16 v66, v68, v80, v66 op_sel:[0,1,0]
	v_pk_fma_f16 v80, v69, v80, v67 op_sel:[0,1,0]
	s_waitcnt lgkmcnt(1)
	v_pk_fma_f16 v76, v76, v81, v66 op_sel_hi:[1,0,1]
	ds_read2_b64 v[66:69], v88 offset0:128 offset1:160
	v_pk_fma_f16 v77, v77, v81, v80 op_sel_hi:[1,0,1]
	v_pk_fma_f16 v80, v78, v81, v76 op_sel:[0,1,0]
	v_pk_fma_f16 v81, v79, v81, v77 op_sel:[0,1,0]
	ds_read2_b64 v[76:79], v88 offset0:192 offset1:224
	s_waitcnt lgkmcnt(1)
	v_pk_fma_f16 v66, v66, v82, v80 op_sel_hi:[1,0,1]
	v_pk_fma_f16 v67, v67, v82, v81 op_sel_hi:[1,0,1]
	v_pk_fma_f16 v66, v68, v82, v66 op_sel:[0,1,0]
	v_add_u32_e32 v81, 0x2800, v60
	v_pk_fma_f16 v80, v69, v82, v67 op_sel:[0,1,0]
	s_waitcnt lgkmcnt(0)
	v_pk_fma_f16 v76, v76, v83, v66 op_sel_hi:[1,0,1]
	ds_read2_b64 v[66:69], v81 offset1:32
	v_pk_fma_f16 v77, v77, v83, v80 op_sel_hi:[1,0,1]
	v_pk_fma_f16 v80, v78, v83, v76 op_sel:[0,1,0]
	v_pk_fma_f16 v82, v79, v83, v77 op_sel:[0,1,0]
	ds_read2_b64 v[76:79], v81 offset0:64 offset1:96
	s_waitcnt lgkmcnt(1)
	v_pk_fma_f16 v66, v66, v84, v80 op_sel_hi:[1,0,1]
	v_pk_fma_f16 v67, v67, v84, v82 op_sel_hi:[1,0,1]
	v_pk_fma_f16 v66, v68, v84, v66 op_sel:[0,1,0]
	v_pk_fma_f16 v80, v69, v84, v67 op_sel:[0,1,0]
	s_waitcnt lgkmcnt(0)
	v_pk_fma_f16 v76, v76, v85, v66 op_sel_hi:[1,0,1]
	ds_read2_b64 v[66:69], v81 offset0:128 offset1:160
	v_pk_fma_f16 v77, v77, v85, v80 op_sel_hi:[1,0,1]
	v_pk_fma_f16 v80, v78, v85, v76 op_sel:[0,1,0]
	v_pk_fma_f16 v82, v79, v85, v77 op_sel:[0,1,0]
	ds_read2_b64 v[76:79], v81 offset0:192 offset1:224
	s_waitcnt lgkmcnt(1)
	v_pk_fma_f16 v66, v66, v86, v80 op_sel_hi:[1,0,1]
	v_pk_fma_f16 v67, v67, v86, v82 op_sel_hi:[1,0,1]
	v_pk_fma_f16 v66, v68, v86, v66 op_sel:[0,1,0]
	v_add_u32_e32 v88, 0x3000, v60
	v_pk_fma_f16 v84, v69, v86, v67 op_sel:[0,1,0]
	s_waitcnt lgkmcnt(0)
	v_pk_fma_f16 v76, v76, v87, v66 op_sel_hi:[1,0,1]
	ds_read2_b64 v[66:69], v88 offset1:32
	ds_read_b128 v[80:83], v50 offset:96
	v_pk_fma_f16 v77, v77, v87, v84 op_sel_hi:[1,0,1]
	v_pk_fma_f16 v84, v78, v87, v76 op_sel:[0,1,0]
	v_pk_fma_f16 v89, v79, v87, v77 op_sel:[0,1,0]
	ds_read_b128 v[76:79], v50 offset:112
	s_waitcnt lgkmcnt(1)
	v_pk_fma_f16 v66, v66, v80, v84 op_sel_hi:[1,0,1]
	ds_read2_b64 v[84:87], v88 offset0:64 offset1:96
	v_pk_fma_f16 v67, v67, v80, v89 op_sel_hi:[1,0,1]
	v_pk_fma_f16 v89, v68, v80, v66 op_sel:[0,1,0]
	v_pk_fma_f16 v80, v69, v80, v67 op_sel:[0,1,0]
	ds_read2_b64 v[66:69], v88 offset0:128 offset1:160
	s_waitcnt lgkmcnt(1)
	v_pk_fma_f16 v84, v84, v81, v89 op_sel_hi:[1,0,1]
	v_pk_fma_f16 v80, v85, v81, v80 op_sel_hi:[1,0,1]
	v_pk_fma_f16 v84, v86, v81, v84 op_sel:[0,1,0]
	v_pk_fma_f16 v80, v87, v81, v80 op_sel:[0,1,0]
	s_waitcnt lgkmcnt(0)
	v_pk_fma_f16 v66, v66, v82, v84 op_sel_hi:[1,0,1]
	ds_read2_b64 v[84:87], v88 offset0:192 offset1:224
	v_pk_fma_f16 v67, v67, v82, v80 op_sel_hi:[1,0,1]
	v_add_u32_e32 v88, 0x3800, v60
	v_pk_fma_f16 v80, v68, v82, v66 op_sel:[0,1,0]
	v_pk_fma_f16 v81, v69, v82, v67 op_sel:[0,1,0]
	ds_read2_b64 v[66:69], v88 offset1:32
	s_waitcnt lgkmcnt(1)
	v_pk_fma_f16 v80, v84, v83, v80 op_sel_hi:[1,0,1]
	v_pk_fma_f16 v81, v85, v83, v81 op_sel_hi:[1,0,1]
	v_pk_fma_f16 v80, v86, v83, v80 op_sel:[0,1,0]
	v_pk_fma_f16 v84, v87, v83, v81 op_sel:[0,1,0]
	s_waitcnt lgkmcnt(0)
	v_pk_fma_f16 v66, v66, v76, v80 op_sel_hi:[1,0,1]
	ds_read2_b64 v[80:83], v88 offset0:64 offset1:96
	v_pk_fma_f16 v67, v67, v76, v84 op_sel_hi:[1,0,1]
	v_pk_fma_f16 v84, v68, v76, v66 op_sel:[0,1,0]
	v_pk_fma_f16 v76, v69, v76, v67 op_sel:[0,1,0]
	ds_read2_b64 v[66:69], v88 offset0:128 offset1:160
	s_waitcnt lgkmcnt(1)
	v_pk_fma_f16 v80, v80, v77, v84 op_sel_hi:[1,0,1]
	v_pk_fma_f16 v76, v81, v77, v76 op_sel_hi:[1,0,1]
	v_pk_fma_f16 v80, v82, v77, v80 op_sel:[0,1,0]
	v_pk_fma_f16 v76, v83, v77, v76 op_sel:[0,1,0]
	s_waitcnt lgkmcnt(0)
	v_pk_fma_f16 v66, v66, v78, v80 op_sel_hi:[1,0,1]
	ds_read2_b64 v[80:83], v88 offset0:192 offset1:224
	s_waitcnt lgkmcnt(0)
	s_barrier
	s_load_dword s8, s[0:1], 0x4
	v_pk_fma_f16 v67, v67, v78, v76 op_sel_hi:[1,0,1]
	v_pk_fma_f16 v66, v68, v78, v66 op_sel:[0,1,0]
	v_pk_fma_f16 v67, v69, v78, v67 op_sel:[0,1,0]
	v_pk_fma_f16 v66, v80, v79, v66 op_sel_hi:[1,0,1]
	s_waitcnt lgkmcnt(0)
	s_lshl_b32 s8, s8, 6
	v_pk_fma_f16 v67, v81, v79, v67 op_sel_hi:[1,0,1]
	s_add_i32 s6, s8, s6
	v_pk_fma_f16 v66, v82, v79, v66 op_sel:[0,1,0]
	s_cmp_lt_i32 s6, s28
	v_pk_fma_f16 v67, v83, v79, v67 op_sel:[0,1,0]
	s_cbranch_scc0 .LBB79_19
; %bb.18:                               ;   in Loop: Header=BB79_9 Depth=1
	v_mov_b32_e32 v69, v36
	v_mov_b32_e32 v68, v75
	s_branch .LBB79_9
.LBB79_19:
	v_cmp_lt_i32_e32 vcc, v37, v72
	v_cndmask_b32_e32 v2, v3, v37, vcc
	v_lshlrev_b32_e32 v2, 2, v2
	ds_bpermute_b32 v2, v2, v75
	v_cmp_lt_i32_e32 vcc, v70, v72
	v_cndmask_b32_e32 v4, v3, v70, vcc
	v_lshlrev_b32_e32 v4, 2, v4
	v_cmp_lt_i32_e32 vcc, v71, v72
	s_waitcnt lgkmcnt(0)
	v_add_f32_e32 v2, v75, v2
	ds_bpermute_b32 v4, v4, v2
	v_cndmask_b32_e32 v5, v3, v71, vcc
	v_lshlrev_b32_e32 v5, 2, v5
	v_cmp_lt_i32_e32 vcc, v73, v72
	s_cmp_eq_u64 s[16:17], 0
	s_waitcnt lgkmcnt(0)
	v_add_f32_e32 v2, v2, v4
	ds_bpermute_b32 v4, v5, v2
	v_cndmask_b32_e32 v5, v3, v73, vcc
	v_lshlrev_b32_e32 v5, 2, v5
	v_cmp_lt_i32_e32 vcc, v74, v72
	v_cndmask_b32_e32 v3, v3, v74, vcc
	s_waitcnt lgkmcnt(0)
	v_add_f32_e32 v4, v2, v4
	ds_bpermute_b32 v5, v5, v4
	v_lshlrev_b32_e32 v3, 2, v3
	s_cselect_b64 s[0:1], -1, 0
	s_cmp_lg_u32 s7, 0
	s_cselect_b64 s[8:9], -1, 0
	s_waitcnt lgkmcnt(0)
	v_add_f32_e32 v4, v4, v5
	ds_bpermute_b32 v3, v3, v4
	s_or_b64 s[0:1], s[8:9], s[0:1]
	v_add_u32_e32 v2, s29, v38
	s_and_b64 vcc, exec, s[0:1]
	s_waitcnt lgkmcnt(0)
	v_add_f32_e32 v37, v4, v3
	s_cbranch_vccnz .LBB79_21
; %bb.20:
	v_ashrrev_i32_e32 v3, 31, v2
	v_lshlrev_b64 v[4:5], 2, v[2:3]
	v_mov_b32_e32 v3, s17
	v_add_co_u32_e32 v4, vcc, s16, v4
	v_addc_co_u32_e32 v5, vcc, v3, v5, vcc
	global_load_dword v3, v[4:5], off
	v_max_f32_e32 v4, v36, v36
	s_mov_b32 s0, 0x3fb8aa3b
	s_mov_b32 s1, 0xc2ce8ed0
	s_waitcnt vmcnt(0)
	v_max_f32_e32 v5, v3, v3
	v_max_f32_e32 v4, v4, v5
	v_sub_f32_e32 v5, v36, v4
	v_sub_f32_e32 v3, v3, v4
	v_mul_f32_e32 v6, 0x3fb8aa3b, v5
	v_mul_f32_e32 v7, 0x3fb8aa3b, v3
	v_fma_f32 v8, v5, s0, -v6
	v_rndne_f32_e32 v9, v6
	v_fma_f32 v10, v3, s0, -v7
	v_rndne_f32_e32 v11, v7
	v_fmac_f32_e32 v8, 0x32a5705f, v5
	v_sub_f32_e32 v6, v6, v9
	v_fmac_f32_e32 v10, 0x32a5705f, v3
	v_sub_f32_e32 v7, v7, v11
	v_add_f32_e32 v6, v6, v8
	v_cvt_i32_f32_e32 v9, v9
	v_add_f32_e32 v7, v7, v10
	v_exp_f32_e32 v6, v6
	v_cvt_i32_f32_e32 v11, v11
	v_exp_f32_e32 v7, v7
	v_cmp_ngt_f32_e32 vcc, s1, v5
	v_ldexp_f32 v6, v6, v9
	s_mov_b32 s0, 0x42b17218
	v_ldexp_f32 v7, v7, v11
	v_cndmask_b32_e32 v6, 0, v6, vcc
	v_cmp_ngt_f32_e32 vcc, s1, v3
	v_mov_b32_e32 v8, 0x7f800000
	v_cndmask_b32_e32 v7, 0, v7, vcc
	v_cmp_nlt_f32_e32 vcc, s0, v5
	v_cndmask_b32_e32 v6, v8, v6, vcc
	v_cvt_f16_f32_e32 v9, v6
	v_cmp_nlt_f32_e32 vcc, s0, v3
	v_cndmask_b32_e32 v5, v8, v7, vcc
	v_fmac_f32_e32 v5, v37, v6
	v_pk_mul_f16 v66, v9, v66 op_sel_hi:[0,1]
	v_pk_mul_f16 v67, v9, v67 op_sel_hi:[0,1]
	v_pk_mov_b32 v[36:37], v[4:5], v[4:5] op_sel:[0,1]
	s_branch .LBB79_22
.LBB79_21:
	v_mov_b32_e32 v5, v37
.LBB79_22:
	v_div_scale_f32 v3, s[0:1], v5, v5, 1.0
	v_rcp_f32_e32 v4, v3
	s_load_dword s4, s[4:5], 0xd4
	s_mul_i32 s33, s33, s2
	v_add_u32_e32 v1, s33, v1
	v_fma_f32 v6, -v3, v4, 1.0
	v_fmac_f32_e32 v4, v6, v4
	v_div_scale_f32 v6, vcc, 1.0, v5, 1.0
	v_mul_f32_e32 v7, v6, v4
	v_fma_f32 v8, -v3, v7, v6
	v_fmac_f32_e32 v7, v8, v4
	v_fma_f32 v3, -v3, v7, v6
	s_waitcnt lgkmcnt(0)
	s_cmp_lg_u32 s4, 1
	v_div_fmas_f32 v3, v3, v4, v7
	v_div_fixup_f32 v3, v3, v5, 1.0
	s_cselect_b64 s[0:1], -1, 0
	v_cndmask_b32_e64 v6, v3, 1.0, s[0:1]
	v_mad_u64_u32 v[2:3], s[2:3], v1, s3, v[2:3]
	v_mul_lo_u32 v1, s4, v2
	v_add_u32_e32 v2, s7, v1
	v_lshl_add_u32 v4, v2, 7, v39
	v_mov_b32_e32 v5, 0
	v_lshlrev_b64 v[4:5], 2, v[4:5]
	v_cvt_f32_f16_sdwa v9, v66 dst_sel:DWORD dst_unused:UNUSED_PAD src0_sel:WORD_1
	v_cvt_f32_f16_e32 v8, v66
	v_cvt_f32_f16_sdwa v11, v67 dst_sel:DWORD dst_unused:UNUSED_PAD src0_sel:WORD_1
	v_cvt_f32_f16_e32 v10, v67
	v_mov_b32_e32 v1, s21
	v_add_co_u32_e32 v12, vcc, s20, v4
	v_addc_co_u32_e32 v13, vcc, v1, v5, vcc
	v_cmp_eq_u32_e32 vcc, 0, v0
	v_pk_mul_f32 v[4:5], v[6:7], v[8:9] op_sel_hi:[0,1]
	v_pk_mul_f32 v[6:7], v[6:7], v[10:11] op_sel_hi:[0,1]
	s_and_b64 s[0:1], vcc, s[0:1]
	global_store_dwordx4 v[12:13], v[4:7], off
	s_and_saveexec_b64 s[2:3], s[0:1]
	s_cbranch_execz .LBB79_24
; %bb.23:
	v_ashrrev_i32_e32 v3, 31, v2
	v_lshlrev_b64 v[0:1], 3, v[2:3]
	v_mov_b32_e32 v2, s23
	v_add_co_u32_e32 v0, vcc, s22, v0
	v_addc_co_u32_e32 v1, vcc, v2, v1, vcc
	global_store_dwordx2 v[0:1], v[36:37], off
.LBB79_24:
	s_endpgm
	.section	.rodata,"a",@progbits
	.p2align	6, 0x0
	.amdhsa_kernel _ZL15flash_attn_tileILi128ELi128ELi1ELi4ELb1EEvPKcS1_S1_S1_S1_PKiPfP15HIP_vector_typeIfLj2EEffffjfiS5_IjLj3EEiiiiiiiiiiiliiliiiiil
		.amdhsa_group_segment_fixed_size 18944
		.amdhsa_private_segment_fixed_size 0
		.amdhsa_kernarg_size 464
		.amdhsa_user_sgpr_count 6
		.amdhsa_user_sgpr_private_segment_buffer 1
		.amdhsa_user_sgpr_dispatch_ptr 0
		.amdhsa_user_sgpr_queue_ptr 0
		.amdhsa_user_sgpr_kernarg_segment_ptr 1
		.amdhsa_user_sgpr_dispatch_id 0
		.amdhsa_user_sgpr_flat_scratch_init 0
		.amdhsa_user_sgpr_kernarg_preload_length 0
		.amdhsa_user_sgpr_kernarg_preload_offset 0
		.amdhsa_user_sgpr_private_segment_size 0
		.amdhsa_uses_dynamic_stack 0
		.amdhsa_system_sgpr_private_segment_wavefront_offset 0
		.amdhsa_system_sgpr_workgroup_id_x 1
		.amdhsa_system_sgpr_workgroup_id_y 1
		.amdhsa_system_sgpr_workgroup_id_z 1
		.amdhsa_system_sgpr_workgroup_info 0
		.amdhsa_system_vgpr_workitem_id 1
		.amdhsa_next_free_vgpr 114
		.amdhsa_next_free_sgpr 44
		.amdhsa_accum_offset 116
		.amdhsa_reserve_vcc 1
		.amdhsa_reserve_flat_scratch 0
		.amdhsa_float_round_mode_32 0
		.amdhsa_float_round_mode_16_64 0
		.amdhsa_float_denorm_mode_32 3
		.amdhsa_float_denorm_mode_16_64 3
		.amdhsa_dx10_clamp 1
		.amdhsa_ieee_mode 1
		.amdhsa_fp16_overflow 0
		.amdhsa_tg_split 0
		.amdhsa_exception_fp_ieee_invalid_op 0
		.amdhsa_exception_fp_denorm_src 0
		.amdhsa_exception_fp_ieee_div_zero 0
		.amdhsa_exception_fp_ieee_overflow 0
		.amdhsa_exception_fp_ieee_underflow 0
		.amdhsa_exception_fp_ieee_inexact 0
		.amdhsa_exception_int_div_zero 0
	.end_amdhsa_kernel
	.section	.text._ZL15flash_attn_tileILi128ELi128ELi1ELi4ELb1EEvPKcS1_S1_S1_S1_PKiPfP15HIP_vector_typeIfLj2EEffffjfiS5_IjLj3EEiiiiiiiiiiiliiliiiiil,"axG",@progbits,_ZL15flash_attn_tileILi128ELi128ELi1ELi4ELb1EEvPKcS1_S1_S1_S1_PKiPfP15HIP_vector_typeIfLj2EEffffjfiS5_IjLj3EEiiiiiiiiiiiliiliiiiil,comdat
.Lfunc_end79:
	.size	_ZL15flash_attn_tileILi128ELi128ELi1ELi4ELb1EEvPKcS1_S1_S1_S1_PKiPfP15HIP_vector_typeIfLj2EEffffjfiS5_IjLj3EEiiiiiiiiiiiliiliiiiil, .Lfunc_end79-_ZL15flash_attn_tileILi128ELi128ELi1ELi4ELb1EEvPKcS1_S1_S1_S1_PKiPfP15HIP_vector_typeIfLj2EEffffjfiS5_IjLj3EEiiiiiiiiiiiliiliiiiil
                                        ; -- End function
	.section	.AMDGPU.csdata,"",@progbits
; Kernel info:
; codeLenInByte = 7216
; NumSgprs: 48
; NumVgprs: 114
; NumAgprs: 0
; TotalNumVgprs: 114
; ScratchSize: 0
; MemoryBound: 0
; FloatMode: 240
; IeeeMode: 1
; LDSByteSize: 18944 bytes/workgroup (compile time only)
; SGPRBlocks: 5
; VGPRBlocks: 14
; NumSGPRsForWavesPerEU: 48
; NumVGPRsForWavesPerEU: 114
; AccumOffset: 116
; Occupancy: 2
; WaveLimiterHint : 1
; COMPUTE_PGM_RSRC2:SCRATCH_EN: 0
; COMPUTE_PGM_RSRC2:USER_SGPR: 6
; COMPUTE_PGM_RSRC2:TRAP_HANDLER: 0
; COMPUTE_PGM_RSRC2:TGID_X_EN: 1
; COMPUTE_PGM_RSRC2:TGID_Y_EN: 1
; COMPUTE_PGM_RSRC2:TGID_Z_EN: 1
; COMPUTE_PGM_RSRC2:TIDIG_COMP_CNT: 1
; COMPUTE_PGM_RSRC3_GFX90A:ACCUM_OFFSET: 28
; COMPUTE_PGM_RSRC3_GFX90A:TG_SPLIT: 0
	.section	.text._ZL15flash_attn_tileILi128ELi128ELi32ELi2ELb1EEvPKcS1_S1_S1_S1_PKiPfP15HIP_vector_typeIfLj2EEffffjfiS5_IjLj3EEiiiiiiiiiiiliiliiiiil,"axG",@progbits,_ZL15flash_attn_tileILi128ELi128ELi32ELi2ELb1EEvPKcS1_S1_S1_S1_PKiPfP15HIP_vector_typeIfLj2EEffffjfiS5_IjLj3EEiiiiiiiiiiiliiliiiiil,comdat
	.globl	_ZL15flash_attn_tileILi128ELi128ELi32ELi2ELb1EEvPKcS1_S1_S1_S1_PKiPfP15HIP_vector_typeIfLj2EEffffjfiS5_IjLj3EEiiiiiiiiiiiliiliiiiil ; -- Begin function _ZL15flash_attn_tileILi128ELi128ELi32ELi2ELb1EEvPKcS1_S1_S1_S1_PKiPfP15HIP_vector_typeIfLj2EEffffjfiS5_IjLj3EEiiiiiiiiiiiliiliiiiil
	.p2align	8
	.type	_ZL15flash_attn_tileILi128ELi128ELi32ELi2ELb1EEvPKcS1_S1_S1_S1_PKiPfP15HIP_vector_typeIfLj2EEffffjfiS5_IjLj3EEiiiiiiiiiiiliiliiiiil,@function
_ZL15flash_attn_tileILi128ELi128ELi32ELi2ELb1EEvPKcS1_S1_S1_S1_PKiPfP15HIP_vector_typeIfLj2EEffffjfiS5_IjLj3EEiiiiiiiiiiiliiliiiiil: ; @_ZL15flash_attn_tileILi128ELi128ELi32ELi2ELb1EEvPKcS1_S1_S1_S1_PKiPfP15HIP_vector_typeIfLj2EEffffjfiS5_IjLj3EEiiiiiiiiiiiliiliiiiil
; %bb.0:
	s_load_dwordx4 s[0:3], s[4:5], 0x5c
	s_load_dwordx2 s[30:31], s[4:5], 0x80
	s_load_dwordx2 s[36:37], s[4:5], 0xb8
	s_mov_b64 s[34:35], 0
	s_waitcnt lgkmcnt(0)
	s_lshr_b32 s9, s3, 31
	s_add_i32 s9, s3, s9
	s_ashr_i32 s9, s9, 1
	v_cvt_f32_u32_e32 v1, s9
	s_sub_i32 s10, 0, s9
	v_rcp_iflag_f32_e32 v1, v1
	v_mul_f32_e32 v1, 0x4f7ffffe, v1
	v_cvt_u32_f32_e32 v1, v1
	v_readfirstlane_b32 s11, v1
	s_mul_i32 s10, s10, s11
	s_mul_hi_u32 s10, s11, s10
	s_add_i32 s11, s11, s10
	s_mul_hi_u32 s10, s8, s11
	s_mul_i32 s11, s10, s9
	s_sub_i32 s11, s8, s11
	s_add_i32 s12, s10, 1
	s_sub_i32 s13, s11, s9
	s_cmp_ge_u32 s11, s9
	s_cselect_b32 s10, s12, s10
	s_cselect_b32 s11, s13, s11
	s_add_i32 s12, s10, 1
	s_cmp_ge_u32 s11, s9
	s_cselect_b32 s33, s12, s10
	s_abs_i32 s9, s31
	v_cvt_f32_u32_e32 v1, s9
	s_lshl_b32 s8, s8, 1
	s_mul_i32 s12, s33, s3
	s_sub_i32 s13, 0, s9
	v_rcp_iflag_f32_e32 v1, v1
	s_sub_i32 s28, s8, s12
	s_abs_i32 s11, s3
	s_xor_b32 s10, s3, s31
	v_mul_f32_e32 v1, 0x4f7ffffe, v1
	v_cvt_u32_f32_e32 v1, v1
	s_ashr_i32 s10, s10, 31
	v_readfirstlane_b32 s8, v1
	s_mul_i32 s13, s13, s8
	s_mul_hi_u32 s12, s8, s13
	s_add_i32 s8, s8, s12
	s_mul_hi_u32 s8, s11, s8
	s_mul_i32 s12, s8, s9
	s_sub_i32 s11, s11, s12
	s_add_i32 s13, s8, 1
	s_sub_i32 s12, s11, s9
	s_cmp_ge_u32 s11, s9
	s_cselect_b32 s8, s13, s8
	s_cselect_b32 s11, s12, s11
	s_add_i32 s12, s8, 1
	s_cmp_ge_u32 s11, s9
	s_cselect_b32 s8, s12, s8
	s_xor_b32 s8, s8, s10
	s_sub_i32 s31, s8, s10
	s_abs_i32 s29, s31
	v_cvt_f32_u32_e32 v1, s29
	s_load_dwordx16 s[8:23], s[4:5], 0x0
	v_rcp_iflag_f32_e32 v1, v1
	s_waitcnt lgkmcnt(0)
	s_cmp_eq_u64 s[14:15], 0
	v_mul_f32_e32 v1, 0x4f7ffffe, v1
	v_cvt_u32_f32_e32 v1, v1
	v_readfirstlane_b32 s38, v1
	s_cbranch_scc1 .LBB80_2
; %bb.1:
	s_abs_i32 s26, s36
	v_cvt_f32_u32_e32 v1, s26
	s_sub_i32 s35, 0, s26
	s_abs_i32 s34, s33
	s_ashr_i32 s27, s33, 31
	v_rcp_iflag_f32_e32 v1, v1
	s_load_dwordx2 s[24:25], s[4:5], 0xc8
	v_mul_f32_e32 v1, 0x4f7ffffe, v1
	v_cvt_u32_f32_e32 v1, v1
	v_readfirstlane_b32 s36, v1
	s_mul_i32 s35, s35, s36
	s_mul_hi_u32 s35, s36, s35
	s_add_i32 s36, s36, s35
	s_mul_hi_u32 s35, s34, s36
	s_mul_i32 s35, s35, s26
	s_sub_i32 s34, s34, s35
	s_sub_i32 s35, s34, s26
	s_cmp_ge_u32 s34, s26
	s_cselect_b32 s34, s35, s34
	s_sub_i32 s35, s34, s26
	s_cmp_ge_u32 s34, s26
	s_cselect_b32 s26, s35, s34
	s_xor_b32 s26, s26, s27
	s_sub_i32 s26, s26, s27
	s_ashr_i32 s27, s26, 31
	s_waitcnt lgkmcnt(0)
	s_mul_i32 s25, s26, s25
	s_mul_hi_u32 s34, s26, s24
	s_add_i32 s25, s34, s25
	s_mul_i32 s27, s27, s24
	s_add_i32 s25, s25, s27
	s_mul_i32 s26, s26, s24
	s_add_u32 s34, s14, s26
	s_addc_u32 s35, s15, s25
.LBB80_2:
	s_load_dwordx4 s[24:27], s[4:5], 0x70
	v_bfe_u32 v17, v0, 10, 10
	s_lshl_b32 s14, s6, 5
	v_lshlrev_b32_e32 v41, 2, v17
	v_add_u32_e32 v43, s14, v41
	s_waitcnt lgkmcnt(0)
	s_mul_i32 s15, s33, s26
	s_ashr_i32 s27, s15, 31
	v_and_b32_e32 v42, 0x3ff, v0
	v_mul_hi_u32 v0, v43, s0
	s_mul_i32 s26, s28, s25
	s_add_u32 s8, s8, s15
	v_add_u32_e32 v0, v43, v0
	s_addc_u32 s15, s9, s27
	s_ashr_i32 s27, s26, 31
	v_lshrrev_b32_e32 v0, s1, v0
	s_add_u32 s9, s8, s26
	v_mul_lo_u32 v0, v0, s2
	s_addc_u32 s15, s15, s27
	s_ashr_i32 s8, s24, 31
	v_sub_u32_e32 v18, v43, v0
	v_mov_b32_e32 v0, s24
	v_alignbit_b32 v48, s8, v0, 2
	v_mad_u64_u32 v[0:1], s[26:27], v48, v18, 0
	v_mov_b32_e32 v2, v1
	s_lshr_b32 s8, s8, 2
	v_mad_u64_u32 v[2:3], s[26:27], s8, v18, v[2:3]
	v_mov_b32_e32 v1, v2
	v_lshlrev_b64 v[0:1], 2, v[0:1]
	v_mov_b32_e32 v2, s15
	v_add_co_u32_e32 v3, vcc, s9, v0
	s_ashr_i32 s36, s25, 31
	v_addc_co_u32_e32 v2, vcc, v2, v1, vcc
	v_lshlrev_b32_e32 v16, 4, v42
	s_and_b32 s24, s25, -4
	v_add_co_u32_e32 v8, vcc, v3, v16
	s_add_u32 s24, s9, s24
	v_lshlrev_b32_e32 v19, 3, v17
	v_addc_co_u32_e32 v9, vcc, 0, v2, vcc
	s_addc_u32 s25, s15, s36
	v_mov_b32_e32 v2, s25
	v_add_co_u32_e32 v0, vcc, s24, v0
	v_or_b32_e32 v52, 2, v19
	v_addc_co_u32_e32 v1, vcc, v2, v1, vcc
	v_lshrrev_b32_e32 v39, 1, v52
	v_add_co_u32_e32 v10, vcc, v0, v16
	v_add_u32_e32 v40, s14, v39
	v_addc_co_u32_e32 v11, vcc, 0, v1, vcc
	global_load_dwordx4 v[4:7], v[8:9], off
	global_load_dwordx4 v[0:3], v[10:11], off
	v_mul_hi_u32 v8, v40, s0
	v_add_u32_e32 v8, v40, v8
	v_lshrrev_b32_e32 v8, s1, v8
	v_mul_lo_u32 v8, v8, s2
	v_sub_u32_e32 v11, v40, v8
	v_mad_u64_u32 v[8:9], s[26:27], v48, v11, 0
	v_mov_b32_e32 v10, v9
	v_mad_u64_u32 v[10:11], s[26:27], s8, v11, v[10:11]
	v_mov_b32_e32 v9, v10
	v_lshlrev_b64 v[8:9], 2, v[8:9]
	v_or_b32_e32 v53, 3, v19
	v_mov_b32_e32 v10, s15
	v_add_co_u32_e32 v8, vcc, s9, v8
	v_lshrrev_b32_e32 v37, 1, v53
	v_addc_co_u32_e32 v9, vcc, v10, v9, vcc
	v_add_u32_e32 v38, s14, v37
	v_add_co_u32_e32 v20, vcc, v8, v16
	v_mul_hi_u32 v8, v38, s0
	v_add_u32_e32 v8, v38, v8
	v_lshrrev_b32_e32 v8, s1, v8
	v_mul_lo_u32 v8, v8, s2
	v_sub_u32_e32 v11, v38, v8
	v_addc_co_u32_e32 v21, vcc, 0, v9, vcc
	v_mad_u64_u32 v[8:9], s[26:27], v48, v11, 0
	v_mov_b32_e32 v10, v9
	v_mad_u64_u32 v[10:11], s[26:27], s8, v11, v[10:11]
	v_mov_b32_e32 v9, v10
	v_lshlrev_b64 v[8:9], 2, v[8:9]
	v_mov_b32_e32 v10, s25
	v_add_co_u32_e32 v8, vcc, s24, v8
	v_or_b32_e32 v54, 4, v19
	v_addc_co_u32_e32 v9, vcc, v10, v9, vcc
	v_lshrrev_b32_e32 v34, 1, v54
	v_add_co_u32_e32 v22, vcc, v8, v16
	v_add_u32_e32 v35, s14, v34
	v_addc_co_u32_e32 v23, vcc, 0, v9, vcc
	global_load_dwordx4 v[8:11], v[20:21], off
	global_load_dwordx4 v[12:15], v[22:23], off
	v_mul_hi_u32 v20, v35, s0
	v_add_u32_e32 v20, v35, v20
	v_lshrrev_b32_e32 v20, s1, v20
	v_mul_lo_u32 v20, v20, s2
	v_sub_u32_e32 v23, v35, v20
	v_mad_u64_u32 v[20:21], s[26:27], v48, v23, 0
	v_mov_b32_e32 v22, v21
	v_mad_u64_u32 v[22:23], s[26:27], s8, v23, v[22:23]
	v_mov_b32_e32 v21, v22
	v_lshlrev_b64 v[20:21], 2, v[20:21]
	v_or_b32_e32 v55, 5, v19
	v_mov_b32_e32 v22, s15
	v_add_co_u32_e32 v20, vcc, s9, v20
	v_lshrrev_b32_e32 v32, 1, v55
	v_addc_co_u32_e32 v21, vcc, v22, v21, vcc
	v_add_u32_e32 v33, s14, v32
	v_add_co_u32_e32 v28, vcc, v20, v16
	v_mul_hi_u32 v20, v33, s0
	v_add_u32_e32 v20, v33, v20
	v_lshrrev_b32_e32 v20, s1, v20
	v_mul_lo_u32 v20, v20, s2
	v_sub_u32_e32 v23, v33, v20
	v_addc_co_u32_e32 v29, vcc, 0, v21, vcc
	v_mad_u64_u32 v[20:21], s[26:27], v48, v23, 0
	v_mov_b32_e32 v22, v21
	v_mad_u64_u32 v[22:23], s[26:27], s8, v23, v[22:23]
	v_mov_b32_e32 v21, v22
	v_lshlrev_b64 v[20:21], 2, v[20:21]
	v_mov_b32_e32 v22, s25
	v_add_co_u32_e32 v20, vcc, s24, v20
	v_addc_co_u32_e32 v21, vcc, v22, v21, vcc
	v_add_co_u32_e32 v30, vcc, v20, v16
	v_or_b32_e32 v56, 6, v19
	v_addc_co_u32_e32 v31, vcc, 0, v21, vcc
	global_load_dwordx4 v[20:23], v[28:29], off
	global_load_dwordx4 v[24:27], v[30:31], off
	v_lshrrev_b32_e32 v30, 1, v56
	v_add_u32_e32 v31, s14, v30
	v_mul_hi_u32 v28, v31, s0
	v_add_u32_e32 v28, v31, v28
	v_lshrrev_b32_e32 v28, s1, v28
	v_mul_lo_u32 v28, v28, s2
	v_sub_u32_e32 v44, v31, v28
	v_mad_u64_u32 v[28:29], s[26:27], v48, v44, 0
	v_mov_b32_e32 v36, v29
	v_mad_u64_u32 v[44:45], s[26:27], s8, v44, v[36:37]
	v_mov_b32_e32 v29, v44
	v_lshlrev_b64 v[28:29], 2, v[28:29]
	v_mov_b32_e32 v36, s15
	v_add_co_u32_e32 v28, vcc, s9, v28
	v_addc_co_u32_e32 v29, vcc, v36, v29, vcc
	v_add_co_u32_e32 v28, vcc, v28, v16
	v_addc_co_u32_e32 v29, vcc, 0, v29, vcc
	v_or_b32_e32 v57, 7, v19
	global_load_dwordx4 v[44:47], v[28:29], off
	v_lshrrev_b32_e32 v28, 1, v57
	v_add_u32_e32 v29, s14, v28
	v_mul_hi_u32 v36, v29, s0
	v_add_u32_e32 v36, v29, v36
	v_lshrrev_b32_e32 v36, s1, v36
	v_mul_lo_u32 v36, v36, s2
	v_sub_u32_e32 v50, v29, v36
	v_mad_u64_u32 v[48:49], s[26:27], v48, v50, 0
	v_mov_b32_e32 v36, v49
	v_mad_u64_u32 v[50:51], s[8:9], s8, v50, v[36:37]
	v_mov_b32_e32 v49, v50
	v_lshlrev_b64 v[48:49], 2, v[48:49]
	v_mov_b32_e32 v36, s25
	v_add_co_u32_e32 v48, vcc, s24, v48
	v_addc_co_u32_e32 v36, vcc, v36, v49, vcc
	v_add_co_u32_e32 v48, vcc, v48, v16
	v_addc_co_u32_e32 v49, vcc, 0, v36, vcc
	global_load_dwordx4 v[48:51], v[48:49], off
	s_load_dword s8, s[4:5], 0x40
	v_lshlrev_b32_e32 v36, 1, v42
	s_cmp_eq_u64 s[18:19], 0
	s_waitcnt vmcnt(7) lgkmcnt(0)
	v_pk_mul_f32 v[4:5], v[4:5], s[8:9] op_sel_hi:[1,0]
	v_cvt_f16_f32_e32 v58, v5
	v_cvt_f16_f32_e32 v59, v4
	v_pk_mul_f32 v[4:5], v[6:7], s[8:9] op_sel_hi:[1,0]
	s_waitcnt vmcnt(6)
	v_pk_mul_f32 v[0:1], v[0:1], s[8:9] op_sel_hi:[1,0]
	v_pk_mul_f32 v[2:3], v[2:3], s[8:9] op_sel_hi:[1,0]
	v_cvt_f16_f32_e32 v5, v5
	v_cvt_f16_f32_e32 v4, v4
	;; [unrolled: 1-line block ×6, first 2 shown]
	v_lshlrev_b32_e32 v6, 3, v42
	v_lshl_or_b32 v6, v17, 11, v6
	v_pack_b32_f16 v1, v4, v5
	v_pack_b32_f16 v0, v59, v58
	;; [unrolled: 1-line block ×4, first 2 shown]
	ds_write2_b64 v6, v[0:1], v[2:3] offset1:32
	s_waitcnt vmcnt(5)
	v_pk_mul_f32 v[0:1], v[8:9], s[8:9] op_sel_hi:[1,0]
	v_pk_mul_f32 v[2:3], v[10:11], s[8:9] op_sel_hi:[1,0]
	v_cvt_f16_f32_e32 v4, v1
	v_cvt_f16_f32_e32 v1, v3
	v_cvt_f16_f32_e32 v2, v2
	v_cvt_f16_f32_e32 v0, v0
	v_lshlrev_b32_e32 v3, 6, v52
	v_add_lshl_u32 v3, v3, v36, 2
	v_pack_b32_f16 v1, v2, v1
	v_pack_b32_f16 v0, v0, v4
	ds_write_b64 v3, v[0:1]
	s_waitcnt vmcnt(4)
	v_pk_mul_f32 v[0:1], v[12:13], s[8:9] op_sel_hi:[1,0]
	v_pk_mul_f32 v[2:3], v[14:15], s[8:9] op_sel_hi:[1,0]
	v_cvt_f16_f32_e32 v4, v1
	v_cvt_f16_f32_e32 v1, v3
	v_cvt_f16_f32_e32 v2, v2
	v_cvt_f16_f32_e32 v0, v0
	v_lshlrev_b32_e32 v3, 6, v53
	v_add_lshl_u32 v3, v3, v36, 2
	v_pack_b32_f16 v1, v2, v1
	v_pack_b32_f16 v0, v0, v4
	ds_write_b64 v3, v[0:1]
	;; [unrolled: 12-line block ×6, first 2 shown]
	s_waitcnt lgkmcnt(0)
	s_barrier
	s_cbranch_scc1 .LBB80_4
; %bb.3:
	s_load_dword s8, s[4:5], 0xd0
	s_mov_b32 s9, 0
	s_waitcnt lgkmcnt(0)
	s_mul_i32 s8, s8, s33
	s_add_i32 s8, s8, s6
	s_lshl_b64 s[8:9], s[8:9], 2
	s_add_u32 s8, s18, s8
	s_addc_u32 s9, s19, s9
	s_load_dword s30, s[8:9], 0x0
.LBB80_4:
	s_lshl_b32 s6, s7, 6
	s_waitcnt lgkmcnt(0)
	s_cmp_lt_i32 s6, s30
	v_mbcnt_lo_u32_b32 v21, -1, 0
	s_cbranch_scc1 .LBB80_6
; %bb.5:
	v_mbcnt_hi_u32_b32 v44, -1, v21
	v_and_b32_e32 v0, 0x60, v44
	s_mov_b32 s15, 0
	v_add_u32_e32 v85, 32, v0
	v_xor_b32_e32 v88, 16, v44
	v_xor_b32_e32 v91, 8, v44
	;; [unrolled: 1-line block ×5, first 2 shown]
	s_mov_b64 s[8:9], 0
	s_mov_b32 s18, 0xfeffffff
	s_branch .LBB80_7
.LBB80_6:
	s_mov_b64 s[8:9], -1
                                        ; implicit-def: $sgpr18
                                        ; implicit-def: $sgpr15
                                        ; implicit-def: $vgpr44
                                        ; implicit-def: $vgpr85
                                        ; implicit-def: $vgpr88
                                        ; implicit-def: $vgpr91
                                        ; implicit-def: $vgpr90
                                        ; implicit-def: $vgpr89
                                        ; implicit-def: $vgpr87
.LBB80_7:
	v_lshlrev_b32_e32 v36, 2, v42
	s_andn2_b64 vcc, exec, s[8:9]
	v_mov_b32_e32 v7, s18
	v_mov_b32_e32 v9, s15
	;; [unrolled: 1-line block ×32, first 2 shown]
	s_cbranch_vccnz .LBB80_75
; %bb.8:
	s_sub_i32 s8, 0, s29
	s_mul_i32 s8, s8, s38
	s_mul_hi_u32 s8, s38, s8
	s_add_i32 s38, s38, s8
	s_load_dwordx4 s[24:27], s[4:5], 0x98
	s_load_dword s8, s[4:5], 0x54
	s_load_dwordx2 s[18:19], s[4:5], 0x8c
	s_abs_i32 s9, s28
	s_ashr_i32 s40, s28, 31
	s_waitcnt lgkmcnt(0)
	s_ashr_i32 s15, s26, 2
	s_ashr_i32 s26, s37, 1
	;; [unrolled: 1-line block ×3, first 2 shown]
	s_mul_i32 s25, s33, s25
	s_mul_hi_u32 s41, s33, s24
	s_add_i32 s25, s41, s25
	s_mul_i32 s41, s37, s24
	s_ashr_i32 s31, s31, 31
	s_ashr_i32 s18, s18, 2
	s_add_i32 s25, s25, s41
	s_mul_i32 s24, s33, s24
	s_mul_hi_u32 s36, s9, s38
	s_add_u32 s10, s10, s24
	s_addc_u32 s11, s11, s25
	s_mul_i32 s25, s36, s29
	s_sub_i32 s9, s9, s25
	s_xor_b32 s24, s40, s31
	s_add_i32 s25, s36, 1
	s_sub_i32 s31, s9, s29
	s_cmp_ge_u32 s9, s29
	s_cselect_b32 s25, s25, s36
	s_cselect_b32 s9, s31, s9
	s_add_i32 s31, s25, 1
	s_cmp_ge_u32 s9, s29
	s_cselect_b32 s9, s31, s25
	s_load_dwordx2 s[38:39], s[4:5], 0xa8
	s_xor_b32 s9, s9, s24
	s_sub_i32 s9, s9, s24
	s_mul_i32 s19, s9, s19
	s_ashr_i32 s24, s19, 31
	s_add_u32 s10, s10, s19
	s_addc_u32 s11, s11, s24
	s_waitcnt lgkmcnt(0)
	s_mul_i32 s19, s33, s39
	s_mul_hi_u32 s24, s33, s38
	s_add_i32 s19, s24, s19
	s_mul_i32 s37, s37, s38
	s_add_i32 s19, s19, s37
	s_mul_i32 s24, s33, s38
	v_lshrrev_b32_e32 v0, 2, v42
	s_add_u32 s12, s12, s24
	s_mul_i32 s9, s9, s27
	v_add_u32_e32 v0, v19, v0
	s_addc_u32 s13, s13, s19
	s_ashr_i32 s19, s9, 31
	v_and_b32_e32 v1, 12, v36
	v_mul_u32_u24_e32 v2, 0x50, v0
	v_mul_lo_u32 v0, s18, v0
	s_add_u32 s9, s12, s9
	v_lshlrev_b32_e32 v3, 2, v1
	v_ashrrev_i32_e32 v1, 31, v0
	s_addc_u32 s12, s13, s19
	s_movk_i32 s13, 0x6000
	v_lshlrev_b64 v[0:1], 2, v[0:1]
	v_add3_u32 v45, v2, v3, s13
	v_mov_b32_e32 v2, s11
	v_add_co_u32_e32 v0, vcc, s10, v0
	v_addc_co_u32_e32 v1, vcc, v2, v1, vcc
	v_add_co_u32_e32 v46, vcc, v0, v3
	v_add_u32_e32 v0, 1, v43
	v_addc_co_u32_e32 v47, vcc, 0, v1, vcc
	v_mul_hi_u32 v1, s0, v0
	v_add_u32_e32 v1, v0, v1
	v_lshrrev_b32_e32 v1, s1, v1
	v_mul_lo_u32 v1, v1, s2
	v_sub_u32_e32 v0, v0, v1
	v_mul_lo_u32 v51, v0, s26
	v_add_u32_e32 v0, 2, v43
	v_mul_hi_u32 v1, s0, v0
	v_add_u32_e32 v1, v0, v1
	v_lshrrev_b32_e32 v1, s1, v1
	v_mul_lo_u32 v1, v1, s2
	v_sub_u32_e32 v0, v0, v1
	v_mul_lo_u32 v52, v0, s26
	v_add_u32_e32 v0, 3, v43
	v_mul_hi_u32 v1, s0, v0
	v_add_u32_e32 v1, v0, v1
	v_lshrrev_b32_e32 v1, s1, v1
	v_mul_lo_u32 v1, v1, s2
	v_sub_u32_e32 v0, v0, v1
	v_mul_lo_u32 v53, v0, s26
	v_mov_b32_e32 v0, 0x4000
	v_lshl_add_u32 v54, v17, 10, v0
	v_lshrrev_b32_e32 v0, 4, v42
	v_and_b32_e32 v1, 60, v36
	v_lshl_add_u32 v0, v17, 1, v0
	v_lshlrev_b32_e32 v2, 2, v1
	v_lshl_or_b32 v1, v0, 8, v2
	v_mul_lo_u32 v0, s15, v0
	v_add_u32_e32 v55, 0x6000, v1
	v_ashrrev_i32_e32 v1, 31, v0
	v_lshlrev_b64 v[0:1], 2, v[0:1]
	v_mov_b32_e32 v3, s12
	v_add_co_u32_e32 v0, vcc, s9, v0
	v_addc_co_u32_e32 v1, vcc, v3, v1, vcc
	v_add_co_u32_e32 v56, vcc, v0, v2
	v_mov_b32_e32 v0, 0x6000
	s_add_u32 s0, s4, 0xd0
	v_mov_b32_e32 v20, 0xfeffffff
	v_mov_b32_e32 v12, 0
	v_mul_u32_u24_e32 v48, 0x50, v42
	v_lshlrev_b32_e32 v49, 11, v17
	v_mul_lo_u32 v50, v18, s26
	v_addc_co_u32_e32 v57, vcc, 0, v1, vcc
	v_lshl_or_b32 v58, v42, 3, v0
	s_addc_u32 s1, s5, 0
	s_mov_b32 s9, s8
	v_mov_b32_e32 v68, 0
	s_mov_b32 s12, 0x3f200000
	s_mov_b32 s13, 0x3fb8aa3b
	;; [unrolled: 1-line block ×4, first 2 shown]
	v_mov_b32_e32 v59, 0xbd5c1c4e
	v_mov_b32_e32 v60, 0x3e088382
	;; [unrolled: 1-line block ×3, first 2 shown]
	s_brev_b32 s25, -2
	v_mbcnt_hi_u32_b32 v44, -1, v21
	v_add_u32_e32 v62, v54, v16
	v_mov_b32_e32 v63, 0x7f800000
	v_mov_b32_e32 v69, 0
	;; [unrolled: 1-line block ×30, first 2 shown]
.LBB80_9:                               ; =>This Inner Loop Header: Depth=1
	s_mul_hi_i32 s11, s6, s18
	s_mul_i32 s10, s6, s18
	s_lshl_b64 s[10:11], s[10:11], 2
	v_mov_b32_e32 v3, s11
	v_add_co_u32_e32 v2, vcc, s10, v46
	v_addc_co_u32_e32 v3, vcc, v47, v3, vcc
	global_load_dwordx4 v[88:91], v[2:3], off
	v_mov_b32_e32 v4, 0
	v_mov_b32_e32 v84, 0
	;; [unrolled: 1-line block ×16, first 2 shown]
                                        ; implicit-def: $vgpr85
	s_waitcnt vmcnt(0)
	ds_write_b128 v45, v[88:91]
	s_waitcnt lgkmcnt(0)
	s_barrier
	ds_read_b128 v[88:91], v48 offset:24576
	ds_read_b128 v[92:95], v48 offset:27136
	ds_read_b128 v[96:99], v49
	ds_read_b128 v[100:103], v49 offset:256
	ds_read_b128 v[104:107], v49 offset:512
	;; [unrolled: 1-line block ×7, first 2 shown]
	s_waitcnt lgkmcnt(7)
	;;#ASMSTART
	v_dot2_f32_f16 v4, v88, v96, v4
	;;#ASMEND
	;;#ASMSTART
	v_dot2_f32_f16 v4, v89, v97, v4
	;;#ASMEND
	;;#ASMSTART
	v_dot2_f32_f16 v4, v90, v98, v4
	;;#ASMEND
	;;#ASMSTART
	v_dot2_f32_f16 v4, v91, v99, v4
	;;#ASMEND
	s_waitcnt lgkmcnt(6)
	;;#ASMSTART
	v_dot2_f32_f16 v84, v88, v100, v84
	;;#ASMEND
	;;#ASMSTART
	v_dot2_f32_f16 v84, v89, v101, v84
	;;#ASMEND
	;;#ASMSTART
	v_dot2_f32_f16 v84, v90, v102, v84
	;;#ASMEND
	;;#ASMSTART
	v_dot2_f32_f16 v84, v91, v103, v84
	;;#ASMEND
	;; [unrolled: 13-line block ×8, first 2 shown]
	;;#ASMSTART
	v_dot2_f32_f16 v5, v92, v96, v5
	;;#ASMEND
	;;#ASMSTART
	v_dot2_f32_f16 v5, v93, v97, v5
	;;#ASMEND
	;; [unrolled: 3-line block ×32, first 2 shown]
	ds_read_b128 v[88:91], v48 offset:24592
	ds_read_b128 v[92:95], v48 offset:27152
	ds_read_b128 v[96:99], v49 offset:16
	ds_read_b128 v[100:103], v49 offset:272
	ds_read_b128 v[104:107], v49 offset:528
	ds_read_b128 v[108:111], v49 offset:784
	ds_read_b128 v[112:115], v49 offset:1040
	ds_read_b128 v[116:119], v49 offset:1296
	ds_read_b128 v[120:123], v49 offset:1552
	ds_read_b128 v[124:127], v49 offset:1808
	s_waitcnt lgkmcnt(7)
	;;#ASMSTART
	v_dot2_f32_f16 v4, v88, v96, v4
	;;#ASMEND
	;;#ASMSTART
	v_dot2_f32_f16 v4, v89, v97, v4
	;;#ASMEND
	;;#ASMSTART
	v_dot2_f32_f16 v4, v90, v98, v4
	;;#ASMEND
	;;#ASMSTART
	v_dot2_f32_f16 v4, v91, v99, v4
	;;#ASMEND
	s_waitcnt lgkmcnt(6)
	;;#ASMSTART
	v_dot2_f32_f16 v84, v88, v100, v84
	;;#ASMEND
	;;#ASMSTART
	v_dot2_f32_f16 v84, v89, v101, v84
	;;#ASMEND
	;;#ASMSTART
	v_dot2_f32_f16 v84, v90, v102, v84
	;;#ASMEND
	;;#ASMSTART
	v_dot2_f32_f16 v84, v91, v103, v84
	;;#ASMEND
	;; [unrolled: 13-line block ×8, first 2 shown]
	;;#ASMSTART
	v_dot2_f32_f16 v5, v92, v96, v5
	;;#ASMEND
	;;#ASMSTART
	v_dot2_f32_f16 v5, v93, v97, v5
	;;#ASMEND
	;; [unrolled: 3-line block ×32, first 2 shown]
	ds_read_b128 v[88:91], v48 offset:24608
	ds_read_b128 v[92:95], v48 offset:27168
	ds_read_b128 v[96:99], v49 offset:32
	ds_read_b128 v[100:103], v49 offset:288
	ds_read_b128 v[104:107], v49 offset:544
	ds_read_b128 v[108:111], v49 offset:800
	ds_read_b128 v[112:115], v49 offset:1056
	ds_read_b128 v[116:119], v49 offset:1312
	ds_read_b128 v[120:123], v49 offset:1568
	ds_read_b128 v[124:127], v49 offset:1824
	s_waitcnt lgkmcnt(7)
	;;#ASMSTART
	v_dot2_f32_f16 v4, v88, v96, v4
	;;#ASMEND
	;;#ASMSTART
	v_dot2_f32_f16 v4, v89, v97, v4
	;;#ASMEND
	;;#ASMSTART
	v_dot2_f32_f16 v4, v90, v98, v4
	;;#ASMEND
	;;#ASMSTART
	v_dot2_f32_f16 v4, v91, v99, v4
	;;#ASMEND
	s_waitcnt lgkmcnt(6)
	;;#ASMSTART
	v_dot2_f32_f16 v84, v88, v100, v84
	;;#ASMEND
	;;#ASMSTART
	v_dot2_f32_f16 v84, v89, v101, v84
	;;#ASMEND
	;;#ASMSTART
	v_dot2_f32_f16 v84, v90, v102, v84
	;;#ASMEND
	;;#ASMSTART
	v_dot2_f32_f16 v84, v91, v103, v84
	;;#ASMEND
	;; [unrolled: 13-line block ×8, first 2 shown]
	;;#ASMSTART
	v_dot2_f32_f16 v5, v92, v96, v5
	;;#ASMEND
	;;#ASMSTART
	v_dot2_f32_f16 v5, v93, v97, v5
	;;#ASMEND
	;; [unrolled: 3-line block ×32, first 2 shown]
	ds_read_b128 v[88:91], v48 offset:24624
	ds_read_b128 v[92:95], v48 offset:27184
	;; [unrolled: 1-line block ×10, first 2 shown]
	s_waitcnt lgkmcnt(7)
	;;#ASMSTART
	v_dot2_f32_f16 v4, v88, v96, v4
	;;#ASMEND
	;;#ASMSTART
	v_dot2_f32_f16 v4, v89, v97, v4
	;;#ASMEND
	;;#ASMSTART
	v_dot2_f32_f16 v4, v90, v98, v4
	;;#ASMEND
	;;#ASMSTART
	v_dot2_f32_f16 v4, v91, v99, v4
	;;#ASMEND
	s_waitcnt lgkmcnt(6)
	;;#ASMSTART
	v_dot2_f32_f16 v84, v88, v100, v84
	;;#ASMEND
	;;#ASMSTART
	v_dot2_f32_f16 v84, v89, v101, v84
	;;#ASMEND
	;;#ASMSTART
	v_dot2_f32_f16 v84, v90, v102, v84
	;;#ASMEND
	;;#ASMSTART
	v_dot2_f32_f16 v84, v91, v103, v84
	;;#ASMEND
	s_waitcnt lgkmcnt(5)
	;;#ASMSTART
	v_dot2_f32_f16 v22, v88, v104, v22
	;;#ASMEND
	;;#ASMSTART
	v_dot2_f32_f16 v22, v89, v105, v22
	;;#ASMEND
	;;#ASMSTART
	v_dot2_f32_f16 v22, v90, v106, v22
	;;#ASMEND
	;;#ASMSTART
	v_dot2_f32_f16 v22, v91, v107, v22
	;;#ASMEND
	s_waitcnt lgkmcnt(4)
	;;#ASMSTART
	v_dot2_f32_f16 v26, v88, v108, v26
	;;#ASMEND
	;;#ASMSTART
	v_dot2_f32_f16 v26, v89, v109, v26
	;;#ASMEND
	;;#ASMSTART
	v_dot2_f32_f16 v26, v90, v110, v26
	;;#ASMEND
	;;#ASMSTART
	v_dot2_f32_f16 v26, v91, v111, v26
	;;#ASMEND
	s_waitcnt lgkmcnt(3)
	;;#ASMSTART
	v_dot2_f32_f16 v24, v88, v112, v24
	;;#ASMEND
	;;#ASMSTART
	v_dot2_f32_f16 v24, v89, v113, v24
	;;#ASMEND
	;;#ASMSTART
	v_dot2_f32_f16 v24, v90, v114, v24
	;;#ASMEND
	;;#ASMSTART
	v_dot2_f32_f16 v24, v91, v115, v24
	;;#ASMEND
	s_waitcnt lgkmcnt(2)
	;;#ASMSTART
	v_dot2_f32_f16 v82, v88, v116, v82
	;;#ASMEND
	;;#ASMSTART
	v_dot2_f32_f16 v82, v89, v117, v82
	;;#ASMEND
	;;#ASMSTART
	v_dot2_f32_f16 v82, v90, v118, v82
	;;#ASMEND
	;;#ASMSTART
	v_dot2_f32_f16 v82, v91, v119, v82
	;;#ASMEND
	s_waitcnt lgkmcnt(1)
	;;#ASMSTART
	v_dot2_f32_f16 v80, v88, v120, v80
	;;#ASMEND
	;;#ASMSTART
	v_dot2_f32_f16 v80, v89, v121, v80
	;;#ASMEND
	;;#ASMSTART
	v_dot2_f32_f16 v80, v90, v122, v80
	;;#ASMEND
	;;#ASMSTART
	v_dot2_f32_f16 v80, v91, v123, v80
	;;#ASMEND
	s_waitcnt lgkmcnt(0)
	;;#ASMSTART
	v_dot2_f32_f16 v6, v88, v124, v6
	;;#ASMEND
	;;#ASMSTART
	v_dot2_f32_f16 v6, v89, v125, v6
	;;#ASMEND
	;;#ASMSTART
	v_dot2_f32_f16 v6, v90, v126, v6
	;;#ASMEND
	;;#ASMSTART
	v_dot2_f32_f16 v6, v91, v127, v6
	;;#ASMEND
	;;#ASMSTART
	v_dot2_f32_f16 v5, v92, v96, v5
	;;#ASMEND
	;;#ASMSTART
	v_dot2_f32_f16 v5, v93, v97, v5
	;;#ASMEND
	;; [unrolled: 3-line block ×32, first 2 shown]
	s_barrier
	global_load_dwordx4 v[88:91], v[2:3], off offset:64
	s_waitcnt vmcnt(0)
	ds_write_b128 v45, v[88:91]
	s_waitcnt lgkmcnt(0)
	s_barrier
	ds_read_b128 v[88:91], v48 offset:24576
	ds_read_b128 v[92:95], v48 offset:27136
	;; [unrolled: 1-line block ×10, first 2 shown]
	s_waitcnt lgkmcnt(7)
	;;#ASMSTART
	v_dot2_f32_f16 v4, v88, v96, v4
	;;#ASMEND
	;;#ASMSTART
	v_dot2_f32_f16 v4, v89, v97, v4
	;;#ASMEND
	;;#ASMSTART
	v_dot2_f32_f16 v4, v90, v98, v4
	;;#ASMEND
	;;#ASMSTART
	v_dot2_f32_f16 v4, v91, v99, v4
	;;#ASMEND
	s_waitcnt lgkmcnt(6)
	;;#ASMSTART
	v_dot2_f32_f16 v84, v88, v100, v84
	;;#ASMEND
	;;#ASMSTART
	v_dot2_f32_f16 v84, v89, v101, v84
	;;#ASMEND
	;;#ASMSTART
	v_dot2_f32_f16 v84, v90, v102, v84
	;;#ASMEND
	;;#ASMSTART
	v_dot2_f32_f16 v84, v91, v103, v84
	;;#ASMEND
	;; [unrolled: 13-line block ×8, first 2 shown]
	;;#ASMSTART
	v_dot2_f32_f16 v5, v92, v96, v5
	;;#ASMEND
	;;#ASMSTART
	v_dot2_f32_f16 v5, v93, v97, v5
	;;#ASMEND
	;; [unrolled: 3-line block ×32, first 2 shown]
	ds_read_b128 v[88:91], v48 offset:24592
	ds_read_b128 v[92:95], v48 offset:27152
	;; [unrolled: 1-line block ×10, first 2 shown]
	s_waitcnt lgkmcnt(7)
	;;#ASMSTART
	v_dot2_f32_f16 v4, v88, v96, v4
	;;#ASMEND
	;;#ASMSTART
	v_dot2_f32_f16 v4, v89, v97, v4
	;;#ASMEND
	;;#ASMSTART
	v_dot2_f32_f16 v4, v90, v98, v4
	;;#ASMEND
	;;#ASMSTART
	v_dot2_f32_f16 v4, v91, v99, v4
	;;#ASMEND
	s_waitcnt lgkmcnt(6)
	;;#ASMSTART
	v_dot2_f32_f16 v84, v88, v100, v84
	;;#ASMEND
	;;#ASMSTART
	v_dot2_f32_f16 v84, v89, v101, v84
	;;#ASMEND
	;;#ASMSTART
	v_dot2_f32_f16 v84, v90, v102, v84
	;;#ASMEND
	;;#ASMSTART
	v_dot2_f32_f16 v84, v91, v103, v84
	;;#ASMEND
	;; [unrolled: 13-line block ×8, first 2 shown]
	;;#ASMSTART
	v_dot2_f32_f16 v5, v92, v96, v5
	;;#ASMEND
	;;#ASMSTART
	v_dot2_f32_f16 v5, v93, v97, v5
	;;#ASMEND
	;;#ASMSTART
	v_dot2_f32_f16 v5, v94, v98, v5
	;;#ASMEND
	;;#ASMSTART
	v_dot2_f32_f16 v5, v95, v99, v5
	;;#ASMEND
	;;#ASMSTART
	v_dot2_f32_f16 v86, v92, v100, v86
	;;#ASMEND
	;;#ASMSTART
	v_dot2_f32_f16 v86, v93, v101, v86
	;;#ASMEND
	;;#ASMSTART
	v_dot2_f32_f16 v86, v94, v102, v86
	;;#ASMEND
	;;#ASMSTART
	v_dot2_f32_f16 v86, v95, v103, v86
	;;#ASMEND
	;;#ASMSTART
	v_dot2_f32_f16 v23, v92, v104, v23
	;;#ASMEND
	;;#ASMSTART
	v_dot2_f32_f16 v23, v93, v105, v23
	;;#ASMEND
	;;#ASMSTART
	v_dot2_f32_f16 v23, v94, v106, v23
	;;#ASMEND
	;;#ASMSTART
	v_dot2_f32_f16 v23, v95, v107, v23
	;;#ASMEND
	;;#ASMSTART
	v_dot2_f32_f16 v27, v92, v108, v27
	;;#ASMEND
	;;#ASMSTART
	v_dot2_f32_f16 v27, v93, v109, v27
	;;#ASMEND
	;;#ASMSTART
	v_dot2_f32_f16 v27, v94, v110, v27
	;;#ASMEND
	;;#ASMSTART
	v_dot2_f32_f16 v27, v95, v111, v27
	;;#ASMEND
	;;#ASMSTART
	v_dot2_f32_f16 v25, v92, v112, v25
	;;#ASMEND
	;;#ASMSTART
	v_dot2_f32_f16 v25, v93, v113, v25
	;;#ASMEND
	;;#ASMSTART
	v_dot2_f32_f16 v25, v94, v114, v25
	;;#ASMEND
	;;#ASMSTART
	v_dot2_f32_f16 v25, v95, v115, v25
	;;#ASMEND
	;;#ASMSTART
	v_dot2_f32_f16 v83, v92, v116, v83
	;;#ASMEND
	;;#ASMSTART
	v_dot2_f32_f16 v83, v93, v117, v83
	;;#ASMEND
	;;#ASMSTART
	v_dot2_f32_f16 v83, v94, v118, v83
	;;#ASMEND
	;;#ASMSTART
	v_dot2_f32_f16 v83, v95, v119, v83
	;;#ASMEND
	;;#ASMSTART
	v_dot2_f32_f16 v81, v92, v120, v81
	;;#ASMEND
	;;#ASMSTART
	v_dot2_f32_f16 v81, v93, v121, v81
	;;#ASMEND
	;;#ASMSTART
	v_dot2_f32_f16 v81, v94, v122, v81
	;;#ASMEND
	;;#ASMSTART
	v_dot2_f32_f16 v81, v95, v123, v81
	;;#ASMEND
	;;#ASMSTART
	v_dot2_f32_f16 v7, v92, v124, v7
	;;#ASMEND
	;;#ASMSTART
	v_dot2_f32_f16 v7, v93, v125, v7
	;;#ASMEND
	;;#ASMSTART
	v_dot2_f32_f16 v7, v94, v126, v7
	;;#ASMEND
	;;#ASMSTART
	v_dot2_f32_f16 v7, v95, v127, v7
	;;#ASMEND
	ds_read_b128 v[88:91], v48 offset:24608
	ds_read_b128 v[92:95], v48 offset:27168
	;; [unrolled: 1-line block ×10, first 2 shown]
	s_waitcnt lgkmcnt(7)
	;;#ASMSTART
	v_dot2_f32_f16 v4, v88, v96, v4
	;;#ASMEND
	;;#ASMSTART
	v_dot2_f32_f16 v4, v89, v97, v4
	;;#ASMEND
	;;#ASMSTART
	v_dot2_f32_f16 v4, v90, v98, v4
	;;#ASMEND
	;;#ASMSTART
	v_dot2_f32_f16 v4, v91, v99, v4
	;;#ASMEND
	s_waitcnt lgkmcnt(6)
	;;#ASMSTART
	v_dot2_f32_f16 v84, v88, v100, v84
	;;#ASMEND
	;;#ASMSTART
	v_dot2_f32_f16 v84, v89, v101, v84
	;;#ASMEND
	;;#ASMSTART
	v_dot2_f32_f16 v84, v90, v102, v84
	;;#ASMEND
	;;#ASMSTART
	v_dot2_f32_f16 v84, v91, v103, v84
	;;#ASMEND
	;; [unrolled: 13-line block ×8, first 2 shown]
	;;#ASMSTART
	v_dot2_f32_f16 v5, v92, v96, v5
	;;#ASMEND
	;;#ASMSTART
	v_dot2_f32_f16 v5, v93, v97, v5
	;;#ASMEND
	;;#ASMSTART
	v_dot2_f32_f16 v5, v94, v98, v5
	;;#ASMEND
	;;#ASMSTART
	v_dot2_f32_f16 v5, v95, v99, v5
	;;#ASMEND
	;;#ASMSTART
	v_dot2_f32_f16 v86, v92, v100, v86
	;;#ASMEND
	;;#ASMSTART
	v_dot2_f32_f16 v86, v93, v101, v86
	;;#ASMEND
	;;#ASMSTART
	v_dot2_f32_f16 v86, v94, v102, v86
	;;#ASMEND
	;;#ASMSTART
	v_dot2_f32_f16 v86, v95, v103, v86
	;;#ASMEND
	;;#ASMSTART
	v_dot2_f32_f16 v23, v92, v104, v23
	;;#ASMEND
	;;#ASMSTART
	v_dot2_f32_f16 v23, v93, v105, v23
	;;#ASMEND
	;;#ASMSTART
	v_dot2_f32_f16 v23, v94, v106, v23
	;;#ASMEND
	;;#ASMSTART
	v_dot2_f32_f16 v23, v95, v107, v23
	;;#ASMEND
	;;#ASMSTART
	v_dot2_f32_f16 v27, v92, v108, v27
	;;#ASMEND
	;;#ASMSTART
	v_dot2_f32_f16 v27, v93, v109, v27
	;;#ASMEND
	;;#ASMSTART
	v_dot2_f32_f16 v27, v94, v110, v27
	;;#ASMEND
	;;#ASMSTART
	v_dot2_f32_f16 v27, v95, v111, v27
	;;#ASMEND
	;;#ASMSTART
	v_dot2_f32_f16 v25, v92, v112, v25
	;;#ASMEND
	;;#ASMSTART
	v_dot2_f32_f16 v25, v93, v113, v25
	;;#ASMEND
	;;#ASMSTART
	v_dot2_f32_f16 v25, v94, v114, v25
	;;#ASMEND
	;;#ASMSTART
	v_dot2_f32_f16 v25, v95, v115, v25
	;;#ASMEND
	;;#ASMSTART
	v_dot2_f32_f16 v83, v92, v116, v83
	;;#ASMEND
	;;#ASMSTART
	v_dot2_f32_f16 v83, v93, v117, v83
	;;#ASMEND
	;;#ASMSTART
	v_dot2_f32_f16 v83, v94, v118, v83
	;;#ASMEND
	;;#ASMSTART
	v_dot2_f32_f16 v83, v95, v119, v83
	;;#ASMEND
	;;#ASMSTART
	v_dot2_f32_f16 v81, v92, v120, v81
	;;#ASMEND
	;;#ASMSTART
	v_dot2_f32_f16 v81, v93, v121, v81
	;;#ASMEND
	;;#ASMSTART
	v_dot2_f32_f16 v81, v94, v122, v81
	;;#ASMEND
	;;#ASMSTART
	v_dot2_f32_f16 v81, v95, v123, v81
	;;#ASMEND
	;;#ASMSTART
	v_dot2_f32_f16 v7, v92, v124, v7
	;;#ASMEND
	;;#ASMSTART
	v_dot2_f32_f16 v7, v93, v125, v7
	;;#ASMEND
	;;#ASMSTART
	v_dot2_f32_f16 v7, v94, v126, v7
	;;#ASMEND
	;;#ASMSTART
	v_dot2_f32_f16 v7, v95, v127, v7
	;;#ASMEND
	ds_read_b128 v[88:91], v48 offset:24624
	ds_read_b128 v[92:95], v48 offset:27184
	;; [unrolled: 1-line block ×10, first 2 shown]
	s_waitcnt lgkmcnt(7)
	;;#ASMSTART
	v_dot2_f32_f16 v4, v88, v96, v4
	;;#ASMEND
	;;#ASMSTART
	v_dot2_f32_f16 v4, v89, v97, v4
	;;#ASMEND
	;;#ASMSTART
	v_dot2_f32_f16 v4, v90, v98, v4
	;;#ASMEND
	;;#ASMSTART
	v_dot2_f32_f16 v4, v91, v99, v4
	;;#ASMEND
	s_waitcnt lgkmcnt(6)
	;;#ASMSTART
	v_dot2_f32_f16 v84, v88, v100, v84
	;;#ASMEND
	;;#ASMSTART
	v_dot2_f32_f16 v84, v89, v101, v84
	;;#ASMEND
	;;#ASMSTART
	v_dot2_f32_f16 v84, v90, v102, v84
	;;#ASMEND
	;;#ASMSTART
	v_dot2_f32_f16 v84, v91, v103, v84
	;;#ASMEND
	;; [unrolled: 13-line block ×8, first 2 shown]
	;;#ASMSTART
	v_dot2_f32_f16 v5, v92, v96, v5
	;;#ASMEND
	;;#ASMSTART
	v_dot2_f32_f16 v5, v93, v97, v5
	;;#ASMEND
	;; [unrolled: 3-line block ×32, first 2 shown]
	s_barrier
	global_load_dwordx4 v[88:91], v[2:3], off offset:128
	s_waitcnt vmcnt(0)
	ds_write_b128 v45, v[88:91]
	s_waitcnt lgkmcnt(0)
	s_barrier
	ds_read_b128 v[88:91], v48 offset:24576
	ds_read_b128 v[92:95], v48 offset:27136
	;; [unrolled: 1-line block ×10, first 2 shown]
	s_waitcnt lgkmcnt(7)
	;;#ASMSTART
	v_dot2_f32_f16 v4, v88, v96, v4
	;;#ASMEND
	;;#ASMSTART
	v_dot2_f32_f16 v4, v89, v97, v4
	;;#ASMEND
	;;#ASMSTART
	v_dot2_f32_f16 v4, v90, v98, v4
	;;#ASMEND
	;;#ASMSTART
	v_dot2_f32_f16 v4, v91, v99, v4
	;;#ASMEND
	s_waitcnt lgkmcnt(6)
	;;#ASMSTART
	v_dot2_f32_f16 v84, v88, v100, v84
	;;#ASMEND
	;;#ASMSTART
	v_dot2_f32_f16 v84, v89, v101, v84
	;;#ASMEND
	;;#ASMSTART
	v_dot2_f32_f16 v84, v90, v102, v84
	;;#ASMEND
	;;#ASMSTART
	v_dot2_f32_f16 v84, v91, v103, v84
	;;#ASMEND
	;; [unrolled: 13-line block ×8, first 2 shown]
	;;#ASMSTART
	v_dot2_f32_f16 v5, v92, v96, v5
	;;#ASMEND
	;;#ASMSTART
	v_dot2_f32_f16 v5, v93, v97, v5
	;;#ASMEND
	;; [unrolled: 3-line block ×32, first 2 shown]
	ds_read_b128 v[88:91], v48 offset:24592
	ds_read_b128 v[92:95], v48 offset:27152
	;; [unrolled: 1-line block ×10, first 2 shown]
	s_waitcnt lgkmcnt(7)
	;;#ASMSTART
	v_dot2_f32_f16 v4, v88, v96, v4
	;;#ASMEND
	;;#ASMSTART
	v_dot2_f32_f16 v4, v89, v97, v4
	;;#ASMEND
	;;#ASMSTART
	v_dot2_f32_f16 v4, v90, v98, v4
	;;#ASMEND
	;;#ASMSTART
	v_dot2_f32_f16 v4, v91, v99, v4
	;;#ASMEND
	s_waitcnt lgkmcnt(6)
	;;#ASMSTART
	v_dot2_f32_f16 v84, v88, v100, v84
	;;#ASMEND
	;;#ASMSTART
	v_dot2_f32_f16 v84, v89, v101, v84
	;;#ASMEND
	;;#ASMSTART
	v_dot2_f32_f16 v84, v90, v102, v84
	;;#ASMEND
	;;#ASMSTART
	v_dot2_f32_f16 v84, v91, v103, v84
	;;#ASMEND
	;; [unrolled: 13-line block ×8, first 2 shown]
	;;#ASMSTART
	v_dot2_f32_f16 v5, v92, v96, v5
	;;#ASMEND
	;;#ASMSTART
	v_dot2_f32_f16 v5, v93, v97, v5
	;;#ASMEND
	;; [unrolled: 3-line block ×32, first 2 shown]
	ds_read_b128 v[88:91], v48 offset:24608
	ds_read_b128 v[92:95], v48 offset:27168
	;; [unrolled: 1-line block ×10, first 2 shown]
	s_waitcnt lgkmcnt(7)
	;;#ASMSTART
	v_dot2_f32_f16 v4, v88, v96, v4
	;;#ASMEND
	;;#ASMSTART
	v_dot2_f32_f16 v4, v89, v97, v4
	;;#ASMEND
	;;#ASMSTART
	v_dot2_f32_f16 v4, v90, v98, v4
	;;#ASMEND
	;;#ASMSTART
	v_dot2_f32_f16 v4, v91, v99, v4
	;;#ASMEND
	s_waitcnt lgkmcnt(6)
	;;#ASMSTART
	v_dot2_f32_f16 v84, v88, v100, v84
	;;#ASMEND
	;;#ASMSTART
	v_dot2_f32_f16 v84, v89, v101, v84
	;;#ASMEND
	;;#ASMSTART
	v_dot2_f32_f16 v84, v90, v102, v84
	;;#ASMEND
	;;#ASMSTART
	v_dot2_f32_f16 v84, v91, v103, v84
	;;#ASMEND
	;; [unrolled: 13-line block ×8, first 2 shown]
	;;#ASMSTART
	v_dot2_f32_f16 v5, v92, v96, v5
	;;#ASMEND
	;;#ASMSTART
	v_dot2_f32_f16 v5, v93, v97, v5
	;;#ASMEND
	;; [unrolled: 3-line block ×32, first 2 shown]
	ds_read_b128 v[88:91], v48 offset:24624
	ds_read_b128 v[92:95], v48 offset:27184
	ds_read_b128 v[96:99], v49 offset:176
	ds_read_b128 v[100:103], v49 offset:432
	ds_read_b128 v[104:107], v49 offset:688
	ds_read_b128 v[108:111], v49 offset:944
	ds_read_b128 v[112:115], v49 offset:1200
	ds_read_b128 v[116:119], v49 offset:1456
	ds_read_b128 v[120:123], v49 offset:1712
	ds_read_b128 v[124:127], v49 offset:1968
	s_waitcnt lgkmcnt(7)
	;;#ASMSTART
	v_dot2_f32_f16 v4, v88, v96, v4
	;;#ASMEND
	;;#ASMSTART
	v_dot2_f32_f16 v4, v89, v97, v4
	;;#ASMEND
	;;#ASMSTART
	v_dot2_f32_f16 v4, v90, v98, v4
	;;#ASMEND
	;;#ASMSTART
	v_dot2_f32_f16 v4, v91, v99, v4
	;;#ASMEND
	s_waitcnt lgkmcnt(6)
	;;#ASMSTART
	v_dot2_f32_f16 v84, v88, v100, v84
	;;#ASMEND
	;;#ASMSTART
	v_dot2_f32_f16 v84, v89, v101, v84
	;;#ASMEND
	;;#ASMSTART
	v_dot2_f32_f16 v84, v90, v102, v84
	;;#ASMEND
	;;#ASMSTART
	v_dot2_f32_f16 v84, v91, v103, v84
	;;#ASMEND
	;; [unrolled: 13-line block ×8, first 2 shown]
	;;#ASMSTART
	v_dot2_f32_f16 v5, v92, v96, v5
	;;#ASMEND
	;;#ASMSTART
	v_dot2_f32_f16 v5, v93, v97, v5
	;;#ASMEND
	;; [unrolled: 3-line block ×32, first 2 shown]
	s_barrier
	global_load_dwordx4 v[88:91], v[2:3], off offset:192
	s_waitcnt vmcnt(0)
	ds_write_b128 v45, v[88:91]
	s_waitcnt lgkmcnt(0)
	s_barrier
	ds_read_b128 v[88:91], v48 offset:24576
	ds_read_b128 v[92:95], v48 offset:27136
	ds_read_b128 v[96:99], v49 offset:192
	ds_read_b128 v[100:103], v49 offset:448
	ds_read_b128 v[104:107], v49 offset:704
	ds_read_b128 v[108:111], v49 offset:960
	ds_read_b128 v[112:115], v49 offset:1216
	ds_read_b128 v[116:119], v49 offset:1472
	ds_read_b128 v[120:123], v49 offset:1728
	ds_read_b128 v[124:127], v49 offset:1984
	s_waitcnt lgkmcnt(7)
	;;#ASMSTART
	v_dot2_f32_f16 v4, v88, v96, v4
	;;#ASMEND
	;;#ASMSTART
	v_dot2_f32_f16 v4, v89, v97, v4
	;;#ASMEND
	;;#ASMSTART
	v_dot2_f32_f16 v4, v90, v98, v4
	;;#ASMEND
	;;#ASMSTART
	v_dot2_f32_f16 v4, v91, v99, v4
	;;#ASMEND
	s_waitcnt lgkmcnt(6)
	;;#ASMSTART
	v_dot2_f32_f16 v84, v88, v100, v84
	;;#ASMEND
	;;#ASMSTART
	v_dot2_f32_f16 v84, v89, v101, v84
	;;#ASMEND
	;;#ASMSTART
	v_dot2_f32_f16 v84, v90, v102, v84
	;;#ASMEND
	;;#ASMSTART
	v_dot2_f32_f16 v84, v91, v103, v84
	;;#ASMEND
	;; [unrolled: 13-line block ×8, first 2 shown]
	;;#ASMSTART
	v_dot2_f32_f16 v5, v92, v96, v5
	;;#ASMEND
	;;#ASMSTART
	v_dot2_f32_f16 v5, v93, v97, v5
	;;#ASMEND
	;; [unrolled: 3-line block ×32, first 2 shown]
	ds_read_b128 v[88:91], v48 offset:24592
	ds_read_b128 v[92:95], v48 offset:27152
	;; [unrolled: 1-line block ×10, first 2 shown]
	s_waitcnt lgkmcnt(7)
	;;#ASMSTART
	v_dot2_f32_f16 v4, v88, v96, v4
	;;#ASMEND
	;;#ASMSTART
	v_dot2_f32_f16 v4, v89, v97, v4
	;;#ASMEND
	;;#ASMSTART
	v_dot2_f32_f16 v4, v90, v98, v4
	;;#ASMEND
	;;#ASMSTART
	v_dot2_f32_f16 v4, v91, v99, v4
	;;#ASMEND
	s_waitcnt lgkmcnt(6)
	;;#ASMSTART
	v_dot2_f32_f16 v84, v88, v100, v84
	;;#ASMEND
	;;#ASMSTART
	v_dot2_f32_f16 v84, v89, v101, v84
	;;#ASMEND
	;;#ASMSTART
	v_dot2_f32_f16 v84, v90, v102, v84
	;;#ASMEND
	;;#ASMSTART
	v_dot2_f32_f16 v84, v91, v103, v84
	;;#ASMEND
	s_waitcnt lgkmcnt(5)
	;;#ASMSTART
	v_dot2_f32_f16 v22, v88, v104, v22
	;;#ASMEND
	;;#ASMSTART
	v_dot2_f32_f16 v22, v89, v105, v22
	;;#ASMEND
	;;#ASMSTART
	v_dot2_f32_f16 v22, v90, v106, v22
	;;#ASMEND
	;;#ASMSTART
	v_dot2_f32_f16 v22, v91, v107, v22
	;;#ASMEND
	s_waitcnt lgkmcnt(4)
	;;#ASMSTART
	v_dot2_f32_f16 v26, v88, v108, v26
	;;#ASMEND
	;;#ASMSTART
	v_dot2_f32_f16 v26, v89, v109, v26
	;;#ASMEND
	;;#ASMSTART
	v_dot2_f32_f16 v26, v90, v110, v26
	;;#ASMEND
	;;#ASMSTART
	v_dot2_f32_f16 v26, v91, v111, v26
	;;#ASMEND
	s_waitcnt lgkmcnt(3)
	;;#ASMSTART
	v_dot2_f32_f16 v24, v88, v112, v24
	;;#ASMEND
	;;#ASMSTART
	v_dot2_f32_f16 v24, v89, v113, v24
	;;#ASMEND
	;;#ASMSTART
	v_dot2_f32_f16 v24, v90, v114, v24
	;;#ASMEND
	;;#ASMSTART
	v_dot2_f32_f16 v24, v91, v115, v24
	;;#ASMEND
	s_waitcnt lgkmcnt(2)
	;;#ASMSTART
	v_dot2_f32_f16 v82, v88, v116, v82
	;;#ASMEND
	;;#ASMSTART
	v_dot2_f32_f16 v82, v89, v117, v82
	;;#ASMEND
	;;#ASMSTART
	v_dot2_f32_f16 v82, v90, v118, v82
	;;#ASMEND
	;;#ASMSTART
	v_dot2_f32_f16 v82, v91, v119, v82
	;;#ASMEND
	s_waitcnt lgkmcnt(1)
	;;#ASMSTART
	v_dot2_f32_f16 v80, v88, v120, v80
	;;#ASMEND
	;;#ASMSTART
	v_dot2_f32_f16 v80, v89, v121, v80
	;;#ASMEND
	;;#ASMSTART
	v_dot2_f32_f16 v80, v90, v122, v80
	;;#ASMEND
	;;#ASMSTART
	v_dot2_f32_f16 v80, v91, v123, v80
	;;#ASMEND
	s_waitcnt lgkmcnt(0)
	;;#ASMSTART
	v_dot2_f32_f16 v6, v88, v124, v6
	;;#ASMEND
	;;#ASMSTART
	v_dot2_f32_f16 v6, v89, v125, v6
	;;#ASMEND
	;;#ASMSTART
	v_dot2_f32_f16 v6, v90, v126, v6
	;;#ASMEND
	;;#ASMSTART
	v_dot2_f32_f16 v6, v91, v127, v6
	;;#ASMEND
	;;#ASMSTART
	v_dot2_f32_f16 v5, v92, v96, v5
	;;#ASMEND
	;;#ASMSTART
	v_dot2_f32_f16 v5, v93, v97, v5
	;;#ASMEND
	;; [unrolled: 3-line block ×32, first 2 shown]
	ds_read_b128 v[88:91], v48 offset:24608
	ds_read_b128 v[92:95], v48 offset:27168
	;; [unrolled: 1-line block ×10, first 2 shown]
	s_waitcnt lgkmcnt(7)
	;;#ASMSTART
	v_dot2_f32_f16 v4, v88, v96, v4
	;;#ASMEND
	;;#ASMSTART
	v_dot2_f32_f16 v4, v89, v97, v4
	;;#ASMEND
	;;#ASMSTART
	v_dot2_f32_f16 v4, v90, v98, v4
	;;#ASMEND
	;;#ASMSTART
	v_dot2_f32_f16 v4, v91, v99, v4
	;;#ASMEND
	s_waitcnt lgkmcnt(6)
	;;#ASMSTART
	v_dot2_f32_f16 v84, v88, v100, v84
	;;#ASMEND
	;;#ASMSTART
	v_dot2_f32_f16 v84, v89, v101, v84
	;;#ASMEND
	;;#ASMSTART
	v_dot2_f32_f16 v84, v90, v102, v84
	;;#ASMEND
	;;#ASMSTART
	v_dot2_f32_f16 v84, v91, v103, v84
	;;#ASMEND
	;; [unrolled: 13-line block ×8, first 2 shown]
	;;#ASMSTART
	v_dot2_f32_f16 v5, v92, v96, v5
	;;#ASMEND
	;;#ASMSTART
	v_dot2_f32_f16 v5, v93, v97, v5
	;;#ASMEND
	;;#ASMSTART
	v_dot2_f32_f16 v5, v94, v98, v5
	;;#ASMEND
	;;#ASMSTART
	v_dot2_f32_f16 v5, v95, v99, v5
	;;#ASMEND
	;;#ASMSTART
	v_dot2_f32_f16 v86, v92, v100, v86
	;;#ASMEND
	;;#ASMSTART
	v_dot2_f32_f16 v86, v93, v101, v86
	;;#ASMEND
	;;#ASMSTART
	v_dot2_f32_f16 v86, v94, v102, v86
	;;#ASMEND
	;;#ASMSTART
	v_dot2_f32_f16 v86, v95, v103, v86
	;;#ASMEND
	;;#ASMSTART
	v_dot2_f32_f16 v23, v92, v104, v23
	;;#ASMEND
	;;#ASMSTART
	v_dot2_f32_f16 v23, v93, v105, v23
	;;#ASMEND
	;;#ASMSTART
	v_dot2_f32_f16 v23, v94, v106, v23
	;;#ASMEND
	;;#ASMSTART
	v_dot2_f32_f16 v23, v95, v107, v23
	;;#ASMEND
	;;#ASMSTART
	v_dot2_f32_f16 v27, v92, v108, v27
	;;#ASMEND
	;;#ASMSTART
	v_dot2_f32_f16 v27, v93, v109, v27
	;;#ASMEND
	;;#ASMSTART
	v_dot2_f32_f16 v27, v94, v110, v27
	;;#ASMEND
	;;#ASMSTART
	v_dot2_f32_f16 v27, v95, v111, v27
	;;#ASMEND
	;;#ASMSTART
	v_dot2_f32_f16 v25, v92, v112, v25
	;;#ASMEND
	;;#ASMSTART
	v_dot2_f32_f16 v25, v93, v113, v25
	;;#ASMEND
	;;#ASMSTART
	v_dot2_f32_f16 v25, v94, v114, v25
	;;#ASMEND
	;;#ASMSTART
	v_dot2_f32_f16 v25, v95, v115, v25
	;;#ASMEND
	;;#ASMSTART
	v_dot2_f32_f16 v83, v92, v116, v83
	;;#ASMEND
	;;#ASMSTART
	v_dot2_f32_f16 v83, v93, v117, v83
	;;#ASMEND
	;;#ASMSTART
	v_dot2_f32_f16 v83, v94, v118, v83
	;;#ASMEND
	;;#ASMSTART
	v_dot2_f32_f16 v83, v95, v119, v83
	;;#ASMEND
	;;#ASMSTART
	v_dot2_f32_f16 v81, v92, v120, v81
	;;#ASMEND
	;;#ASMSTART
	v_dot2_f32_f16 v81, v93, v121, v81
	;;#ASMEND
	;;#ASMSTART
	v_dot2_f32_f16 v81, v94, v122, v81
	;;#ASMEND
	;;#ASMSTART
	v_dot2_f32_f16 v81, v95, v123, v81
	;;#ASMEND
	;;#ASMSTART
	v_dot2_f32_f16 v7, v92, v124, v7
	;;#ASMEND
	;;#ASMSTART
	v_dot2_f32_f16 v7, v93, v125, v7
	;;#ASMEND
	;;#ASMSTART
	v_dot2_f32_f16 v7, v94, v126, v7
	;;#ASMEND
	;;#ASMSTART
	v_dot2_f32_f16 v7, v95, v127, v7
	;;#ASMEND
	ds_read_b128 v[88:91], v48 offset:24624
	ds_read_b128 v[92:95], v48 offset:27184
	ds_read_b128 v[96:99], v49 offset:240
	ds_read_b128 v[100:103], v49 offset:496
	ds_read_b128 v[104:107], v49 offset:752
	ds_read_b128 v[108:111], v49 offset:1008
	ds_read_b128 v[112:115], v49 offset:1264
	ds_read_b128 v[116:119], v49 offset:1520
	ds_read_b128 v[120:123], v49 offset:1776
	ds_read_b128 v[124:127], v49 offset:2032
	s_waitcnt lgkmcnt(7)
	;;#ASMSTART
	v_dot2_f32_f16 v4, v88, v96, v4
	;;#ASMEND
	;;#ASMSTART
	v_dot2_f32_f16 v4, v89, v97, v4
	;;#ASMEND
	;;#ASMSTART
	v_dot2_f32_f16 v4, v90, v98, v4
	;;#ASMEND
	;;#ASMSTART
	v_dot2_f32_f16 v4, v91, v99, v4
	;;#ASMEND
	s_waitcnt lgkmcnt(6)
	;;#ASMSTART
	v_dot2_f32_f16 v84, v88, v100, v84
	;;#ASMEND
	;;#ASMSTART
	v_dot2_f32_f16 v84, v89, v101, v84
	;;#ASMEND
	;;#ASMSTART
	v_dot2_f32_f16 v84, v90, v102, v84
	;;#ASMEND
	;;#ASMSTART
	v_dot2_f32_f16 v84, v91, v103, v84
	;;#ASMEND
	s_waitcnt lgkmcnt(5)
	;;#ASMSTART
	v_dot2_f32_f16 v22, v88, v104, v22
	;;#ASMEND
	;;#ASMSTART
	v_dot2_f32_f16 v22, v89, v105, v22
	;;#ASMEND
	;;#ASMSTART
	v_dot2_f32_f16 v22, v90, v106, v22
	;;#ASMEND
	;;#ASMSTART
	v_dot2_f32_f16 v22, v91, v107, v22
	;;#ASMEND
	s_waitcnt lgkmcnt(4)
	;;#ASMSTART
	v_dot2_f32_f16 v26, v88, v108, v26
	;;#ASMEND
	;;#ASMSTART
	v_dot2_f32_f16 v26, v89, v109, v26
	;;#ASMEND
	;;#ASMSTART
	v_dot2_f32_f16 v26, v90, v110, v26
	;;#ASMEND
	;;#ASMSTART
	v_dot2_f32_f16 v26, v91, v111, v26
	;;#ASMEND
	s_waitcnt lgkmcnt(3)
	;;#ASMSTART
	v_dot2_f32_f16 v24, v88, v112, v24
	;;#ASMEND
	;;#ASMSTART
	v_dot2_f32_f16 v24, v89, v113, v24
	;;#ASMEND
	;;#ASMSTART
	v_dot2_f32_f16 v24, v90, v114, v24
	;;#ASMEND
	;;#ASMSTART
	v_dot2_f32_f16 v24, v91, v115, v24
	;;#ASMEND
	s_waitcnt lgkmcnt(2)
	;;#ASMSTART
	v_dot2_f32_f16 v82, v88, v116, v82
	;;#ASMEND
	;;#ASMSTART
	v_dot2_f32_f16 v82, v89, v117, v82
	;;#ASMEND
	;;#ASMSTART
	v_dot2_f32_f16 v82, v90, v118, v82
	;;#ASMEND
	;;#ASMSTART
	v_dot2_f32_f16 v82, v91, v119, v82
	;;#ASMEND
	s_waitcnt lgkmcnt(1)
	;;#ASMSTART
	v_dot2_f32_f16 v80, v88, v120, v80
	;;#ASMEND
	;;#ASMSTART
	v_dot2_f32_f16 v80, v89, v121, v80
	;;#ASMEND
	;;#ASMSTART
	v_dot2_f32_f16 v80, v90, v122, v80
	;;#ASMEND
	;;#ASMSTART
	v_dot2_f32_f16 v80, v91, v123, v80
	;;#ASMEND
	s_waitcnt lgkmcnt(0)
	;;#ASMSTART
	v_dot2_f32_f16 v6, v88, v124, v6
	;;#ASMEND
	;;#ASMSTART
	v_dot2_f32_f16 v6, v89, v125, v6
	;;#ASMEND
	;;#ASMSTART
	v_dot2_f32_f16 v6, v90, v126, v6
	;;#ASMEND
	;;#ASMSTART
	v_dot2_f32_f16 v6, v91, v127, v6
	;;#ASMEND
	;;#ASMSTART
	v_dot2_f32_f16 v5, v92, v96, v5
	;;#ASMEND
	;;#ASMSTART
	v_dot2_f32_f16 v5, v93, v97, v5
	;;#ASMEND
	;; [unrolled: 3-line block ×31, first 2 shown]
	v_cmp_nlt_f32_e64 s[10:11], |v4|, s12
	;;#ASMSTART
	v_dot2_f32_f16 v7, v95, v127, v7
	;;#ASMEND
	s_and_saveexec_b64 s[26:27], s[10:11]
	s_xor_b64 s[10:11], exec, s[26:27]
	s_cbranch_execz .LBB80_11
; %bb.10:                               ;   in Loop: Header=BB80_9 Depth=1
	v_add_f32_e64 v2, |v4|, |v4|
	v_mul_f32_e32 v3, 0x3fb8aa3b, v2
	v_rndne_f32_e32 v85, v3
	v_sub_f32_e32 v87, v3, v85
	v_fma_f32 v3, v2, s13, -v3
	v_fmac_f32_e32 v3, 0x32a5705f, v2
	v_add_f32_e32 v3, v87, v3
	v_cvt_i32_f32_e32 v85, v85
	v_exp_f32_e32 v3, v3
	v_cmp_ngt_f32_e32 vcc, s19, v2
	v_ldexp_f32 v3, v3, v85
	v_cndmask_b32_e32 v3, 0, v3, vcc
	v_cmp_nlt_f32_e32 vcc, s24, v2
	v_cndmask_b32_e32 v2, v63, v3, vcc
	v_add_f32_e32 v2, 1.0, v2
	v_rcp_f32_e32 v2, v2
	v_fma_f32 v85, v2, -2.0, 1.0
.LBB80_11:                              ;   in Loop: Header=BB80_9 Depth=1
	s_andn2_saveexec_b64 s[10:11], s[10:11]
; %bb.12:                               ;   in Loop: Header=BB80_9 Depth=1
	v_mul_f32_e32 v2, v4, v4
	v_mov_b32_e32 v3, 0x3ca908c9
	v_fmac_f32_e32 v3, 0xbbbac73d, v2
	v_fma_f32 v3, v2, v3, v59
	v_fma_f32 v3, v2, v3, v60
	;; [unrolled: 1-line block ×3, first 2 shown]
	v_mul_f32_e64 v3, |v4|, v3
	v_fma_f32 v85, v2, v3, |v4|
; %bb.13:                               ;   in Loop: Header=BB80_9 Depth=1
	s_or_b64 exec, exec, s[10:11]
	v_add_u32_e32 v104, s6, v42
	v_add_u32_e32 v2, v104, v50
	v_ashrrev_i32_e32 v3, 31, v2
	v_lshlrev_b64 v[2:3], 1, v[2:3]
	v_mov_b32_e32 v87, s35
	v_add_co_u32_e32 v2, vcc, s34, v2
	v_addc_co_u32_e32 v3, vcc, v87, v3, vcc
	flat_load_ushort v95, v[2:3]
	v_cmp_nlt_f32_e64 s[10:11], |v5|, s12
                                        ; implicit-def: $vgpr87
	s_and_saveexec_b64 s[26:27], s[10:11]
	s_xor_b64 s[10:11], exec, s[26:27]
	s_cbranch_execz .LBB80_15
; %bb.14:                               ;   in Loop: Header=BB80_9 Depth=1
	v_add_f32_e64 v87, |v5|, |v5|
	v_mul_f32_e32 v88, 0x3fb8aa3b, v87
	v_rndne_f32_e32 v89, v88
	v_sub_f32_e32 v90, v88, v89
	v_fma_f32 v88, v87, s13, -v88
	v_fmac_f32_e32 v88, 0x32a5705f, v87
	v_add_f32_e32 v88, v90, v88
	v_cvt_i32_f32_e32 v89, v89
	v_exp_f32_e32 v88, v88
	v_cmp_ngt_f32_e32 vcc, s19, v87
	v_ldexp_f32 v88, v88, v89
	v_cndmask_b32_e32 v88, 0, v88, vcc
	v_cmp_nlt_f32_e32 vcc, s24, v87
	v_cndmask_b32_e32 v87, v63, v88, vcc
	v_add_f32_e32 v87, 1.0, v87
	v_rcp_f32_e32 v87, v87
	v_fma_f32 v87, v87, -2.0, 1.0
.LBB80_15:                              ;   in Loop: Header=BB80_9 Depth=1
	s_andn2_saveexec_b64 s[10:11], s[10:11]
; %bb.16:                               ;   in Loop: Header=BB80_9 Depth=1
	v_mul_f32_e32 v87, v5, v5
	v_mov_b32_e32 v88, 0x3ca908c9
	v_fmac_f32_e32 v88, 0xbbbac73d, v87
	v_fma_f32 v88, v87, v88, v59
	v_fma_f32 v88, v87, v88, v60
	;; [unrolled: 1-line block ×3, first 2 shown]
	v_mul_f32_e64 v88, |v5|, v88
	v_fma_f32 v87, v87, v88, |v5|
; %bb.17:                               ;   in Loop: Header=BB80_9 Depth=1
	s_or_b64 exec, exec, s[10:11]
	flat_load_ushort v2, v[2:3] offset:64
	v_bfi_b32 v3, s25, v85, v4
	v_and_b32_e32 v4, 0x60, v44
	v_add_u32_e32 v85, 32, v4
	v_xor_b32_e32 v88, 16, v44
	v_cmp_lt_i32_e32 vcc, v88, v85
	v_cndmask_b32_e32 v4, v44, v88, vcc
	v_lshlrev_b32_e32 v99, 2, v4
	v_bfi_b32 v4, s25, v87, v5
	s_waitcnt vmcnt(0) lgkmcnt(0)
	v_fma_mix_f32 v92, v3, s8, v95 op_sel_hi:[0,0,1]
	v_add_f32_e32 v3, 0x40051340, v92
	v_xor_b32_e32 v91, 8, v44
	v_cmp_lt_i32_e32 vcc, v91, v85
	v_cndmask_b32_e32 v87, v44, v91, vcc
	v_lshlrev_b32_e32 v100, 2, v87
	v_xor_b32_e32 v90, 4, v44
	v_cmp_lt_i32_e32 vcc, v90, v85
	v_cndmask_b32_e32 v87, v44, v90, vcc
	v_lshlrev_b32_e32 v98, 2, v87
	;; [unrolled: 4-line block ×4, first 2 shown]
	v_cmp_nlt_f32_e64 s[10:11], |v84|, s12
	v_fma_mix_f32 v4, v4, s8, v2 op_sel_hi:[0,0,1]
	v_add_f32_e32 v5, 0x40051340, v4
	v_max3_f32 v3, v20, v3, v5
	ds_bpermute_b32 v5, v99, v3
	s_waitcnt lgkmcnt(0)
	v_max_f32_e32 v5, v5, v5
	v_max_f32_e32 v3, v3, v5
	ds_bpermute_b32 v5, v100, v3
	s_waitcnt lgkmcnt(0)
	v_max_f32_e32 v5, v5, v5
	v_max_f32_e32 v3, v3, v5
	;; [unrolled: 4-line block ×4, first 2 shown]
	ds_bpermute_b32 v94, v96, v93
                                        ; implicit-def: $vgpr3
	s_and_saveexec_b64 s[26:27], s[10:11]
	s_xor_b64 s[10:11], exec, s[26:27]
	s_cbranch_execz .LBB80_19
; %bb.18:                               ;   in Loop: Header=BB80_9 Depth=1
	v_add_f32_e64 v3, |v84|, |v84|
	v_mul_f32_e32 v5, 0x3fb8aa3b, v3
	v_rndne_f32_e32 v101, v5
	v_sub_f32_e32 v102, v5, v101
	v_fma_f32 v5, v3, s13, -v5
	v_fmac_f32_e32 v5, 0x32a5705f, v3
	v_add_f32_e32 v5, v102, v5
	v_cvt_i32_f32_e32 v101, v101
	v_exp_f32_e32 v5, v5
	v_cmp_ngt_f32_e32 vcc, s19, v3
	v_ldexp_f32 v5, v5, v101
	v_cndmask_b32_e32 v5, 0, v5, vcc
	v_cmp_nlt_f32_e32 vcc, s24, v3
	v_cndmask_b32_e32 v3, v63, v5, vcc
	v_add_f32_e32 v3, 1.0, v3
	v_rcp_f32_e32 v3, v3
	v_fma_f32 v3, v3, -2.0, 1.0
.LBB80_19:                              ;   in Loop: Header=BB80_9 Depth=1
	s_andn2_saveexec_b64 s[10:11], s[10:11]
; %bb.20:                               ;   in Loop: Header=BB80_9 Depth=1
	v_mul_f32_e32 v3, v84, v84
	v_mov_b32_e32 v5, 0x3ca908c9
	v_fmac_f32_e32 v5, 0xbbbac73d, v3
	v_fma_f32 v5, v3, v5, v59
	v_fma_f32 v5, v3, v5, v60
	;; [unrolled: 1-line block ×3, first 2 shown]
	v_mul_f32_e64 v5, |v84|, v5
	v_fma_f32 v3, v3, v5, |v84|
; %bb.21:                               ;   in Loop: Header=BB80_9 Depth=1
	s_or_b64 exec, exec, s[10:11]
	v_cmp_nlt_f32_e64 s[10:11], |v86|, s12
                                        ; implicit-def: $vgpr101
	s_and_saveexec_b64 s[26:27], s[10:11]
	s_xor_b64 s[10:11], exec, s[26:27]
	s_cbranch_execz .LBB80_23
; %bb.22:                               ;   in Loop: Header=BB80_9 Depth=1
	v_add_f32_e64 v5, |v86|, |v86|
	v_mul_f32_e32 v101, 0x3fb8aa3b, v5
	v_rndne_f32_e32 v102, v101
	v_sub_f32_e32 v103, v101, v102
	v_fma_f32 v101, v5, s13, -v101
	v_fmac_f32_e32 v101, 0x32a5705f, v5
	v_add_f32_e32 v101, v103, v101
	v_cvt_i32_f32_e32 v102, v102
	v_exp_f32_e32 v101, v101
	v_cmp_ngt_f32_e32 vcc, s19, v5
	v_ldexp_f32 v101, v101, v102
	v_cndmask_b32_e32 v101, 0, v101, vcc
	v_cmp_nlt_f32_e32 vcc, s24, v5
	v_cndmask_b32_e32 v5, v63, v101, vcc
	v_add_f32_e32 v5, 1.0, v5
	v_rcp_f32_e32 v5, v5
	v_fma_f32 v101, v5, -2.0, 1.0
.LBB80_23:                              ;   in Loop: Header=BB80_9 Depth=1
	s_andn2_saveexec_b64 s[10:11], s[10:11]
; %bb.24:                               ;   in Loop: Header=BB80_9 Depth=1
	v_mul_f32_e32 v5, v86, v86
	v_mov_b32_e32 v101, 0x3ca908c9
	v_fmac_f32_e32 v101, 0xbbbac73d, v5
	v_fma_f32 v101, v5, v101, v59
	v_fma_f32 v101, v5, v101, v60
	;; [unrolled: 1-line block ×3, first 2 shown]
	v_mul_f32_e64 v101, |v86|, v101
	v_fma_f32 v101, v5, v101, |v86|
; %bb.25:                               ;   in Loop: Header=BB80_9 Depth=1
	s_or_b64 exec, exec, s[10:11]
	v_cvt_f32_f16_e32 v95, v95
	v_cvt_f32_f16_e32 v5, v2
	v_bfi_b32 v2, s25, v3, v84
	v_bfi_b32 v3, s25, v101, v86
	v_fmac_f32_e32 v95, s8, v2
	v_fmac_f32_e32 v5, s8, v3
	v_add_f32_e32 v2, 0x40051340, v95
	v_add_f32_e32 v3, 0x40051340, v5
	v_max3_f32 v2, v21, v2, v3
	ds_bpermute_b32 v3, v99, v2
	v_cmp_nlt_f32_e64 s[10:11], |v22|, s12
                                        ; implicit-def: $vgpr101
	s_waitcnt lgkmcnt(0)
	v_max_f32_e32 v3, v3, v3
	v_max_f32_e32 v2, v2, v3
	ds_bpermute_b32 v3, v100, v2
	s_waitcnt lgkmcnt(0)
	v_max_f32_e32 v3, v3, v3
	v_max_f32_e32 v2, v2, v3
	ds_bpermute_b32 v3, v98, v2
	;; [unrolled: 4-line block ×4, first 2 shown]
	s_and_saveexec_b64 s[26:27], s[10:11]
	s_xor_b64 s[10:11], exec, s[26:27]
	s_cbranch_execz .LBB80_27
; %bb.26:                               ;   in Loop: Header=BB80_9 Depth=1
	v_add_f32_e64 v2, |v22|, |v22|
	v_mul_f32_e32 v3, 0x3fb8aa3b, v2
	v_rndne_f32_e32 v101, v3
	v_sub_f32_e32 v102, v3, v101
	v_fma_f32 v3, v2, s13, -v3
	v_fmac_f32_e32 v3, 0x32a5705f, v2
	v_add_f32_e32 v3, v102, v3
	v_cvt_i32_f32_e32 v101, v101
	v_exp_f32_e32 v3, v3
	v_cmp_ngt_f32_e32 vcc, s19, v2
	v_ldexp_f32 v3, v3, v101
	v_cndmask_b32_e32 v3, 0, v3, vcc
	v_cmp_nlt_f32_e32 vcc, s24, v2
	v_cndmask_b32_e32 v2, v63, v3, vcc
	v_add_f32_e32 v2, 1.0, v2
	v_rcp_f32_e32 v2, v2
	v_fma_f32 v101, v2, -2.0, 1.0
.LBB80_27:                              ;   in Loop: Header=BB80_9 Depth=1
	s_andn2_saveexec_b64 s[10:11], s[10:11]
; %bb.28:                               ;   in Loop: Header=BB80_9 Depth=1
	v_mul_f32_e32 v2, v22, v22
	v_mov_b32_e32 v3, 0x3ca908c9
	v_fmac_f32_e32 v3, 0xbbbac73d, v2
	v_fma_f32 v3, v2, v3, v59
	v_fma_f32 v3, v2, v3, v60
	;; [unrolled: 1-line block ×3, first 2 shown]
	v_mul_f32_e64 v3, |v22|, v3
	v_fma_f32 v101, v2, v3, |v22|
; %bb.29:                               ;   in Loop: Header=BB80_9 Depth=1
	s_or_b64 exec, exec, s[10:11]
	v_add_u32_e32 v2, v104, v51
	v_ashrrev_i32_e32 v3, 31, v2
	v_lshlrev_b64 v[2:3], 1, v[2:3]
	v_mov_b32_e32 v102, s35
	v_add_co_u32_e32 v2, vcc, s34, v2
	v_addc_co_u32_e32 v3, vcc, v102, v3, vcc
	flat_load_ushort v102, v[2:3]
	v_cmp_nlt_f32_e64 s[10:11], |v23|, s12
                                        ; implicit-def: $vgpr103
	s_and_saveexec_b64 s[26:27], s[10:11]
	s_xor_b64 s[10:11], exec, s[26:27]
	s_cbranch_execz .LBB80_31
; %bb.30:                               ;   in Loop: Header=BB80_9 Depth=1
	v_add_f32_e64 v103, |v23|, |v23|
	v_mul_f32_e32 v105, 0x3fb8aa3b, v103
	v_rndne_f32_e32 v106, v105
	v_sub_f32_e32 v107, v105, v106
	v_fma_f32 v105, v103, s13, -v105
	v_fmac_f32_e32 v105, 0x32a5705f, v103
	v_add_f32_e32 v105, v107, v105
	v_cvt_i32_f32_e32 v106, v106
	v_exp_f32_e32 v105, v105
	v_cmp_ngt_f32_e32 vcc, s19, v103
	v_ldexp_f32 v105, v105, v106
	v_cndmask_b32_e32 v105, 0, v105, vcc
	v_cmp_nlt_f32_e32 vcc, s24, v103
	v_cndmask_b32_e32 v103, v63, v105, vcc
	v_add_f32_e32 v103, 1.0, v103
	v_rcp_f32_e32 v103, v103
	v_fma_f32 v103, v103, -2.0, 1.0
.LBB80_31:                              ;   in Loop: Header=BB80_9 Depth=1
	s_andn2_saveexec_b64 s[10:11], s[10:11]
; %bb.32:                               ;   in Loop: Header=BB80_9 Depth=1
	v_mul_f32_e32 v103, v23, v23
	v_mov_b32_e32 v105, 0x3ca908c9
	v_fmac_f32_e32 v105, 0xbbbac73d, v103
	v_fma_f32 v105, v103, v105, v59
	v_fma_f32 v105, v103, v105, v60
	;; [unrolled: 1-line block ×3, first 2 shown]
	v_mul_f32_e64 v105, |v23|, v105
	v_fma_f32 v103, v103, v105, |v23|
; %bb.33:                               ;   in Loop: Header=BB80_9 Depth=1
	s_or_b64 exec, exec, s[10:11]
	flat_load_ushort v2, v[2:3] offset:64
	v_bfi_b32 v3, s25, v101, v22
	v_bfi_b32 v22, s25, v103, v23
	s_waitcnt vmcnt(0) lgkmcnt(0)
	v_fma_mix_f32 v101, v3, s8, v102 op_sel_hi:[0,0,1]
	v_add_f32_e32 v3, 0x40051340, v101
	v_cmp_nlt_f32_e64 s[10:11], |v26|, s12
	v_fma_mix_f32 v22, v22, s8, v2 op_sel_hi:[0,0,1]
	v_add_f32_e32 v23, 0x40051340, v22
	v_max3_f32 v3, v18, v3, v23
	ds_bpermute_b32 v23, v99, v3
	s_waitcnt lgkmcnt(0)
	v_max_f32_e32 v23, v23, v23
	v_max_f32_e32 v3, v3, v23
	ds_bpermute_b32 v23, v100, v3
	s_waitcnt lgkmcnt(0)
	v_max_f32_e32 v23, v23, v23
	v_max_f32_e32 v3, v3, v23
	;; [unrolled: 4-line block ×4, first 2 shown]
	ds_bpermute_b32 v106, v96, v105
                                        ; implicit-def: $vgpr3
	s_and_saveexec_b64 s[26:27], s[10:11]
	s_xor_b64 s[10:11], exec, s[26:27]
	s_cbranch_execz .LBB80_35
; %bb.34:                               ;   in Loop: Header=BB80_9 Depth=1
	v_add_f32_e64 v3, |v26|, |v26|
	v_mul_f32_e32 v23, 0x3fb8aa3b, v3
	v_rndne_f32_e32 v103, v23
	v_sub_f32_e32 v107, v23, v103
	v_fma_f32 v23, v3, s13, -v23
	v_fmac_f32_e32 v23, 0x32a5705f, v3
	v_add_f32_e32 v23, v107, v23
	v_cvt_i32_f32_e32 v103, v103
	v_exp_f32_e32 v23, v23
	v_cmp_ngt_f32_e32 vcc, s19, v3
	v_ldexp_f32 v23, v23, v103
	v_cndmask_b32_e32 v23, 0, v23, vcc
	v_cmp_nlt_f32_e32 vcc, s24, v3
	v_cndmask_b32_e32 v3, v63, v23, vcc
	v_add_f32_e32 v3, 1.0, v3
	v_rcp_f32_e32 v3, v3
	v_fma_f32 v3, v3, -2.0, 1.0
.LBB80_35:                              ;   in Loop: Header=BB80_9 Depth=1
	s_andn2_saveexec_b64 s[10:11], s[10:11]
; %bb.36:                               ;   in Loop: Header=BB80_9 Depth=1
	v_mul_f32_e32 v3, v26, v26
	v_mov_b32_e32 v23, 0x3ca908c9
	v_fmac_f32_e32 v23, 0xbbbac73d, v3
	v_fma_f32 v23, v3, v23, v59
	v_fma_f32 v23, v3, v23, v60
	;; [unrolled: 1-line block ×3, first 2 shown]
	v_mul_f32_e64 v23, |v26|, v23
	v_fma_f32 v3, v3, v23, |v26|
; %bb.37:                               ;   in Loop: Header=BB80_9 Depth=1
	s_or_b64 exec, exec, s[10:11]
	v_cmp_nlt_f32_e64 s[10:11], |v27|, s12
                                        ; implicit-def: $vgpr103
	s_and_saveexec_b64 s[26:27], s[10:11]
	s_xor_b64 s[10:11], exec, s[26:27]
	s_cbranch_execz .LBB80_39
; %bb.38:                               ;   in Loop: Header=BB80_9 Depth=1
	v_add_f32_e64 v23, |v27|, |v27|
	v_mul_f32_e32 v103, 0x3fb8aa3b, v23
	v_rndne_f32_e32 v107, v103
	v_sub_f32_e32 v108, v103, v107
	v_fma_f32 v103, v23, s13, -v103
	v_fmac_f32_e32 v103, 0x32a5705f, v23
	v_add_f32_e32 v103, v108, v103
	v_cvt_i32_f32_e32 v107, v107
	v_exp_f32_e32 v103, v103
	v_cmp_ngt_f32_e32 vcc, s19, v23
	v_ldexp_f32 v103, v103, v107
	v_cndmask_b32_e32 v103, 0, v103, vcc
	v_cmp_nlt_f32_e32 vcc, s24, v23
	v_cndmask_b32_e32 v23, v63, v103, vcc
	v_add_f32_e32 v23, 1.0, v23
	v_rcp_f32_e32 v23, v23
	v_fma_f32 v103, v23, -2.0, 1.0
.LBB80_39:                              ;   in Loop: Header=BB80_9 Depth=1
	s_andn2_saveexec_b64 s[10:11], s[10:11]
; %bb.40:                               ;   in Loop: Header=BB80_9 Depth=1
	v_mul_f32_e32 v23, v27, v27
	v_mov_b32_e32 v103, 0x3ca908c9
	v_fmac_f32_e32 v103, 0xbbbac73d, v23
	v_fma_f32 v103, v23, v103, v59
	v_fma_f32 v103, v23, v103, v60
	;; [unrolled: 1-line block ×3, first 2 shown]
	v_mul_f32_e64 v103, |v27|, v103
	v_fma_f32 v103, v23, v103, |v27|
; %bb.41:                               ;   in Loop: Header=BB80_9 Depth=1
	s_or_b64 exec, exec, s[10:11]
	v_cvt_f32_f16_e32 v107, v102
	v_cvt_f32_f16_e32 v23, v2
	v_bfi_b32 v2, s25, v3, v26
	v_bfi_b32 v3, s25, v103, v27
	v_fmac_f32_e32 v107, s8, v2
	v_fmac_f32_e32 v23, s8, v3
	v_add_f32_e32 v2, 0x40051340, v107
	v_add_f32_e32 v3, 0x40051340, v23
	v_max3_f32 v2, v19, v2, v3
	ds_bpermute_b32 v3, v99, v2
	v_cmp_nlt_f32_e64 s[10:11], |v24|, s12
                                        ; implicit-def: $vgpr26
	s_waitcnt lgkmcnt(0)
	v_max_f32_e32 v3, v3, v3
	v_max_f32_e32 v2, v2, v3
	ds_bpermute_b32 v3, v100, v2
	s_waitcnt lgkmcnt(0)
	v_max_f32_e32 v3, v3, v3
	v_max_f32_e32 v2, v2, v3
	ds_bpermute_b32 v3, v98, v2
	;; [unrolled: 4-line block ×4, first 2 shown]
	s_and_saveexec_b64 s[26:27], s[10:11]
	s_xor_b64 s[10:11], exec, s[26:27]
	s_cbranch_execz .LBB80_43
; %bb.42:                               ;   in Loop: Header=BB80_9 Depth=1
	v_add_f32_e64 v2, |v24|, |v24|
	v_mul_f32_e32 v3, 0x3fb8aa3b, v2
	v_rndne_f32_e32 v26, v3
	v_sub_f32_e32 v27, v3, v26
	v_fma_f32 v3, v2, s13, -v3
	v_fmac_f32_e32 v3, 0x32a5705f, v2
	v_add_f32_e32 v3, v27, v3
	v_cvt_i32_f32_e32 v26, v26
	v_exp_f32_e32 v3, v3
	v_cmp_ngt_f32_e32 vcc, s19, v2
	v_ldexp_f32 v3, v3, v26
	v_cndmask_b32_e32 v3, 0, v3, vcc
	v_cmp_nlt_f32_e32 vcc, s24, v2
	v_cndmask_b32_e32 v2, v63, v3, vcc
	v_add_f32_e32 v2, 1.0, v2
	v_rcp_f32_e32 v2, v2
	v_fma_f32 v26, v2, -2.0, 1.0
.LBB80_43:                              ;   in Loop: Header=BB80_9 Depth=1
	s_andn2_saveexec_b64 s[10:11], s[10:11]
; %bb.44:                               ;   in Loop: Header=BB80_9 Depth=1
	v_mul_f32_e32 v2, v24, v24
	v_mov_b32_e32 v3, 0x3ca908c9
	v_fmac_f32_e32 v3, 0xbbbac73d, v2
	v_fma_f32 v3, v2, v3, v59
	v_fma_f32 v3, v2, v3, v60
	;; [unrolled: 1-line block ×3, first 2 shown]
	v_mul_f32_e64 v3, |v24|, v3
	v_fma_f32 v26, v2, v3, |v24|
; %bb.45:                               ;   in Loop: Header=BB80_9 Depth=1
	s_or_b64 exec, exec, s[10:11]
	v_add_u32_e32 v2, v104, v52
	v_ashrrev_i32_e32 v3, 31, v2
	v_lshlrev_b64 v[2:3], 1, v[2:3]
	v_mov_b32_e32 v27, s35
	v_add_co_u32_e32 v2, vcc, s34, v2
	v_addc_co_u32_e32 v3, vcc, v27, v3, vcc
	flat_load_ushort v27, v[2:3]
	v_cmp_nlt_f32_e64 s[10:11], |v25|, s12
                                        ; implicit-def: $vgpr102
	s_and_saveexec_b64 s[26:27], s[10:11]
	s_xor_b64 s[10:11], exec, s[26:27]
	s_cbranch_execz .LBB80_47
; %bb.46:                               ;   in Loop: Header=BB80_9 Depth=1
	v_add_f32_e64 v102, |v25|, |v25|
	v_mul_f32_e32 v103, 0x3fb8aa3b, v102
	v_rndne_f32_e32 v110, v103
	v_sub_f32_e32 v111, v103, v110
	v_fma_f32 v103, v102, s13, -v103
	v_fmac_f32_e32 v103, 0x32a5705f, v102
	v_add_f32_e32 v103, v111, v103
	v_cvt_i32_f32_e32 v110, v110
	v_exp_f32_e32 v103, v103
	v_cmp_ngt_f32_e32 vcc, s19, v102
	v_ldexp_f32 v103, v103, v110
	v_cndmask_b32_e32 v103, 0, v103, vcc
	v_cmp_nlt_f32_e32 vcc, s24, v102
	v_cndmask_b32_e32 v102, v63, v103, vcc
	v_add_f32_e32 v102, 1.0, v102
	v_rcp_f32_e32 v102, v102
	v_fma_f32 v102, v102, -2.0, 1.0
.LBB80_47:                              ;   in Loop: Header=BB80_9 Depth=1
	s_andn2_saveexec_b64 s[10:11], s[10:11]
; %bb.48:                               ;   in Loop: Header=BB80_9 Depth=1
	v_mul_f32_e32 v102, v25, v25
	v_mov_b32_e32 v103, 0x3ca908c9
	v_fmac_f32_e32 v103, 0xbbbac73d, v102
	v_fma_f32 v103, v102, v103, v59
	v_fma_f32 v103, v102, v103, v60
	;; [unrolled: 1-line block ×3, first 2 shown]
	v_mul_f32_e64 v103, |v25|, v103
	v_fma_f32 v102, v102, v103, |v25|
; %bb.49:                               ;   in Loop: Header=BB80_9 Depth=1
	s_or_b64 exec, exec, s[10:11]
	flat_load_ushort v2, v[2:3] offset:64
	v_bfi_b32 v3, s25, v26, v24
	v_bfi_b32 v24, s25, v102, v25
	s_waitcnt vmcnt(0) lgkmcnt(0)
	v_fma_mix_f32 v26, v3, s8, v27 op_sel_hi:[0,0,1]
	v_add_f32_e32 v3, 0x40051340, v26
	v_cmp_nlt_f32_e64 s[10:11], |v82|, s12
	v_fma_mix_f32 v24, v24, s8, v2 op_sel_hi:[0,0,1]
	v_add_f32_e32 v25, 0x40051340, v24
	v_max3_f32 v3, v16, v3, v25
	ds_bpermute_b32 v25, v99, v3
	s_waitcnt lgkmcnt(0)
	v_max_f32_e32 v25, v25, v25
	v_max_f32_e32 v3, v3, v25
	ds_bpermute_b32 v25, v100, v3
	s_waitcnt lgkmcnt(0)
	v_max_f32_e32 v25, v25, v25
	v_max_f32_e32 v3, v3, v25
	;; [unrolled: 4-line block ×4, first 2 shown]
	ds_bpermute_b32 v103, v96, v102
                                        ; implicit-def: $vgpr3
	s_and_saveexec_b64 s[26:27], s[10:11]
	s_xor_b64 s[10:11], exec, s[26:27]
	s_cbranch_execz .LBB80_51
; %bb.50:                               ;   in Loop: Header=BB80_9 Depth=1
	v_add_f32_e64 v3, |v82|, |v82|
	v_mul_f32_e32 v25, 0x3fb8aa3b, v3
	v_rndne_f32_e32 v110, v25
	v_sub_f32_e32 v111, v25, v110
	v_fma_f32 v25, v3, s13, -v25
	v_fmac_f32_e32 v25, 0x32a5705f, v3
	v_add_f32_e32 v25, v111, v25
	v_cvt_i32_f32_e32 v110, v110
	v_exp_f32_e32 v25, v25
	v_cmp_ngt_f32_e32 vcc, s19, v3
	v_ldexp_f32 v25, v25, v110
	v_cndmask_b32_e32 v25, 0, v25, vcc
	v_cmp_nlt_f32_e32 vcc, s24, v3
	v_cndmask_b32_e32 v3, v63, v25, vcc
	v_add_f32_e32 v3, 1.0, v3
	v_rcp_f32_e32 v3, v3
	v_fma_f32 v3, v3, -2.0, 1.0
.LBB80_51:                              ;   in Loop: Header=BB80_9 Depth=1
	s_andn2_saveexec_b64 s[10:11], s[10:11]
; %bb.52:                               ;   in Loop: Header=BB80_9 Depth=1
	v_mul_f32_e32 v3, v82, v82
	v_mov_b32_e32 v25, 0x3ca908c9
	v_fmac_f32_e32 v25, 0xbbbac73d, v3
	v_fma_f32 v25, v3, v25, v59
	v_fma_f32 v25, v3, v25, v60
	;; [unrolled: 1-line block ×3, first 2 shown]
	v_mul_f32_e64 v25, |v82|, v25
	v_fma_f32 v3, v3, v25, |v82|
; %bb.53:                               ;   in Loop: Header=BB80_9 Depth=1
	s_or_b64 exec, exec, s[10:11]
	v_cmp_nlt_f32_e64 s[10:11], |v83|, s12
                                        ; implicit-def: $vgpr110
	s_and_saveexec_b64 s[26:27], s[10:11]
	s_xor_b64 s[10:11], exec, s[26:27]
	s_cbranch_execz .LBB80_55
; %bb.54:                               ;   in Loop: Header=BB80_9 Depth=1
	v_add_f32_e64 v25, |v83|, |v83|
	v_mul_f32_e32 v110, 0x3fb8aa3b, v25
	v_rndne_f32_e32 v111, v110
	v_sub_f32_e32 v112, v110, v111
	v_fma_f32 v110, v25, s13, -v110
	v_fmac_f32_e32 v110, 0x32a5705f, v25
	v_add_f32_e32 v110, v112, v110
	v_cvt_i32_f32_e32 v111, v111
	v_exp_f32_e32 v110, v110
	v_cmp_ngt_f32_e32 vcc, s19, v25
	v_ldexp_f32 v110, v110, v111
	v_cndmask_b32_e32 v110, 0, v110, vcc
	v_cmp_nlt_f32_e32 vcc, s24, v25
	v_cndmask_b32_e32 v25, v63, v110, vcc
	v_add_f32_e32 v25, 1.0, v25
	v_rcp_f32_e32 v25, v25
	v_fma_f32 v110, v25, -2.0, 1.0
.LBB80_55:                              ;   in Loop: Header=BB80_9 Depth=1
	s_andn2_saveexec_b64 s[10:11], s[10:11]
; %bb.56:                               ;   in Loop: Header=BB80_9 Depth=1
	v_mul_f32_e32 v25, v83, v83
	v_mov_b32_e32 v110, 0x3ca908c9
	v_fmac_f32_e32 v110, 0xbbbac73d, v25
	v_fma_f32 v110, v25, v110, v59
	v_fma_f32 v110, v25, v110, v60
	;; [unrolled: 1-line block ×3, first 2 shown]
	v_mul_f32_e64 v110, |v83|, v110
	v_fma_f32 v110, v25, v110, |v83|
; %bb.57:                               ;   in Loop: Header=BB80_9 Depth=1
	s_or_b64 exec, exec, s[10:11]
	v_cvt_f32_f16_e32 v27, v27
	v_cvt_f32_f16_e32 v25, v2
	v_bfi_b32 v2, s25, v3, v82
	v_bfi_b32 v3, s25, v110, v83
	v_fmac_f32_e32 v27, s8, v2
	v_fmac_f32_e32 v25, s8, v3
	v_add_f32_e32 v2, 0x40051340, v27
	v_add_f32_e32 v3, 0x40051340, v25
	v_max3_f32 v2, v17, v2, v3
	ds_bpermute_b32 v3, v99, v2
	v_cmp_nlt_f32_e64 s[10:11], |v80|, s12
                                        ; implicit-def: $vgpr111
	s_waitcnt lgkmcnt(0)
	v_max_f32_e32 v3, v3, v3
	v_max_f32_e32 v2, v2, v3
	ds_bpermute_b32 v3, v100, v2
	s_waitcnt lgkmcnt(0)
	v_max_f32_e32 v3, v3, v3
	v_max_f32_e32 v2, v2, v3
	ds_bpermute_b32 v3, v98, v2
	;; [unrolled: 4-line block ×4, first 2 shown]
	s_and_saveexec_b64 s[26:27], s[10:11]
	s_xor_b64 s[10:11], exec, s[26:27]
	s_cbranch_execz .LBB80_59
; %bb.58:                               ;   in Loop: Header=BB80_9 Depth=1
	v_add_f32_e64 v2, |v80|, |v80|
	v_mul_f32_e32 v3, 0x3fb8aa3b, v2
	v_rndne_f32_e32 v110, v3
	v_sub_f32_e32 v111, v3, v110
	v_fma_f32 v3, v2, s13, -v3
	v_fmac_f32_e32 v3, 0x32a5705f, v2
	v_add_f32_e32 v3, v111, v3
	v_cvt_i32_f32_e32 v110, v110
	v_exp_f32_e32 v3, v3
	v_cmp_ngt_f32_e32 vcc, s19, v2
	v_ldexp_f32 v3, v3, v110
	v_cndmask_b32_e32 v3, 0, v3, vcc
	v_cmp_nlt_f32_e32 vcc, s24, v2
	v_cndmask_b32_e32 v2, v63, v3, vcc
	v_add_f32_e32 v2, 1.0, v2
	v_rcp_f32_e32 v2, v2
	v_fma_f32 v111, v2, -2.0, 1.0
.LBB80_59:                              ;   in Loop: Header=BB80_9 Depth=1
	s_andn2_saveexec_b64 s[10:11], s[10:11]
; %bb.60:                               ;   in Loop: Header=BB80_9 Depth=1
	v_mul_f32_e32 v2, v80, v80
	v_mov_b32_e32 v3, 0x3ca908c9
	v_fmac_f32_e32 v3, 0xbbbac73d, v2
	v_fma_f32 v3, v2, v3, v59
	v_fma_f32 v3, v2, v3, v60
	v_fma_f32 v3, v2, v3, v61
	v_mul_f32_e64 v3, |v80|, v3
	v_fma_f32 v111, v2, v3, |v80|
; %bb.61:                               ;   in Loop: Header=BB80_9 Depth=1
	s_or_b64 exec, exec, s[10:11]
	v_add_u32_e32 v2, v104, v53
	v_ashrrev_i32_e32 v3, 31, v2
	v_lshlrev_b64 v[2:3], 1, v[2:3]
	v_mov_b32_e32 v104, s35
	v_add_co_u32_e32 v2, vcc, s34, v2
	v_addc_co_u32_e32 v3, vcc, v104, v3, vcc
	flat_load_ushort v104, v[2:3]
	v_cmp_nlt_f32_e64 s[10:11], |v81|, s12
                                        ; implicit-def: $vgpr112
	s_and_saveexec_b64 s[26:27], s[10:11]
	s_xor_b64 s[10:11], exec, s[26:27]
	s_cbranch_execz .LBB80_63
; %bb.62:                               ;   in Loop: Header=BB80_9 Depth=1
	v_add_f32_e64 v110, |v81|, |v81|
	v_mul_f32_e32 v112, 0x3fb8aa3b, v110
	v_rndne_f32_e32 v113, v112
	v_sub_f32_e32 v114, v112, v113
	v_fma_f32 v112, v110, s13, -v112
	v_fmac_f32_e32 v112, 0x32a5705f, v110
	v_add_f32_e32 v112, v114, v112
	v_cvt_i32_f32_e32 v113, v113
	v_exp_f32_e32 v112, v112
	v_cmp_ngt_f32_e32 vcc, s19, v110
	v_ldexp_f32 v112, v112, v113
	v_cndmask_b32_e32 v112, 0, v112, vcc
	v_cmp_nlt_f32_e32 vcc, s24, v110
	v_cndmask_b32_e32 v110, v63, v112, vcc
	v_add_f32_e32 v110, 1.0, v110
	v_rcp_f32_e32 v110, v110
	v_fma_f32 v112, v110, -2.0, 1.0
.LBB80_63:                              ;   in Loop: Header=BB80_9 Depth=1
	s_andn2_saveexec_b64 s[10:11], s[10:11]
; %bb.64:                               ;   in Loop: Header=BB80_9 Depth=1
	v_mul_f32_e32 v110, v81, v81
	v_mov_b32_e32 v112, 0x3ca908c9
	v_fmac_f32_e32 v112, 0xbbbac73d, v110
	v_fma_f32 v112, v110, v112, v59
	v_fma_f32 v112, v110, v112, v60
	v_fma_f32 v112, v110, v112, v61
	v_mul_f32_e64 v112, |v81|, v112
	v_fma_f32 v112, v110, v112, |v81|
; %bb.65:                               ;   in Loop: Header=BB80_9 Depth=1
	s_or_b64 exec, exec, s[10:11]
	flat_load_ushort v110, v[2:3] offset:64
	v_bfi_b32 v2, s25, v111, v80
	s_waitcnt vmcnt(0) lgkmcnt(0)
	v_fma_mix_f32 v3, v2, s8, v104 op_sel_hi:[0,0,1]
	v_bfi_b32 v2, s25, v112, v81
	v_add_f32_e32 v80, 0x40051340, v3
	v_cmp_nlt_f32_e64 s[10:11], |v6|, s12
                                        ; implicit-def: $vgpr111
	v_fma_mix_f32 v2, v2, s8, v110 op_sel_hi:[0,0,1]
	v_add_f32_e32 v81, 0x40051340, v2
	v_max3_f32 v80, v0, v80, v81
	ds_bpermute_b32 v81, v99, v80
	s_waitcnt lgkmcnt(0)
	v_max_f32_e32 v81, v81, v81
	v_max_f32_e32 v80, v80, v81
	ds_bpermute_b32 v81, v100, v80
	s_waitcnt lgkmcnt(0)
	v_max_f32_e32 v81, v81, v81
	v_max_f32_e32 v80, v80, v81
	;; [unrolled: 4-line block ×4, first 2 shown]
	ds_bpermute_b32 v81, v96, v80
	s_and_saveexec_b64 s[26:27], s[10:11]
	s_xor_b64 s[10:11], exec, s[26:27]
	s_cbranch_execz .LBB80_67
; %bb.66:                               ;   in Loop: Header=BB80_9 Depth=1
	v_add_f32_e64 v111, |v6|, |v6|
	v_mul_f32_e32 v112, 0x3fb8aa3b, v111
	v_rndne_f32_e32 v113, v112
	v_sub_f32_e32 v114, v112, v113
	v_fma_f32 v112, v111, s13, -v112
	v_fmac_f32_e32 v112, 0x32a5705f, v111
	v_add_f32_e32 v112, v114, v112
	v_cvt_i32_f32_e32 v113, v113
	v_exp_f32_e32 v112, v112
	v_cmp_ngt_f32_e32 vcc, s19, v111
	v_ldexp_f32 v112, v112, v113
	v_cndmask_b32_e32 v112, 0, v112, vcc
	v_cmp_nlt_f32_e32 vcc, s24, v111
	v_cndmask_b32_e32 v111, v63, v112, vcc
	v_add_f32_e32 v111, 1.0, v111
	v_rcp_f32_e32 v111, v111
	v_fma_f32 v111, v111, -2.0, 1.0
.LBB80_67:                              ;   in Loop: Header=BB80_9 Depth=1
	s_andn2_saveexec_b64 s[10:11], s[10:11]
; %bb.68:                               ;   in Loop: Header=BB80_9 Depth=1
	v_mul_f32_e32 v111, v6, v6
	v_mov_b32_e32 v112, 0x3ca908c9
	v_fmac_f32_e32 v112, 0xbbbac73d, v111
	v_fma_f32 v112, v111, v112, v59
	v_fma_f32 v112, v111, v112, v60
	v_fma_f32 v112, v111, v112, v61
	v_mul_f32_e64 v112, |v6|, v112
	v_fma_f32 v111, v111, v112, |v6|
; %bb.69:                               ;   in Loop: Header=BB80_9 Depth=1
	s_or_b64 exec, exec, s[10:11]
	v_cmp_nlt_f32_e64 s[10:11], |v7|, s12
                                        ; implicit-def: $vgpr112
	s_and_saveexec_b64 s[26:27], s[10:11]
	s_xor_b64 s[10:11], exec, s[26:27]
	s_cbranch_execz .LBB80_71
; %bb.70:                               ;   in Loop: Header=BB80_9 Depth=1
	v_add_f32_e64 v112, |v7|, |v7|
	v_mul_f32_e32 v113, 0x3fb8aa3b, v112
	v_rndne_f32_e32 v114, v113
	v_sub_f32_e32 v115, v113, v114
	v_fma_f32 v113, v112, s13, -v113
	v_fmac_f32_e32 v113, 0x32a5705f, v112
	v_add_f32_e32 v113, v115, v113
	v_cvt_i32_f32_e32 v114, v114
	v_exp_f32_e32 v113, v113
	v_cmp_ngt_f32_e32 vcc, s19, v112
	v_ldexp_f32 v113, v113, v114
	v_cndmask_b32_e32 v113, 0, v113, vcc
	v_cmp_nlt_f32_e32 vcc, s24, v112
	v_cndmask_b32_e32 v112, v63, v113, vcc
	v_add_f32_e32 v112, 1.0, v112
	v_rcp_f32_e32 v112, v112
	v_fma_f32 v112, v112, -2.0, 1.0
.LBB80_71:                              ;   in Loop: Header=BB80_9 Depth=1
	s_andn2_saveexec_b64 s[10:11], s[10:11]
; %bb.72:                               ;   in Loop: Header=BB80_9 Depth=1
	v_mul_f32_e32 v112, v7, v7
	v_mov_b32_e32 v113, 0x3ca908c9
	v_fmac_f32_e32 v113, 0xbbbac73d, v112
	v_fma_f32 v113, v112, v113, v59
	v_fma_f32 v113, v112, v113, v60
	;; [unrolled: 1-line block ×3, first 2 shown]
	v_mul_f32_e64 v113, |v7|, v113
	v_fma_f32 v112, v112, v113, |v7|
; %bb.73:                               ;   in Loop: Header=BB80_9 Depth=1
	s_or_b64 exec, exec, s[10:11]
	v_cvt_f32_f16_e32 v114, v104
	v_cvt_f32_f16_e32 v115, v110
	v_bfi_b32 v7, s25, v112, v7
	v_bfi_b32 v6, s25, v111, v6
	v_max_f32_e32 v80, v80, v80
	v_pk_fma_f32 v[110:111], v[6:7], s[8:9], v[114:115]
	v_add_f32_e32 v6, 0x40051340, v110
	v_add_f32_e32 v7, 0x40051340, v111
	v_max3_f32 v6, v1, v6, v7
	ds_bpermute_b32 v7, v99, v6
	s_mul_hi_i32 s11, s6, s15
	s_mul_i32 s10, s6, s15
	s_lshl_b64 s[10:11], s[10:11], 2
	s_waitcnt lgkmcnt(0)
	v_max_f32_e32 v7, v7, v7
	v_max_f32_e32 v7, v6, v7
	ds_bpermute_b32 v99, v100, v7
	v_max_f32_e32 v6, v81, v81
	v_max_f32_e32 v6, v80, v6
	v_sub_f32_e32 v3, v3, v6
	v_mul_f32_e32 v81, 0x3fb8aa3b, v3
	s_waitcnt lgkmcnt(0)
	v_max_f32_e32 v80, v99, v99
	v_max_f32_e32 v7, v7, v80
	ds_bpermute_b32 v80, v98, v7
	v_fma_f32 v98, v3, s13, -v81
	v_rndne_f32_e32 v99, v81
	v_fmac_f32_e32 v98, 0x32a5705f, v3
	v_sub_f32_e32 v81, v81, v99
	s_waitcnt lgkmcnt(0)
	v_max_f32_e32 v80, v80, v80
	v_max_f32_e32 v7, v7, v80
	ds_bpermute_b32 v80, v97, v7
	v_add_f32_e32 v81, v81, v98
	v_cvt_i32_f32_e32 v97, v99
	v_exp_f32_e32 v81, v81
	v_cmp_ngt_f32_e32 vcc, s19, v3
	s_waitcnt lgkmcnt(0)
	v_max_f32_e32 v80, v80, v80
	v_max_f32_e32 v7, v7, v80
	ds_bpermute_b32 v80, v96, v7
	v_sub_f32_e32 v96, v2, v6
	v_ldexp_f32 v2, v81, v97
	v_cndmask_b32_e32 v2, 0, v2, vcc
	v_cmp_nlt_f32_e32 vcc, s24, v3
	s_waitcnt lgkmcnt(0)
	v_max_f32_e32 v80, v80, v80
	v_max_f32_e32 v7, v7, v80
	v_mul_f32_e32 v80, 0x3fb8aa3b, v96
	v_fma_f32 v81, v96, s13, -v80
	v_rndne_f32_e32 v97, v80
	v_fmac_f32_e32 v81, 0x32a5705f, v96
	v_sub_f32_e32 v80, v80, v97
	v_add_f32_e32 v80, v80, v81
	v_exp_f32_e32 v81, v80
	v_cvt_i32_f32_e32 v97, v97
	v_cndmask_b32_e32 v2, v63, v2, vcc
	v_cmp_ngt_f32_e32 vcc, s19, v96
	v_pk_add_f32 v[0:1], v[0:1], v[6:7] neg_lo:[0,1] neg_hi:[0,1]
	v_ldexp_f32 v3, v81, v97
	v_cndmask_b32_e32 v3, 0, v3, vcc
	v_cmp_nlt_f32_e32 vcc, s24, v96
	v_cndmask_b32_e32 v98, v63, v3, vcc
	v_mul_f32_e32 v3, 0x3fb8aa3b, v1
	v_fma_f32 v96, v1, s13, -v3
	v_rndne_f32_e32 v97, v3
	v_fmac_f32_e32 v96, 0x32a5705f, v1
	v_sub_f32_e32 v3, v3, v97
	v_add_f32_e32 v3, v3, v96
	v_cvt_i32_f32_e32 v96, v97
	v_mul_f32_e32 v97, 0x3fb8aa3b, v0
	v_fma_f32 v99, v0, s13, -v97
	v_rndne_f32_e32 v100, v97
	v_fmac_f32_e32 v99, 0x32a5705f, v0
	v_sub_f32_e32 v97, v97, v100
	v_exp_f32_e32 v3, v3
	v_add_f32_e32 v97, v97, v99
	v_exp_f32_e32 v97, v97
	v_cvt_i32_f32_e32 v99, v100
	v_ldexp_f32 v3, v3, v96
	v_cmp_ngt_f32_e32 vcc, s19, v1
	v_cndmask_b32_e32 v3, 0, v3, vcc
	v_ldexp_f32 v96, v97, v99
	v_cmp_ngt_f32_e32 vcc, s19, v0
	v_cndmask_b32_e32 v96, 0, v96, vcc
	v_cmp_nlt_f32_e32 vcc, s24, v0
	v_cndmask_b32_e32 v0, v63, v96, vcc
	v_cvt_f16_f32_e32 v97, v0
	v_mov_b32_e32 v96, v7
	v_cmp_nlt_f32_e32 vcc, s24, v1
	v_cndmask_b32_e32 v1, v63, v3, vcc
	v_pk_add_f32 v[110:111], v[110:111], v[96:97] op_sel_hi:[1,0] neg_lo:[0,1] neg_hi:[0,1]
	v_mul_f32_e32 v96, 0x3fb8aa3b, v111
	v_fma_f32 v99, v111, s13, -v96
	v_rndne_f32_e32 v100, v96
	v_fmac_f32_e32 v99, 0x32a5705f, v111
	v_sub_f32_e32 v96, v96, v100
	v_add_f32_e32 v96, v96, v99
	v_exp_f32_e32 v99, v96
	v_cvt_i32_f32_e32 v100, v100
	v_pk_mul_f16 v96, v97, v72 op_sel_hi:[0,1]
	v_pk_mul_f16 v72, v97, v73 op_sel_hi:[0,1]
	v_mul_f32_e32 v73, 0x3fb8aa3b, v110
	v_ldexp_f32 v3, v99, v100
	v_fma_f32 v97, v110, s13, -v73
	v_rndne_f32_e32 v99, v73
	v_fmac_f32_e32 v97, 0x32a5705f, v110
	v_sub_f32_e32 v73, v73, v99
	v_add_f32_e32 v73, v73, v97
	v_exp_f32_e32 v73, v73
	v_cvt_i32_f32_e32 v97, v99
	v_cmp_ngt_f32_e32 vcc, s19, v111
	v_cndmask_b32_e32 v3, 0, v3, vcc
	v_cmp_nlt_f32_e32 vcc, s24, v111
	v_cndmask_b32_e32 v99, v63, v3, vcc
	v_ldexp_f32 v3, v73, v97
	v_cmp_ngt_f32_e32 vcc, s19, v110
	v_cndmask_b32_e32 v3, 0, v3, vcc
	v_cmp_nlt_f32_e32 vcc, s24, v110
	v_cndmask_b32_e32 v3, v63, v3, vcc
	v_cvt_f16_f32_e32 v80, v2
	v_cvt_f16_f32_e32 v73, v3
	v_pk_add_f32 v[2:3], v[2:3], v[98:99]
	v_cvt_f16_f32_e32 v100, v1
	v_pk_fma_f32 v[8:9], v[8:9], v[0:1], v[2:3]
	v_max_f32_e32 v0, v106, v106
	v_max_f32_e32 v1, v105, v105
	;; [unrolled: 1-line block ×12, first 2 shown]
	v_sub_f32_e32 v84, v101, v2
	v_mul_f32_e32 v86, 0x3fb8aa3b, v84
	v_fma_f32 v93, v84, s13, -v86
	v_rndne_f32_e32 v94, v86
	v_fmac_f32_e32 v93, 0x32a5705f, v84
	v_sub_f32_e32 v86, v86, v94
	v_add_f32_e32 v86, v86, v93
	v_exp_f32_e32 v86, v86
	v_cvt_i32_f32_e32 v93, v94
	v_cvt_f16_f32_e32 v81, v98
	v_sub_f32_e32 v98, v107, v3
	v_sub_f32_e32 v94, v92, v0
	v_mul_f32_e32 v92, 0x3fb8aa3b, v98
	v_cvt_f16_f32_e32 v97, v99
	v_ldexp_f32 v86, v86, v93
	v_fma_f32 v93, v98, s13, -v92
	v_rndne_f32_e32 v99, v92
	v_fmac_f32_e32 v93, 0x32a5705f, v98
	v_sub_f32_e32 v92, v92, v99
	v_add_f32_e32 v92, v92, v93
	v_exp_f32_e32 v93, v92
	v_cvt_i32_f32_e32 v99, v99
	v_cmp_ngt_f32_e32 vcc, s19, v84
	v_sub_f32_e32 v95, v95, v1
	v_cndmask_b32_e32 v86, 0, v86, vcc
	v_cmp_nlt_f32_e32 vcc, s24, v84
	v_cndmask_b32_e32 v92, v63, v86, vcc
	v_mul_f32_e32 v86, 0x3fb8aa3b, v95
	v_ldexp_f32 v84, v93, v99
	v_fma_f32 v93, v95, s13, -v86
	v_rndne_f32_e32 v99, v86
	v_fmac_f32_e32 v93, 0x32a5705f, v95
	v_sub_f32_e32 v86, v86, v99
	v_add_f32_e32 v86, v86, v93
	v_exp_f32_e32 v86, v86
	v_cvt_i32_f32_e32 v99, v99
	v_cmp_ngt_f32_e32 vcc, s19, v98
	v_cndmask_b32_e32 v84, 0, v84, vcc
	v_cmp_nlt_f32_e32 vcc, s24, v98
	v_cndmask_b32_e32 v93, v63, v84, vcc
	v_ldexp_f32 v84, v86, v99
	v_mul_f32_e32 v86, 0x3fb8aa3b, v94
	v_fma_f32 v98, v94, s13, -v86
	v_rndne_f32_e32 v99, v86
	v_fmac_f32_e32 v98, 0x32a5705f, v94
	v_sub_f32_e32 v86, v86, v99
	v_add_f32_e32 v86, v86, v98
	v_exp_f32_e32 v86, v86
	v_cvt_i32_f32_e32 v98, v99
	v_cmp_ngt_f32_e32 vcc, s19, v95
	v_cndmask_b32_e32 v84, 0, v84, vcc
	v_cmp_nlt_f32_e32 vcc, s24, v95
	v_pk_add_f32 v[4:5], v[4:5], v[0:1] neg_lo:[0,1] neg_hi:[0,1]
	v_cndmask_b32_e32 v95, v63, v84, vcc
	v_ldexp_f32 v84, v86, v98
	v_mul_f32_e32 v86, 0x3fb8aa3b, v5
	v_fma_f32 v98, v5, s13, -v86
	v_rndne_f32_e32 v99, v86
	v_fmac_f32_e32 v98, 0x32a5705f, v5
	v_sub_f32_e32 v86, v86, v99
	v_add_f32_e32 v86, v86, v98
	v_exp_f32_e32 v86, v86
	v_cvt_i32_f32_e32 v98, v99
	v_cmp_ngt_f32_e32 vcc, s19, v94
	v_cndmask_b32_e32 v84, 0, v84, vcc
	v_cmp_nlt_f32_e32 vcc, s24, v94
	v_cndmask_b32_e32 v94, v63, v84, vcc
	v_ldexp_f32 v84, v86, v98
	v_mul_f32_e32 v86, 0x3fb8aa3b, v4
	v_fma_f32 v98, v4, s13, -v86
	v_rndne_f32_e32 v99, v86
	v_fmac_f32_e32 v98, 0x32a5705f, v4
	v_sub_f32_e32 v86, v86, v99
	v_add_f32_e32 v86, v86, v98
	v_exp_f32_e32 v86, v86
	v_cvt_i32_f32_e32 v98, v99
	v_cmp_ngt_f32_e32 vcc, s19, v5
	v_cndmask_b32_e32 v84, 0, v84, vcc
	v_cmp_nlt_f32_e32 vcc, s24, v5
	v_cndmask_b32_e32 v5, v63, v84, vcc
	v_ldexp_f32 v84, v86, v98
	v_cmp_ngt_f32_e32 vcc, s19, v4
	v_cndmask_b32_e32 v84, 0, v84, vcc
	v_cmp_nlt_f32_e32 vcc, s24, v4
	v_cndmask_b32_e32 v4, v63, v84, vcc
	v_pk_add_f32 v[20:21], v[20:21], v[0:1] neg_lo:[0,1] neg_hi:[0,1]
	v_cvt_f16_f32_e32 v84, v4
	v_pk_add_f32 v[98:99], v[94:95], v[4:5]
	v_mul_f32_e32 v4, 0x3fb8aa3b, v21
	v_pk_mul_f16 v69, v100, v69 op_sel_hi:[0,1]
	v_pk_mul_f16 v68, v100, v68 op_sel_hi:[0,1]
	v_fma_f32 v86, v21, s13, -v4
	v_rndne_f32_e32 v100, v4
	v_fmac_f32_e32 v86, 0x32a5705f, v21
	v_sub_f32_e32 v4, v4, v100
	v_add_f32_e32 v4, v4, v86
	v_cvt_i32_f32_e32 v86, v100
	v_mul_f32_e32 v100, 0x3fb8aa3b, v20
	v_fma_f32 v101, v20, s13, -v100
	v_rndne_f32_e32 v104, v100
	v_fmac_f32_e32 v101, 0x32a5705f, v20
	v_sub_f32_e32 v100, v100, v104
	v_exp_f32_e32 v4, v4
	v_add_f32_e32 v100, v100, v101
	v_exp_f32_e32 v100, v100
	v_cvt_i32_f32_e32 v101, v104
	v_ldexp_f32 v4, v4, v86
	v_cmp_ngt_f32_e32 vcc, s19, v21
	v_cndmask_b32_e32 v4, 0, v4, vcc
	v_ldexp_f32 v86, v100, v101
	v_cmp_ngt_f32_e32 vcc, s19, v20
	v_cndmask_b32_e32 v86, 0, v86, vcc
	v_cmp_nlt_f32_e32 vcc, s24, v20
	v_cndmask_b32_e32 v20, v63, v86, vcc
	v_cmp_nlt_f32_e32 vcc, s24, v21
	v_cndmask_b32_e32 v21, v63, v4, vcc
	v_cvt_f16_f32_e32 v86, v20
	v_cvt_f16_f32_e32 v4, v21
	v_pk_fma_f32 v[12:13], v[12:13], v[20:21], v[98:99]
	s_barrier
	v_pk_mul_f16 v78, v86, v78 op_sel_hi:[0,1]
	v_pk_mul_f16 v79, v86, v79 op_sel_hi:[0,1]
	v_cvt_f16_f32_e32 v86, v5
	v_pk_mul_f16 v98, v4, v77 op_sel_hi:[0,1]
	v_pk_mul_f16 v99, v4, v76 op_sel_hi:[0,1]
	v_pk_add_f32 v[4:5], v[22:23], v[2:3] neg_lo:[0,1] neg_hi:[0,1]
	v_mul_f32_e32 v20, 0x3fb8aa3b, v5
	v_fma_f32 v21, v5, s13, -v20
	v_rndne_f32_e32 v22, v20
	v_fmac_f32_e32 v21, 0x32a5705f, v5
	v_sub_f32_e32 v20, v20, v22
	v_add_f32_e32 v20, v20, v21
	v_exp_f32_e32 v20, v20
	v_cvt_i32_f32_e32 v21, v22
	v_cmp_ngt_f32_e32 vcc, s19, v5
	v_cvt_f16_f32_e32 v76, v95
	v_cvt_f16_f32_e32 v77, v94
	v_ldexp_f32 v20, v20, v21
	v_mul_f32_e32 v21, 0x3fb8aa3b, v4
	v_fma_f32 v22, v4, s13, -v21
	v_rndne_f32_e32 v23, v21
	v_fmac_f32_e32 v22, 0x32a5705f, v4
	v_sub_f32_e32 v21, v21, v23
	v_add_f32_e32 v21, v21, v22
	v_exp_f32_e32 v22, v21
	v_cvt_i32_f32_e32 v23, v23
	v_cndmask_b32_e32 v20, 0, v20, vcc
	v_cmp_nlt_f32_e32 vcc, s24, v5
	v_cndmask_b32_e32 v21, v63, v20, vcc
	v_ldexp_f32 v5, v22, v23
	v_cmp_ngt_f32_e32 vcc, s19, v4
	v_cndmask_b32_e32 v5, 0, v5, vcc
	v_cmp_nlt_f32_e32 vcc, s24, v4
	v_cndmask_b32_e32 v20, v63, v5, vcc
	v_pk_add_f32 v[4:5], v[18:19], v[2:3] neg_lo:[0,1] neg_hi:[0,1]
	v_cvt_f16_f32_e32 v100, v20
	v_pk_add_f32 v[18:19], v[92:93], v[20:21]
	v_mul_f32_e32 v20, 0x3fb8aa3b, v5
	v_fma_f32 v22, v5, s13, -v20
	v_rndne_f32_e32 v23, v20
	v_fmac_f32_e32 v22, 0x32a5705f, v5
	v_sub_f32_e32 v20, v20, v23
	v_add_f32_e32 v20, v20, v22
	v_cvt_i32_f32_e32 v22, v23
	v_mul_f32_e32 v23, 0x3fb8aa3b, v4
	v_cvt_f16_f32_e32 v94, v93
	v_cvt_f16_f32_e32 v95, v92
	v_fma_f32 v92, v4, s13, -v23
	v_rndne_f32_e32 v93, v23
	v_fmac_f32_e32 v92, 0x32a5705f, v4
	v_sub_f32_e32 v23, v23, v93
	v_exp_f32_e32 v20, v20
	v_add_f32_e32 v23, v23, v92
	v_exp_f32_e32 v23, v23
	v_cvt_i32_f32_e32 v92, v93
	v_ldexp_f32 v20, v20, v22
	v_cmp_ngt_f32_e32 vcc, s19, v5
	v_cndmask_b32_e32 v20, 0, v20, vcc
	v_ldexp_f32 v22, v23, v92
	v_cmp_ngt_f32_e32 vcc, s19, v4
	v_cndmask_b32_e32 v22, 0, v22, vcc
	v_cmp_nlt_f32_e32 vcc, s24, v4
	v_cndmask_b32_e32 v4, v63, v22, vcc
	v_cmp_nlt_f32_e32 vcc, s24, v5
	v_cvt_f16_f32_e32 v22, v4
	v_cndmask_b32_e32 v5, v63, v20, vcc
	v_pk_fma_f32 v[14:15], v[14:15], v[4:5], v[18:19]
	v_cvt_f16_f32_e32 v18, v5
	v_max_f32_e32 v4, v83, v83
	v_max_f32_e32 v5, v82, v82
	;; [unrolled: 1-line block ×6, first 2 shown]
	v_pk_mul_f16 v92, v22, v75 op_sel_hi:[0,1]
	v_pk_mul_f16 v93, v22, v74 op_sel_hi:[0,1]
	v_pk_add_f32 v[22:23], v[26:27], v[4:5] neg_lo:[0,1] neg_hi:[0,1]
	v_mul_f32_e32 v19, 0x3fb8aa3b, v23
	v_fma_f32 v20, v23, s13, -v19
	v_rndne_f32_e32 v26, v19
	v_fmac_f32_e32 v20, 0x32a5705f, v23
	v_sub_f32_e32 v19, v19, v26
	v_add_f32_e32 v19, v19, v20
	v_exp_f32_e32 v19, v19
	v_cvt_i32_f32_e32 v20, v26
	v_pk_mul_f16 v70, v18, v70 op_sel_hi:[0,1]
	v_pk_mul_f16 v71, v18, v71 op_sel_hi:[0,1]
	v_cvt_f16_f32_e32 v26, v21
	v_ldexp_f32 v18, v19, v20
	v_mul_f32_e32 v19, 0x3fb8aa3b, v22
	v_fma_f32 v20, v22, s13, -v19
	v_rndne_f32_e32 v21, v19
	v_fmac_f32_e32 v20, 0x32a5705f, v22
	v_sub_f32_e32 v19, v19, v21
	v_add_f32_e32 v19, v19, v20
	v_exp_f32_e32 v19, v19
	v_cvt_i32_f32_e32 v20, v21
	v_cmp_ngt_f32_e32 vcc, s19, v23
	v_cndmask_b32_e32 v18, 0, v18, vcc
	v_cmp_nlt_f32_e32 vcc, s24, v23
	v_cndmask_b32_e32 v23, v63, v18, vcc
	v_ldexp_f32 v27, v19, v20
	v_mov_b32_e32 v19, s11
	v_add_co_u32_e32 v18, vcc, s10, v56
	v_addc_co_u32_e32 v19, vcc, v57, v19, vcc
	global_load_dwordx4 v[18:21], v[18:19], off
	v_pk_add_f32 v[24:25], v[24:25], v[4:5] neg_lo:[0,1] neg_hi:[0,1]
	v_mul_f32_e32 v74, 0x3fb8aa3b, v25
	v_fma_f32 v75, v25, s13, -v74
	v_rndne_f32_e32 v82, v74
	v_fmac_f32_e32 v75, 0x32a5705f, v25
	v_sub_f32_e32 v74, v74, v82
	v_add_f32_e32 v74, v74, v75
	v_exp_f32_e32 v74, v74
	v_cvt_i32_f32_e32 v75, v82
	v_cmp_ngt_f32_e32 vcc, s19, v22
	v_cndmask_b32_e32 v27, 0, v27, vcc
	v_cmp_nlt_f32_e32 vcc, s24, v22
	v_ldexp_f32 v74, v74, v75
	v_mul_f32_e32 v75, 0x3fb8aa3b, v24
	v_fma_f32 v83, v24, s13, -v75
	v_rndne_f32_e32 v101, v75
	v_fmac_f32_e32 v83, 0x32a5705f, v24
	v_sub_f32_e32 v75, v75, v101
	v_add_f32_e32 v75, v75, v83
	v_exp_f32_e32 v75, v75
	v_cvt_i32_f32_e32 v83, v101
	v_cndmask_b32_e32 v22, v63, v27, vcc
	v_cmp_ngt_f32_e32 vcc, s19, v25
	v_cndmask_b32_e32 v74, 0, v74, vcc
	v_cmp_nlt_f32_e32 vcc, s24, v25
	v_pk_add_f32 v[16:17], v[16:17], v[4:5] neg_lo:[0,1] neg_hi:[0,1]
	v_cndmask_b32_e32 v25, v63, v74, vcc
	v_ldexp_f32 v74, v75, v83
	v_mul_f32_e32 v75, 0x3fb8aa3b, v17
	v_fma_f32 v83, v17, s13, -v75
	v_rndne_f32_e32 v101, v75
	v_fmac_f32_e32 v83, 0x32a5705f, v17
	v_sub_f32_e32 v75, v75, v101
	v_add_f32_e32 v75, v75, v83
	v_cvt_i32_f32_e32 v83, v101
	v_mul_f32_e32 v101, 0x3fb8aa3b, v16
	v_fma_f32 v102, v16, s13, -v101
	v_rndne_f32_e32 v103, v101
	v_fmac_f32_e32 v102, 0x32a5705f, v16
	v_sub_f32_e32 v101, v101, v103
	v_add_f32_e32 v101, v101, v102
	v_exp_f32_e32 v75, v75
	v_exp_f32_e32 v101, v101
	v_cvt_i32_f32_e32 v102, v103
	v_cmp_ngt_f32_e32 vcc, s19, v24
	v_cndmask_b32_e32 v74, 0, v74, vcc
	v_cmp_nlt_f32_e32 vcc, s24, v24
	v_cndmask_b32_e32 v24, v63, v74, vcc
	v_ldexp_f32 v75, v75, v83
	v_ldexp_f32 v83, v101, v102
	v_cmp_ngt_f32_e32 vcc, s19, v16
	v_cndmask_b32_e32 v83, 0, v83, vcc
	v_cmp_nlt_f32_e32 vcc, s24, v16
	v_cndmask_b32_e32 v16, v63, v83, vcc
	v_cvt_f16_f32_e32 v83, v16
	v_cvt_f16_f32_e32 v27, v23
	;; [unrolled: 1-line block ×4, first 2 shown]
	v_cmp_ngt_f32_e32 vcc, s19, v17
	v_pk_mul_f16 v101, v83, v66 op_sel_hi:[0,1]
	v_pk_mul_f16 v83, v83, v67 op_sel_hi:[0,1]
	v_cvt_f16_f32_e32 v67, v25
	v_cndmask_b32_e32 v75, 0, v75, vcc
	v_cmp_nlt_f32_e32 vcc, s24, v17
	v_cndmask_b32_e32 v17, v63, v75, vcc
	v_pk_add_f32 v[22:23], v[22:23], v[24:25]
	v_pk_fma_f32 v[10:11], v[10:11], v[16:17], v[22:23]
	v_pack_b32_f16 v25, v80, v73
	v_pack_b32_f16 v24, v82, v27
	;; [unrolled: 1-line block ×4, first 2 shown]
	v_cvt_f16_f32_e32 v66, v17
	ds_write_b128 v62, v[22:25]
	v_pack_b32_f16 v25, v81, v97
	v_pack_b32_f16 v24, v74, v67
	;; [unrolled: 1-line block ×4, first 2 shown]
	ds_write_b128 v62, v[22:25] offset:512
	s_waitcnt vmcnt(0)
	ds_write_b128 v55, v[18:21]
	s_waitcnt lgkmcnt(0)
	s_barrier
	ds_read2_b64 v[16:19], v58 offset1:32
	ds_read_b128 v[20:23], v54
	v_pk_mul_f16 v102, v66, v65 op_sel_hi:[0,1]
	v_pk_mul_f16 v73, v66, v64 op_sel_hi:[0,1]
	ds_read_b128 v[24:27], v54 offset:16
	ds_read_b128 v[64:67], v54 offset:32
	;; [unrolled: 1-line block ×3, first 2 shown]
	s_or_b32 s10, s6, 16
	s_waitcnt lgkmcnt(3)
	v_pk_fma_f16 v78, v16, v20, v78 op_sel_hi:[1,0,1]
	v_pk_fma_f16 v80, v16, v20, v98 op_sel:[0,1,0]
	v_pk_fma_f16 v81, v16, v21, v92 op_sel_hi:[1,0,1]
	v_pk_fma_f16 v70, v16, v21, v70 op_sel:[0,1,0]
	;; [unrolled: 2-line block ×8, first 2 shown]
	s_waitcnt lgkmcnt(2)
	v_pk_fma_f16 v68, v18, v24, v78 op_sel_hi:[1,0,1]
	v_pk_fma_f16 v78, v18, v24, v80 op_sel:[0,1,0]
	v_pk_fma_f16 v80, v18, v25, v81 op_sel_hi:[1,0,1]
	v_pk_fma_f16 v70, v18, v25, v70 op_sel:[0,1,0]
	;; [unrolled: 2-line block ×6, first 2 shown]
	ds_read2_b64 v[20:23], v58 offset0:64 offset1:96
	v_pk_fma_f16 v71, v19, v26, v71 op_sel_hi:[1,0,1]
	v_pk_fma_f16 v26, v19, v26, v73 op_sel:[0,1,0]
	v_pk_fma_f16 v72, v19, v27, v72 op_sel_hi:[1,0,1]
	v_pk_fma_f16 v17, v19, v27, v17 op_sel:[0,1,0]
	s_waitcnt lgkmcnt(0)
	v_pk_fma_f16 v19, v20, v64, v68 op_sel_hi:[1,0,1]
	v_pk_fma_f16 v27, v20, v64, v78 op_sel:[0,1,0]
	v_pk_fma_f16 v68, v20, v65, v80 op_sel_hi:[1,0,1]
	v_pk_fma_f16 v70, v20, v65, v70 op_sel:[0,1,0]
	;; [unrolled: 2-line block ×12, first 2 shown]
	v_pk_fma_f16 v79, v23, v74, v18 op_sel_hi:[1,0,1]
	v_pk_fma_f16 v80, v23, v75, v24 op_sel_hi:[1,0,1]
	v_pk_fma_f16 v75, v23, v75, v25 op_sel:[0,1,0]
	ds_read2_b64 v[16:19], v58 offset0:128 offset1:160
	ds_read_b128 v[24:27], v54 offset:64
	v_pk_fma_f16 v74, v23, v74, v20 op_sel:[0,1,0]
	v_pk_fma_f16 v64, v23, v76, v64 op_sel_hi:[1,0,1]
	v_pk_fma_f16 v65, v23, v76, v65 op_sel:[0,1,0]
	v_pk_fma_f16 v66, v23, v77, v66 op_sel_hi:[1,0,1]
	v_pk_fma_f16 v76, v23, v77, v21 op_sel:[0,1,0]
	ds_read_b128 v[20:23], v54 offset:80
	s_waitcnt lgkmcnt(1)
	v_pk_fma_f16 v67, v16, v24, v67 op_sel_hi:[1,0,1]
	v_pk_fma_f16 v69, v16, v24, v69 op_sel:[0,1,0]
	v_pk_fma_f16 v68, v16, v25, v68 op_sel_hi:[1,0,1]
	v_pk_fma_f16 v70, v16, v25, v70 op_sel:[0,1,0]
	;; [unrolled: 2-line block ×4, first 2 shown]
	v_pk_fma_f16 v64, v17, v26, v64 op_sel_hi:[1,0,1]
	v_pk_fma_f16 v71, v16, v26, v71 op_sel_hi:[1,0,1]
	v_pk_fma_f16 v72, v16, v26, v72 op_sel:[0,1,0]
	v_pk_fma_f16 v73, v16, v27, v73 op_sel_hi:[1,0,1]
	v_pk_fma_f16 v16, v16, v27, v78 op_sel:[0,1,0]
	v_pk_fma_f16 v75, v17, v26, v65 op_sel:[0,1,0]
	v_pk_fma_f16 v78, v17, v27, v66 op_sel_hi:[1,0,1]
	v_pk_fma_f16 v17, v17, v27, v76 op_sel:[0,1,0]
	s_waitcnt lgkmcnt(0)
	v_pk_fma_f16 v76, v18, v20, v67 op_sel_hi:[1,0,1]
	v_pk_fma_f16 v69, v18, v20, v69 op_sel:[0,1,0]
	v_pk_fma_f16 v68, v18, v21, v68 op_sel_hi:[1,0,1]
	v_pk_fma_f16 v70, v18, v21, v70 op_sel:[0,1,0]
	;; [unrolled: 2-line block ×4, first 2 shown]
	v_pk_fma_f16 v80, v19, v22, v64 op_sel_hi:[1,0,1]
	ds_read2_b64 v[24:27], v58 offset0:192 offset1:224
	ds_read_b128 v[64:67], v54 offset:96
	v_pk_fma_f16 v71, v18, v22, v71 op_sel_hi:[1,0,1]
	v_pk_fma_f16 v72, v18, v22, v72 op_sel:[0,1,0]
	v_pk_fma_f16 v73, v18, v23, v73 op_sel_hi:[1,0,1]
	v_pk_fma_f16 v79, v18, v23, v16 op_sel:[0,1,0]
	v_pk_fma_f16 v22, v19, v22, v75 op_sel:[0,1,0]
	v_pk_fma_f16 v75, v19, v23, v78 op_sel_hi:[1,0,1]
	v_pk_fma_f16 v23, v19, v23, v17 op_sel:[0,1,0]
	ds_read_b128 v[16:19], v54 offset:112
	s_waitcnt lgkmcnt(1)
	v_pk_fma_f16 v76, v24, v64, v76 op_sel_hi:[1,0,1]
	v_pk_fma_f16 v69, v24, v64, v69 op_sel:[0,1,0]
	v_pk_fma_f16 v77, v25, v64, v77 op_sel_hi:[1,0,1]
	v_pk_fma_f16 v20, v25, v64, v20 op_sel:[0,1,0]
	;; [unrolled: 2-line block ×6, first 2 shown]
	v_pk_fma_f16 v65, v25, v66, v80 op_sel_hi:[1,0,1]
	s_waitcnt lgkmcnt(0)
	v_pk_fma_f16 v76, v26, v16, v76 op_sel_hi:[1,0,1]
	v_pk_fma_f16 v69, v26, v16, v69 op_sel:[0,1,0]
	v_pk_fma_f16 v77, v27, v16, v77 op_sel_hi:[1,0,1]
	v_pk_fma_f16 v79, v27, v16, v20 op_sel:[0,1,0]
	v_add_u32_e32 v16, 0x800, v58
	v_pk_fma_f16 v74, v25, v66, v22 op_sel:[0,1,0]
	v_pk_fma_f16 v75, v25, v67, v75 op_sel_hi:[1,0,1]
	v_pk_fma_f16 v25, v25, v67, v23 op_sel:[0,1,0]
	v_pk_fma_f16 v68, v26, v17, v68 op_sel_hi:[1,0,1]
	;; [unrolled: 2-line block ×4, first 2 shown]
	ds_read2_b64 v[20:23], v16 offset1:32
	ds_read_b128 v[64:67], v54 offset:128
	v_pk_fma_f16 v71, v26, v18, v71 op_sel_hi:[1,0,1]
	v_pk_fma_f16 v72, v26, v18, v72 op_sel:[0,1,0]
	v_pk_fma_f16 v73, v26, v19, v73 op_sel_hi:[1,0,1]
	v_pk_fma_f16 v78, v26, v19, v24 op_sel:[0,1,0]
	v_pk_fma_f16 v18, v27, v18, v74 op_sel:[0,1,0]
	v_pk_fma_f16 v74, v27, v19, v75 op_sel_hi:[1,0,1]
	v_pk_fma_f16 v19, v27, v19, v25 op_sel:[0,1,0]
	ds_read_b128 v[24:27], v54 offset:144
	s_waitcnt lgkmcnt(1)
	v_pk_fma_f16 v75, v20, v64, v76 op_sel_hi:[1,0,1]
	v_pk_fma_f16 v69, v20, v64, v69 op_sel:[0,1,0]
	v_pk_fma_f16 v68, v20, v65, v68 op_sel_hi:[1,0,1]
	v_pk_fma_f16 v70, v20, v65, v70 op_sel:[0,1,0]
	;; [unrolled: 2-line block ×8, first 2 shown]
	s_waitcnt lgkmcnt(0)
	v_pk_fma_f16 v80, v22, v27, v20 op_sel:[0,1,0]
	v_pk_fma_f16 v81, v23, v24, v64 op_sel:[0,1,0]
	v_pk_fma_f16 v82, v23, v26, v65 op_sel_hi:[1,0,1]
	ds_read2_b64 v[18:21], v16 offset0:64 offset1:96
	ds_read_b128 v[64:67], v54 offset:160
	s_mul_hi_i32 s11, s10, s15
	s_mul_i32 s10, s10, s15
	v_pk_fma_f16 v75, v22, v24, v75 op_sel_hi:[1,0,1]
	v_pk_fma_f16 v69, v22, v24, v69 op_sel:[0,1,0]
	v_pk_fma_f16 v68, v22, v25, v68 op_sel_hi:[1,0,1]
	v_pk_fma_f16 v70, v22, v25, v70 op_sel:[0,1,0]
	;; [unrolled: 2-line block ×3, first 2 shown]
	v_pk_fma_f16 v73, v22, v27, v73 op_sel_hi:[1,0,1]
	v_pk_fma_f16 v76, v23, v24, v76 op_sel_hi:[1,0,1]
	v_pk_fma_f16 v77, v23, v25, v77 op_sel_hi:[1,0,1]
	v_pk_fma_f16 v17, v23, v25, v17 op_sel:[0,1,0]
	v_pk_fma_f16 v26, v23, v26, v78 op_sel:[0,1,0]
	v_pk_fma_f16 v74, v23, v27, v74 op_sel_hi:[1,0,1]
	v_pk_fma_f16 v27, v23, v27, v79 op_sel:[0,1,0]
	s_lshl_b64 s[10:11], s[10:11], 2
	s_waitcnt lgkmcnt(0)
	v_pk_fma_f16 v84, v18, v64, v75 op_sel_hi:[1,0,1]
	v_pk_fma_f16 v86, v18, v64, v69 op_sel:[0,1,0]
	v_pk_fma_f16 v100, v18, v65, v68 op_sel_hi:[1,0,1]
	v_pk_fma_f16 v101, v18, v65, v70 op_sel:[0,1,0]
	;; [unrolled: 2-line block ×8, first 2 shown]
	v_mov_b32_e32 v19, s11
	v_add_co_u32_e32 v18, vcc, s10, v56
	v_addc_co_u32_e32 v19, vcc, v57, v19, vcc
	ds_read_b128 v[22:25], v54 offset:176
	ds_read2_b64 v[64:67], v16 offset0:128 offset1:160
	ds_read_b128 v[68:71], v54 offset:192
	ds_read_b128 v[72:75], v54 offset:208
	ds_read2_b64 v[76:79], v16 offset0:192 offset1:224
	ds_read_b128 v[80:83], v54 offset:224
	ds_read_b128 v[92:95], v54 offset:240
	s_waitcnt lgkmcnt(0)
	s_barrier
	global_load_dwordx4 v[96:99], v[18:19], off
	v_pk_fma_f16 v18, v20, v22, v84 op_sel_hi:[1,0,1]
	v_pk_fma_f16 v19, v20, v22, v86 op_sel:[0,1,0]
	v_pk_fma_f16 v84, v20, v23, v100 op_sel_hi:[1,0,1]
	v_pk_fma_f16 v86, v20, v23, v101 op_sel:[0,1,0]
	;; [unrolled: 2-line block ×39, first 2 shown]
	v_pk_fma_f16 v26, v79, v95, v26 op_sel_hi:[1,0,1]
	s_waitcnt vmcnt(0)
	ds_write_b128 v55, v[96:99]
	s_waitcnt lgkmcnt(0)
	s_barrier
	ds_read2_b64 v[18:21], v58 offset1:32
	ds_read_b128 v[22:25], v54 offset:256
	v_pk_fma_f16 v79, v79, v95, v69 op_sel:[0,1,0]
	ds_read_b128 v[64:67], v54 offset:272
	ds_read_b128 v[68:71], v54 offset:288
	;; [unrolled: 1-line block ×3, first 2 shown]
	s_or_b32 s10, s6, 32
	s_mul_hi_i32 s11, s10, s15
	s_waitcnt lgkmcnt(3)
	v_pk_fma_f16 v76, v18, v22, v76 op_sel_hi:[1,0,1]
	v_pk_fma_f16 v77, v18, v22, v77 op_sel:[0,1,0]
	v_pk_fma_f16 v80, v18, v23, v80 op_sel_hi:[1,0,1]
	v_pk_fma_f16 v27, v18, v23, v27 op_sel:[0,1,0]
	;; [unrolled: 2-line block ×8, first 2 shown]
	s_waitcnt lgkmcnt(2)
	v_pk_fma_f16 v76, v20, v64, v76 op_sel_hi:[1,0,1]
	v_pk_fma_f16 v77, v20, v64, v77 op_sel:[0,1,0]
	v_pk_fma_f16 v79, v20, v65, v80 op_sel_hi:[1,0,1]
	v_pk_fma_f16 v27, v20, v65, v27 op_sel:[0,1,0]
	;; [unrolled: 2-line block ×5, first 2 shown]
	ds_read2_b64 v[22:25], v58 offset0:64 offset1:96
	v_pk_fma_f16 v78, v21, v65, v84 op_sel_hi:[1,0,1]
	v_pk_fma_f16 v17, v21, v65, v17 op_sel:[0,1,0]
	v_pk_fma_f16 v65, v21, v66, v86 op_sel_hi:[1,0,1]
	v_pk_fma_f16 v66, v21, v66, v92 op_sel:[0,1,0]
	;; [unrolled: 2-line block ×3, first 2 shown]
	s_waitcnt lgkmcnt(0)
	v_pk_fma_f16 v21, v22, v68, v76 op_sel_hi:[1,0,1]
	v_pk_fma_f16 v67, v22, v68, v77 op_sel:[0,1,0]
	v_pk_fma_f16 v76, v22, v69, v79 op_sel_hi:[1,0,1]
	v_pk_fma_f16 v27, v22, v69, v27 op_sel:[0,1,0]
	;; [unrolled: 2-line block ×12, first 2 shown]
	v_pk_fma_f16 v80, v25, v72, v20 op_sel_hi:[1,0,1]
	v_pk_fma_f16 v81, v25, v73, v64 op_sel_hi:[1,0,1]
	v_pk_fma_f16 v17, v25, v73, v17 op_sel:[0,1,0]
	v_pk_fma_f16 v73, v25, v74, v65 op_sel_hi:[1,0,1]
	ds_read2_b64 v[18:21], v58 offset0:128 offset1:160
	ds_read_b128 v[64:67], v54 offset:320
	v_pk_fma_f16 v72, v25, v72, v22 op_sel:[0,1,0]
	v_pk_fma_f16 v68, v25, v74, v68 op_sel:[0,1,0]
	v_pk_fma_f16 v26, v25, v75, v26 op_sel_hi:[1,0,1]
	v_pk_fma_f16 v74, v25, v75, v23 op_sel:[0,1,0]
	ds_read_b128 v[22:25], v54 offset:336
	s_waitcnt lgkmcnt(1)
	v_pk_fma_f16 v69, v18, v64, v69 op_sel_hi:[1,0,1]
	v_pk_fma_f16 v70, v18, v64, v70 op_sel:[0,1,0]
	v_pk_fma_f16 v71, v18, v65, v71 op_sel_hi:[1,0,1]
	v_pk_fma_f16 v27, v18, v65, v27 op_sel:[0,1,0]
	;; [unrolled: 2-line block ×3, first 2 shown]
	v_pk_fma_f16 v77, v18, v67, v78 op_sel_hi:[1,0,1]
	v_pk_fma_f16 v78, v19, v64, v80 op_sel_hi:[1,0,1]
	v_pk_fma_f16 v64, v19, v64, v72 op_sel:[0,1,0]
	v_pk_fma_f16 v72, v19, v65, v81 op_sel_hi:[1,0,1]
	v_pk_fma_f16 v17, v19, v65, v17 op_sel:[0,1,0]
	;; [unrolled: 2-line block ×3, first 2 shown]
	v_pk_fma_f16 v73, v19, v66, v68 op_sel:[0,1,0]
	v_pk_fma_f16 v26, v19, v67, v26 op_sel_hi:[1,0,1]
	v_pk_fma_f16 v19, v19, v67, v74 op_sel:[0,1,0]
	s_waitcnt lgkmcnt(0)
	v_pk_fma_f16 v74, v20, v22, v69 op_sel_hi:[1,0,1]
	v_pk_fma_f16 v79, v20, v22, v70 op_sel:[0,1,0]
	v_pk_fma_f16 v80, v20, v23, v71 op_sel_hi:[1,0,1]
	v_pk_fma_f16 v27, v20, v23, v27 op_sel:[0,1,0]
	;; [unrolled: 2-line block ×4, first 2 shown]
	v_pk_fma_f16 v23, v21, v24, v65 op_sel_hi:[1,0,1]
	ds_read2_b64 v[64:67], v58 offset0:192 offset1:224
	ds_read_b128 v[68:71], v54 offset:352
	v_pk_fma_f16 v75, v20, v24, v75 op_sel_hi:[1,0,1]
	v_pk_fma_f16 v76, v20, v24, v76 op_sel:[0,1,0]
	v_pk_fma_f16 v77, v20, v25, v77 op_sel_hi:[1,0,1]
	v_pk_fma_f16 v81, v20, v25, v18 op_sel:[0,1,0]
	v_pk_fma_f16 v24, v21, v24, v73 op_sel:[0,1,0]
	v_pk_fma_f16 v26, v21, v25, v26 op_sel_hi:[1,0,1]
	v_pk_fma_f16 v25, v21, v25, v19 op_sel:[0,1,0]
	ds_read_b128 v[18:21], v54 offset:368
	s_waitcnt lgkmcnt(1)
	v_pk_fma_f16 v73, v64, v68, v74 op_sel_hi:[1,0,1]
	v_pk_fma_f16 v74, v64, v68, v79 op_sel:[0,1,0]
	v_pk_fma_f16 v79, v64, v69, v80 op_sel_hi:[1,0,1]
	v_pk_fma_f16 v27, v64, v69, v27 op_sel:[0,1,0]
	;; [unrolled: 2-line block ×5, first 2 shown]
	v_pk_fma_f16 v68, v65, v69, v72 op_sel_hi:[1,0,1]
	v_pk_fma_f16 v23, v65, v70, v23 op_sel_hi:[1,0,1]
	v_pk_fma_f16 v17, v65, v69, v17 op_sel:[0,1,0]
	v_pk_fma_f16 v72, v65, v70, v24 op_sel:[0,1,0]
	v_pk_fma_f16 v26, v65, v71, v26 op_sel_hi:[1,0,1]
	v_pk_fma_f16 v65, v65, v71, v25 op_sel:[0,1,0]
	s_waitcnt lgkmcnt(0)
	v_pk_fma_f16 v73, v66, v18, v73 op_sel_hi:[1,0,1]
	v_pk_fma_f16 v74, v66, v18, v74 op_sel:[0,1,0]
	v_pk_fma_f16 v79, v66, v19, v79 op_sel_hi:[1,0,1]
	v_pk_fma_f16 v27, v66, v19, v27 op_sel:[0,1,0]
	;; [unrolled: 2-line block ×5, first 2 shown]
	v_pk_fma_f16 v80, v67, v19, v68 op_sel_hi:[1,0,1]
	v_pk_fma_f16 v81, v67, v20, v23 op_sel_hi:[1,0,1]
	ds_read2_b64 v[22:25], v16 offset1:32
	ds_read_b128 v[68:71], v54 offset:384
	v_pk_fma_f16 v17, v67, v19, v17 op_sel:[0,1,0]
	v_pk_fma_f16 v72, v67, v20, v72 op_sel:[0,1,0]
	v_pk_fma_f16 v26, v67, v21, v26 op_sel_hi:[1,0,1]
	v_pk_fma_f16 v65, v67, v21, v65 op_sel:[0,1,0]
	ds_read_b128 v[18:21], v54 offset:400
	s_waitcnt lgkmcnt(1)
	v_pk_fma_f16 v67, v22, v68, v73 op_sel_hi:[1,0,1]
	v_pk_fma_f16 v73, v22, v68, v74 op_sel:[0,1,0]
	v_pk_fma_f16 v74, v22, v69, v79 op_sel_hi:[1,0,1]
	v_pk_fma_f16 v27, v22, v69, v27 op_sel:[0,1,0]
	;; [unrolled: 2-line block ×8, first 2 shown]
	s_waitcnt lgkmcnt(0)
	v_pk_fma_f16 v78, v24, v18, v67 op_sel_hi:[1,0,1]
	v_pk_fma_f16 v73, v24, v18, v73 op_sel:[0,1,0]
	v_pk_fma_f16 v74, v24, v19, v74 op_sel_hi:[1,0,1]
	v_pk_fma_f16 v27, v24, v19, v27 op_sel:[0,1,0]
	;; [unrolled: 2-line block ×5, first 2 shown]
	v_pk_fma_f16 v80, v25, v19, v68 op_sel_hi:[1,0,1]
	v_pk_fma_f16 v81, v25, v20, v69 op_sel_hi:[1,0,1]
	ds_read2_b64 v[64:67], v16 offset0:64 offset1:96
	ds_read_b128 v[68:71], v54 offset:416
	s_mul_i32 s10, s10, s15
	v_pk_fma_f16 v26, v25, v21, v26 op_sel_hi:[1,0,1]
	s_lshl_b64 s[10:11], s[10:11], 2
	v_pk_fma_f16 v17, v25, v19, v17 op_sel:[0,1,0]
	s_waitcnt lgkmcnt(0)
	v_pk_fma_f16 v101, v64, v69, v27 op_sel:[0,1,0]
	v_pk_fma_f16 v110, v65, v71, v26 op_sel_hi:[1,0,1]
	v_mov_b32_e32 v27, s11
	v_add_co_u32_e32 v26, vcc, s10, v56
	v_pk_fma_f16 v72, v25, v20, v72 op_sel:[0,1,0]
	v_pk_fma_f16 v23, v25, v21, v23 op_sel:[0,1,0]
	v_addc_co_u32_e32 v27, vcc, v57, v27, vcc
	ds_read_b128 v[18:21], v54 offset:432
	v_pk_fma_f16 v84, v64, v68, v78 op_sel_hi:[1,0,1]
	v_pk_fma_f16 v86, v64, v68, v73 op_sel:[0,1,0]
	v_pk_fma_f16 v100, v64, v69, v74 op_sel_hi:[1,0,1]
	v_pk_fma_f16 v102, v64, v70, v75 op_sel_hi:[1,0,1]
	v_pk_fma_f16 v103, v64, v70, v76 op_sel:[0,1,0]
	v_pk_fma_f16 v104, v64, v71, v77 op_sel_hi:[1,0,1]
	v_pk_fma_f16 v64, v64, v71, v22 op_sel:[0,1,0]
	;; [unrolled: 2-line block ×5, first 2 shown]
	v_pk_fma_f16 v65, v65, v71, v23 op_sel:[0,1,0]
	ds_read2_b64 v[22:25], v16 offset0:128 offset1:160
	ds_read_b128 v[68:71], v54 offset:448
	ds_read_b128 v[72:75], v54 offset:464
	ds_read2_b64 v[76:79], v16 offset0:192 offset1:224
	ds_read_b128 v[80:83], v54 offset:480
	ds_read_b128 v[92:95], v54 offset:496
	s_waitcnt lgkmcnt(0)
	s_barrier
	global_load_dwordx4 v[96:99], v[26:27], off
	v_pk_fma_f16 v26, v66, v18, v84 op_sel_hi:[1,0,1]
	v_pk_fma_f16 v27, v66, v18, v86 op_sel:[0,1,0]
	v_pk_fma_f16 v84, v66, v19, v100 op_sel_hi:[1,0,1]
	v_pk_fma_f16 v86, v66, v19, v101 op_sel:[0,1,0]
	;; [unrolled: 2-line block ×39, first 2 shown]
	v_pk_fma_f16 v94, v79, v95, v66 op_sel_hi:[1,0,1]
	s_waitcnt vmcnt(0)
	ds_write_b128 v55, v[96:99]
	s_waitcnt lgkmcnt(0)
	s_barrier
	ds_read2_b64 v[18:21], v58 offset1:32
	ds_read_b128 v[22:25], v54 offset:512
	v_pk_fma_f16 v79, v79, v95, v69 op_sel:[0,1,0]
	ds_read_b128 v[64:67], v54 offset:528
	ds_read_b128 v[68:71], v54 offset:544
	;; [unrolled: 1-line block ×3, first 2 shown]
	s_or_b32 s10, s6, 48
	s_mul_hi_i32 s11, s10, s15
	s_waitcnt lgkmcnt(3)
	v_pk_fma_f16 v76, v18, v22, v76 op_sel_hi:[1,0,1]
	v_pk_fma_f16 v77, v18, v22, v77 op_sel:[0,1,0]
	v_pk_fma_f16 v26, v18, v23, v26 op_sel_hi:[1,0,1]
	v_pk_fma_f16 v27, v18, v23, v27 op_sel:[0,1,0]
	v_pk_fma_f16 v80, v18, v24, v80 op_sel_hi:[1,0,1]
	v_pk_fma_f16 v81, v18, v24, v81 op_sel:[0,1,0]
	v_pk_fma_f16 v82, v18, v25, v82 op_sel_hi:[1,0,1]
	v_pk_fma_f16 v18, v18, v25, v78 op_sel:[0,1,0]
	v_pk_fma_f16 v78, v19, v22, v83 op_sel_hi:[1,0,1]
	v_pk_fma_f16 v22, v19, v22, v84 op_sel:[0,1,0]
	v_pk_fma_f16 v83, v19, v23, v86 op_sel_hi:[1,0,1]
	v_pk_fma_f16 v17, v19, v23, v17 op_sel:[0,1,0]
	v_pk_fma_f16 v84, v19, v24, v92 op_sel_hi:[1,0,1]
	v_pk_fma_f16 v86, v19, v24, v93 op_sel:[0,1,0]
	v_pk_fma_f16 v92, v19, v25, v94 op_sel_hi:[1,0,1]
	v_pk_fma_f16 v19, v19, v25, v79 op_sel:[0,1,0]
	s_waitcnt lgkmcnt(2)
	v_pk_fma_f16 v76, v20, v64, v76 op_sel_hi:[1,0,1]
	v_pk_fma_f16 v77, v20, v64, v77 op_sel:[0,1,0]
	v_pk_fma_f16 v26, v20, v65, v26 op_sel_hi:[1,0,1]
	v_pk_fma_f16 v27, v20, v65, v27 op_sel:[0,1,0]
	;; [unrolled: 2-line block ×5, first 2 shown]
	ds_read2_b64 v[22:25], v58 offset0:64 offset1:96
	v_pk_fma_f16 v78, v21, v65, v83 op_sel_hi:[1,0,1]
	v_pk_fma_f16 v17, v21, v65, v17 op_sel:[0,1,0]
	v_pk_fma_f16 v65, v21, v66, v84 op_sel_hi:[1,0,1]
	v_pk_fma_f16 v66, v21, v66, v86 op_sel:[0,1,0]
	;; [unrolled: 2-line block ×3, first 2 shown]
	s_waitcnt lgkmcnt(0)
	v_pk_fma_f16 v21, v22, v68, v76 op_sel_hi:[1,0,1]
	v_pk_fma_f16 v67, v22, v68, v77 op_sel:[0,1,0]
	v_pk_fma_f16 v26, v22, v69, v26 op_sel_hi:[1,0,1]
	v_pk_fma_f16 v27, v22, v69, v27 op_sel:[0,1,0]
	v_pk_fma_f16 v76, v22, v70, v79 op_sel_hi:[1,0,1]
	v_pk_fma_f16 v77, v22, v70, v80 op_sel:[0,1,0]
	v_pk_fma_f16 v79, v22, v71, v81 op_sel_hi:[1,0,1]
	v_pk_fma_f16 v18, v22, v71, v18 op_sel:[0,1,0]
	v_pk_fma_f16 v20, v23, v68, v20 op_sel_hi:[1,0,1]
	v_pk_fma_f16 v22, v23, v68, v64 op_sel:[0,1,0]
	v_pk_fma_f16 v64, v23, v69, v78 op_sel_hi:[1,0,1]
	v_pk_fma_f16 v17, v23, v69, v17 op_sel:[0,1,0]
	v_pk_fma_f16 v65, v23, v70, v65 op_sel_hi:[1,0,1]
	v_pk_fma_f16 v68, v23, v70, v66 op_sel:[0,1,0]
	v_pk_fma_f16 v69, v23, v71, v82 op_sel_hi:[1,0,1]
	v_pk_fma_f16 v23, v23, v71, v19 op_sel:[0,1,0]
	v_pk_fma_f16 v70, v24, v72, v21 op_sel_hi:[1,0,1]
	v_pk_fma_f16 v71, v24, v72, v67 op_sel:[0,1,0]
	v_pk_fma_f16 v26, v24, v73, v26 op_sel_hi:[1,0,1]
	v_pk_fma_f16 v27, v24, v73, v27 op_sel:[0,1,0]
	v_pk_fma_f16 v78, v24, v75, v79 op_sel_hi:[1,0,1]
	v_pk_fma_f16 v79, v24, v75, v18 op_sel:[0,1,0]
	v_pk_fma_f16 v80, v25, v72, v20 op_sel_hi:[1,0,1]
	v_pk_fma_f16 v81, v25, v73, v64 op_sel_hi:[1,0,1]
	v_pk_fma_f16 v17, v25, v73, v17 op_sel:[0,1,0]
	v_pk_fma_f16 v73, v25, v74, v65 op_sel_hi:[1,0,1]
	ds_read2_b64 v[18:21], v58 offset0:128 offset1:160
	ds_read_b128 v[64:67], v54 offset:576
	v_pk_fma_f16 v76, v24, v74, v76 op_sel_hi:[1,0,1]
	v_pk_fma_f16 v77, v24, v74, v77 op_sel:[0,1,0]
	v_pk_fma_f16 v72, v25, v72, v22 op_sel:[0,1,0]
	;; [unrolled: 1-line block ×3, first 2 shown]
	v_pk_fma_f16 v69, v25, v75, v69 op_sel_hi:[1,0,1]
	v_pk_fma_f16 v74, v25, v75, v23 op_sel:[0,1,0]
	ds_read_b128 v[22:25], v54 offset:592
	s_waitcnt lgkmcnt(1)
	v_pk_fma_f16 v70, v18, v64, v70 op_sel_hi:[1,0,1]
	v_pk_fma_f16 v71, v18, v64, v71 op_sel:[0,1,0]
	v_pk_fma_f16 v26, v18, v65, v26 op_sel_hi:[1,0,1]
	v_pk_fma_f16 v27, v18, v65, v27 op_sel:[0,1,0]
	;; [unrolled: 2-line block ×3, first 2 shown]
	v_pk_fma_f16 v77, v18, v67, v78 op_sel_hi:[1,0,1]
	v_pk_fma_f16 v78, v19, v64, v80 op_sel_hi:[1,0,1]
	v_pk_fma_f16 v64, v19, v64, v72 op_sel:[0,1,0]
	v_pk_fma_f16 v72, v19, v65, v81 op_sel_hi:[1,0,1]
	v_pk_fma_f16 v17, v19, v65, v17 op_sel:[0,1,0]
	v_pk_fma_f16 v65, v19, v66, v73 op_sel_hi:[1,0,1]
	v_pk_fma_f16 v18, v18, v67, v79 op_sel:[0,1,0]
	v_pk_fma_f16 v73, v19, v66, v68 op_sel:[0,1,0]
	v_pk_fma_f16 v79, v19, v67, v69 op_sel_hi:[1,0,1]
	v_pk_fma_f16 v19, v19, v67, v74 op_sel:[0,1,0]
	s_waitcnt lgkmcnt(0)
	v_pk_fma_f16 v74, v20, v22, v70 op_sel_hi:[1,0,1]
	v_pk_fma_f16 v80, v20, v22, v71 op_sel:[0,1,0]
	v_pk_fma_f16 v26, v20, v23, v26 op_sel_hi:[1,0,1]
	v_pk_fma_f16 v27, v20, v23, v27 op_sel:[0,1,0]
	;; [unrolled: 2-line block ×4, first 2 shown]
	v_pk_fma_f16 v23, v21, v24, v65 op_sel_hi:[1,0,1]
	ds_read2_b64 v[64:67], v58 offset0:192 offset1:224
	ds_read_b128 v[68:71], v54 offset:608
	v_pk_fma_f16 v75, v20, v24, v75 op_sel_hi:[1,0,1]
	v_pk_fma_f16 v76, v20, v24, v76 op_sel:[0,1,0]
	v_pk_fma_f16 v77, v20, v25, v77 op_sel_hi:[1,0,1]
	v_pk_fma_f16 v81, v20, v25, v18 op_sel:[0,1,0]
	v_pk_fma_f16 v24, v21, v24, v73 op_sel:[0,1,0]
	v_pk_fma_f16 v73, v21, v25, v79 op_sel_hi:[1,0,1]
	v_pk_fma_f16 v25, v21, v25, v19 op_sel:[0,1,0]
	ds_read_b128 v[18:21], v54 offset:624
	s_waitcnt lgkmcnt(1)
	v_pk_fma_f16 v74, v64, v68, v74 op_sel_hi:[1,0,1]
	v_pk_fma_f16 v79, v64, v68, v80 op_sel:[0,1,0]
	v_pk_fma_f16 v26, v64, v69, v26 op_sel_hi:[1,0,1]
	v_pk_fma_f16 v27, v64, v69, v27 op_sel:[0,1,0]
	;; [unrolled: 2-line block ×5, first 2 shown]
	v_pk_fma_f16 v68, v65, v69, v72 op_sel_hi:[1,0,1]
	v_pk_fma_f16 v23, v65, v70, v23 op_sel_hi:[1,0,1]
	v_pk_fma_f16 v17, v65, v69, v17 op_sel:[0,1,0]
	v_pk_fma_f16 v72, v65, v70, v24 op_sel:[0,1,0]
	v_pk_fma_f16 v73, v65, v71, v73 op_sel_hi:[1,0,1]
	v_pk_fma_f16 v65, v65, v71, v25 op_sel:[0,1,0]
	s_waitcnt lgkmcnt(0)
	v_pk_fma_f16 v74, v66, v18, v74 op_sel_hi:[1,0,1]
	v_pk_fma_f16 v79, v66, v18, v79 op_sel:[0,1,0]
	v_pk_fma_f16 v26, v66, v19, v26 op_sel_hi:[1,0,1]
	v_pk_fma_f16 v27, v66, v19, v27 op_sel:[0,1,0]
	;; [unrolled: 2-line block ×5, first 2 shown]
	v_pk_fma_f16 v80, v67, v19, v68 op_sel_hi:[1,0,1]
	v_pk_fma_f16 v81, v67, v20, v23 op_sel_hi:[1,0,1]
	ds_read2_b64 v[22:25], v16 offset1:32
	ds_read_b128 v[68:71], v54 offset:640
	v_pk_fma_f16 v17, v67, v19, v17 op_sel:[0,1,0]
	v_pk_fma_f16 v72, v67, v20, v72 op_sel:[0,1,0]
	v_pk_fma_f16 v73, v67, v21, v73 op_sel_hi:[1,0,1]
	v_pk_fma_f16 v65, v67, v21, v65 op_sel:[0,1,0]
	ds_read_b128 v[18:21], v54 offset:656
	s_waitcnt lgkmcnt(1)
	v_pk_fma_f16 v67, v22, v68, v74 op_sel_hi:[1,0,1]
	v_pk_fma_f16 v74, v22, v68, v79 op_sel:[0,1,0]
	v_pk_fma_f16 v26, v22, v69, v26 op_sel_hi:[1,0,1]
	v_pk_fma_f16 v27, v22, v69, v27 op_sel:[0,1,0]
	;; [unrolled: 2-line block ×8, first 2 shown]
	s_waitcnt lgkmcnt(0)
	v_pk_fma_f16 v78, v24, v18, v67 op_sel_hi:[1,0,1]
	v_pk_fma_f16 v74, v24, v18, v74 op_sel:[0,1,0]
	v_pk_fma_f16 v26, v24, v19, v26 op_sel_hi:[1,0,1]
	v_pk_fma_f16 v27, v24, v19, v27 op_sel:[0,1,0]
	;; [unrolled: 2-line block ×5, first 2 shown]
	v_pk_fma_f16 v80, v25, v19, v68 op_sel_hi:[1,0,1]
	v_pk_fma_f16 v81, v25, v20, v69 op_sel_hi:[1,0,1]
	ds_read2_b64 v[64:67], v16 offset0:64 offset1:96
	ds_read_b128 v[68:71], v54 offset:672
	s_mul_i32 s10, s10, s15
	s_lshl_b64 s[10:11], s[10:11], 2
	v_pk_fma_f16 v17, v25, v19, v17 op_sel:[0,1,0]
	v_pk_fma_f16 v72, v25, v20, v72 op_sel:[0,1,0]
	s_waitcnt lgkmcnt(0)
	v_pk_fma_f16 v100, v64, v69, v26 op_sel_hi:[1,0,1]
	v_pk_fma_f16 v101, v64, v69, v27 op_sel:[0,1,0]
	v_mov_b32_e32 v27, s11
	v_add_co_u32_e32 v26, vcc, s10, v56
	v_pk_fma_f16 v73, v25, v21, v73 op_sel_hi:[1,0,1]
	v_pk_fma_f16 v23, v25, v21, v23 op_sel:[0,1,0]
	v_addc_co_u32_e32 v27, vcc, v57, v27, vcc
	ds_read_b128 v[18:21], v54 offset:688
	v_pk_fma_f16 v84, v64, v68, v78 op_sel_hi:[1,0,1]
	v_pk_fma_f16 v86, v64, v68, v74 op_sel:[0,1,0]
	v_pk_fma_f16 v102, v64, v70, v75 op_sel_hi:[1,0,1]
	v_pk_fma_f16 v103, v64, v70, v76 op_sel:[0,1,0]
	;; [unrolled: 2-line block ×7, first 2 shown]
	ds_read2_b64 v[22:25], v16 offset0:128 offset1:160
	ds_read_b128 v[68:71], v54 offset:704
	ds_read_b128 v[72:75], v54 offset:720
	ds_read2_b64 v[76:79], v16 offset0:192 offset1:224
	ds_read_b128 v[80:83], v54 offset:736
	ds_read_b128 v[92:95], v54 offset:752
	s_waitcnt lgkmcnt(0)
	s_barrier
	global_load_dwordx4 v[96:99], v[26:27], off
	v_pk_fma_f16 v26, v66, v18, v84 op_sel_hi:[1,0,1]
	v_pk_fma_f16 v27, v66, v18, v86 op_sel:[0,1,0]
	v_pk_fma_f16 v84, v66, v19, v100 op_sel_hi:[1,0,1]
	v_pk_fma_f16 v86, v66, v19, v101 op_sel:[0,1,0]
	;; [unrolled: 2-line block ×39, first 2 shown]
	v_pk_fma_f16 v94, v79, v95, v66 op_sel_hi:[1,0,1]
	s_waitcnt vmcnt(0)
	ds_write_b128 v55, v[96:99]
	s_waitcnt lgkmcnt(0)
	s_barrier
	ds_read2_b64 v[18:21], v58 offset1:32
	ds_read_b128 v[22:25], v54 offset:768
	v_pk_fma_f16 v79, v79, v95, v69 op_sel:[0,1,0]
	ds_read_b128 v[64:67], v54 offset:784
	ds_read_b128 v[68:71], v54 offset:800
	;; [unrolled: 1-line block ×3, first 2 shown]
	s_waitcnt lgkmcnt(3)
	v_pk_fma_f16 v76, v18, v22, v76 op_sel_hi:[1,0,1]
	v_pk_fma_f16 v77, v18, v22, v77 op_sel:[0,1,0]
	v_pk_fma_f16 v26, v18, v23, v26 op_sel_hi:[1,0,1]
	v_pk_fma_f16 v27, v18, v23, v27 op_sel:[0,1,0]
	;; [unrolled: 2-line block ×8, first 2 shown]
	s_waitcnt lgkmcnt(2)
	v_pk_fma_f16 v76, v20, v64, v76 op_sel_hi:[1,0,1]
	v_pk_fma_f16 v77, v20, v64, v77 op_sel:[0,1,0]
	v_pk_fma_f16 v26, v20, v65, v26 op_sel_hi:[1,0,1]
	v_pk_fma_f16 v27, v20, v65, v27 op_sel:[0,1,0]
	;; [unrolled: 2-line block ×5, first 2 shown]
	ds_read2_b64 v[22:25], v58 offset0:64 offset1:96
	v_pk_fma_f16 v78, v21, v65, v83 op_sel_hi:[1,0,1]
	v_pk_fma_f16 v17, v21, v65, v17 op_sel:[0,1,0]
	v_pk_fma_f16 v65, v21, v66, v84 op_sel_hi:[1,0,1]
	v_pk_fma_f16 v66, v21, v66, v86 op_sel:[0,1,0]
	;; [unrolled: 2-line block ×3, first 2 shown]
	s_waitcnt lgkmcnt(0)
	v_pk_fma_f16 v21, v22, v68, v76 op_sel_hi:[1,0,1]
	v_pk_fma_f16 v67, v22, v68, v77 op_sel:[0,1,0]
	v_pk_fma_f16 v26, v22, v69, v26 op_sel_hi:[1,0,1]
	v_pk_fma_f16 v27, v22, v69, v27 op_sel:[0,1,0]
	v_pk_fma_f16 v76, v22, v70, v79 op_sel_hi:[1,0,1]
	v_pk_fma_f16 v77, v22, v70, v80 op_sel:[0,1,0]
	v_pk_fma_f16 v79, v22, v71, v81 op_sel_hi:[1,0,1]
	v_pk_fma_f16 v18, v22, v71, v18 op_sel:[0,1,0]
	v_pk_fma_f16 v20, v23, v68, v20 op_sel_hi:[1,0,1]
	v_pk_fma_f16 v22, v23, v68, v64 op_sel:[0,1,0]
	v_pk_fma_f16 v64, v23, v69, v78 op_sel_hi:[1,0,1]
	v_pk_fma_f16 v17, v23, v69, v17 op_sel:[0,1,0]
	v_pk_fma_f16 v65, v23, v70, v65 op_sel_hi:[1,0,1]
	v_pk_fma_f16 v68, v23, v70, v66 op_sel:[0,1,0]
	v_pk_fma_f16 v69, v23, v71, v82 op_sel_hi:[1,0,1]
	v_pk_fma_f16 v23, v23, v71, v19 op_sel:[0,1,0]
	v_pk_fma_f16 v70, v24, v72, v21 op_sel_hi:[1,0,1]
	v_pk_fma_f16 v71, v24, v72, v67 op_sel:[0,1,0]
	v_pk_fma_f16 v26, v24, v73, v26 op_sel_hi:[1,0,1]
	v_pk_fma_f16 v27, v24, v73, v27 op_sel:[0,1,0]
	v_pk_fma_f16 v78, v24, v75, v79 op_sel_hi:[1,0,1]
	v_pk_fma_f16 v79, v24, v75, v18 op_sel:[0,1,0]
	v_pk_fma_f16 v80, v25, v72, v20 op_sel_hi:[1,0,1]
	v_pk_fma_f16 v81, v25, v73, v64 op_sel_hi:[1,0,1]
	v_pk_fma_f16 v17, v25, v73, v17 op_sel:[0,1,0]
	v_pk_fma_f16 v73, v25, v74, v65 op_sel_hi:[1,0,1]
	ds_read2_b64 v[18:21], v58 offset0:128 offset1:160
	ds_read_b128 v[64:67], v54 offset:832
	v_pk_fma_f16 v76, v24, v74, v76 op_sel_hi:[1,0,1]
	v_pk_fma_f16 v77, v24, v74, v77 op_sel:[0,1,0]
	v_pk_fma_f16 v72, v25, v72, v22 op_sel:[0,1,0]
	;; [unrolled: 1-line block ×3, first 2 shown]
	v_pk_fma_f16 v69, v25, v75, v69 op_sel_hi:[1,0,1]
	v_pk_fma_f16 v74, v25, v75, v23 op_sel:[0,1,0]
	ds_read_b128 v[22:25], v54 offset:848
	s_waitcnt lgkmcnt(1)
	v_pk_fma_f16 v70, v18, v64, v70 op_sel_hi:[1,0,1]
	v_pk_fma_f16 v71, v18, v64, v71 op_sel:[0,1,0]
	v_pk_fma_f16 v26, v18, v65, v26 op_sel_hi:[1,0,1]
	v_pk_fma_f16 v27, v18, v65, v27 op_sel:[0,1,0]
	;; [unrolled: 2-line block ×3, first 2 shown]
	v_pk_fma_f16 v77, v18, v67, v78 op_sel_hi:[1,0,1]
	v_pk_fma_f16 v78, v19, v64, v80 op_sel_hi:[1,0,1]
	v_pk_fma_f16 v64, v19, v64, v72 op_sel:[0,1,0]
	v_pk_fma_f16 v72, v19, v65, v81 op_sel_hi:[1,0,1]
	v_pk_fma_f16 v17, v19, v65, v17 op_sel:[0,1,0]
	;; [unrolled: 2-line block ×3, first 2 shown]
	v_pk_fma_f16 v73, v19, v66, v68 op_sel:[0,1,0]
	v_pk_fma_f16 v79, v19, v67, v69 op_sel_hi:[1,0,1]
	v_pk_fma_f16 v19, v19, v67, v74 op_sel:[0,1,0]
	s_waitcnt lgkmcnt(0)
	v_pk_fma_f16 v74, v20, v22, v70 op_sel_hi:[1,0,1]
	v_pk_fma_f16 v80, v20, v22, v71 op_sel:[0,1,0]
	v_pk_fma_f16 v26, v20, v23, v26 op_sel_hi:[1,0,1]
	v_pk_fma_f16 v27, v20, v23, v27 op_sel:[0,1,0]
	;; [unrolled: 2-line block ×4, first 2 shown]
	v_pk_fma_f16 v23, v21, v24, v65 op_sel_hi:[1,0,1]
	ds_read2_b64 v[64:67], v58 offset0:192 offset1:224
	ds_read_b128 v[68:71], v54 offset:864
	v_pk_fma_f16 v75, v20, v24, v75 op_sel_hi:[1,0,1]
	v_pk_fma_f16 v76, v20, v24, v76 op_sel:[0,1,0]
	v_pk_fma_f16 v77, v20, v25, v77 op_sel_hi:[1,0,1]
	v_pk_fma_f16 v81, v20, v25, v18 op_sel:[0,1,0]
	v_pk_fma_f16 v24, v21, v24, v73 op_sel:[0,1,0]
	v_pk_fma_f16 v73, v21, v25, v79 op_sel_hi:[1,0,1]
	v_pk_fma_f16 v25, v21, v25, v19 op_sel:[0,1,0]
	ds_read_b128 v[18:21], v54 offset:880
	s_waitcnt lgkmcnt(1)
	v_pk_fma_f16 v74, v64, v68, v74 op_sel_hi:[1,0,1]
	v_pk_fma_f16 v79, v64, v68, v80 op_sel:[0,1,0]
	v_pk_fma_f16 v26, v64, v69, v26 op_sel_hi:[1,0,1]
	v_pk_fma_f16 v27, v64, v69, v27 op_sel:[0,1,0]
	;; [unrolled: 2-line block ×5, first 2 shown]
	v_pk_fma_f16 v68, v65, v69, v72 op_sel_hi:[1,0,1]
	v_pk_fma_f16 v23, v65, v70, v23 op_sel_hi:[1,0,1]
	v_pk_fma_f16 v17, v65, v69, v17 op_sel:[0,1,0]
	v_pk_fma_f16 v72, v65, v70, v24 op_sel:[0,1,0]
	v_pk_fma_f16 v73, v65, v71, v73 op_sel_hi:[1,0,1]
	v_pk_fma_f16 v65, v65, v71, v25 op_sel:[0,1,0]
	s_waitcnt lgkmcnt(0)
	v_pk_fma_f16 v74, v66, v18, v74 op_sel_hi:[1,0,1]
	v_pk_fma_f16 v79, v66, v18, v79 op_sel:[0,1,0]
	v_pk_fma_f16 v26, v66, v19, v26 op_sel_hi:[1,0,1]
	v_pk_fma_f16 v27, v66, v19, v27 op_sel:[0,1,0]
	v_pk_fma_f16 v75, v66, v20, v75 op_sel_hi:[1,0,1]
	v_pk_fma_f16 v76, v66, v20, v76 op_sel:[0,1,0]
	v_pk_fma_f16 v77, v66, v21, v77 op_sel_hi:[1,0,1]
	v_pk_fma_f16 v64, v66, v21, v64 op_sel:[0,1,0]
	v_pk_fma_f16 v66, v67, v18, v78 op_sel_hi:[1,0,1]
	v_pk_fma_f16 v78, v67, v18, v22 op_sel:[0,1,0]
	v_pk_fma_f16 v80, v67, v19, v68 op_sel_hi:[1,0,1]
	v_pk_fma_f16 v81, v67, v20, v23 op_sel_hi:[1,0,1]
	ds_read2_b64 v[22:25], v16 offset1:32
	ds_read_b128 v[68:71], v54 offset:896
	v_pk_fma_f16 v17, v67, v19, v17 op_sel:[0,1,0]
	v_pk_fma_f16 v72, v67, v20, v72 op_sel:[0,1,0]
	v_pk_fma_f16 v73, v67, v21, v73 op_sel_hi:[1,0,1]
	v_pk_fma_f16 v65, v67, v21, v65 op_sel:[0,1,0]
	ds_read_b128 v[18:21], v54 offset:912
	s_waitcnt lgkmcnt(1)
	v_pk_fma_f16 v67, v22, v68, v74 op_sel_hi:[1,0,1]
	v_pk_fma_f16 v74, v22, v68, v79 op_sel:[0,1,0]
	v_pk_fma_f16 v26, v22, v69, v26 op_sel_hi:[1,0,1]
	v_pk_fma_f16 v27, v22, v69, v27 op_sel:[0,1,0]
	;; [unrolled: 2-line block ×8, first 2 shown]
	s_waitcnt lgkmcnt(0)
	v_pk_fma_f16 v78, v24, v18, v67 op_sel_hi:[1,0,1]
	v_pk_fma_f16 v74, v24, v18, v74 op_sel:[0,1,0]
	v_pk_fma_f16 v26, v24, v19, v26 op_sel_hi:[1,0,1]
	v_pk_fma_f16 v27, v24, v19, v27 op_sel:[0,1,0]
	;; [unrolled: 2-line block ×5, first 2 shown]
	v_pk_fma_f16 v80, v25, v19, v68 op_sel_hi:[1,0,1]
	v_pk_fma_f16 v81, v25, v20, v69 op_sel_hi:[1,0,1]
	ds_read2_b64 v[64:67], v16 offset0:64 offset1:96
	ds_read_b128 v[68:71], v54 offset:928
	v_pk_fma_f16 v17, v25, v19, v17 op_sel:[0,1,0]
	v_pk_fma_f16 v72, v25, v20, v72 op_sel:[0,1,0]
	v_pk_fma_f16 v73, v25, v21, v73 op_sel_hi:[1,0,1]
	v_pk_fma_f16 v23, v25, v21, v23 op_sel:[0,1,0]
	ds_read_b128 v[18:21], v54 offset:944
	s_waitcnt lgkmcnt(1)
	v_pk_fma_f16 v25, v64, v68, v78 op_sel_hi:[1,0,1]
	v_pk_fma_f16 v74, v64, v68, v74 op_sel:[0,1,0]
	v_pk_fma_f16 v26, v64, v69, v26 op_sel_hi:[1,0,1]
	v_pk_fma_f16 v27, v64, v69, v27 op_sel:[0,1,0]
	;; [unrolled: 2-line block ×8, first 2 shown]
	s_waitcnt lgkmcnt(0)
	v_pk_fma_f16 v78, v66, v18, v25 op_sel_hi:[1,0,1]
	v_pk_fma_f16 v74, v66, v18, v74 op_sel:[0,1,0]
	v_pk_fma_f16 v26, v66, v19, v26 op_sel_hi:[1,0,1]
	v_pk_fma_f16 v27, v66, v19, v27 op_sel:[0,1,0]
	;; [unrolled: 2-line block ×4, first 2 shown]
	v_pk_fma_f16 v79, v67, v18, v24 op_sel_hi:[1,0,1]
	v_pk_fma_f16 v80, v67, v19, v68 op_sel_hi:[1,0,1]
	;; [unrolled: 1-line block ×3, first 2 shown]
	ds_read2_b64 v[22:25], v16 offset0:128 offset1:160
	ds_read_b128 v[68:71], v54 offset:960
	v_pk_fma_f16 v64, v67, v18, v64 op_sel:[0,1,0]
	v_pk_fma_f16 v17, v67, v19, v17 op_sel:[0,1,0]
	;; [unrolled: 1-line block ×3, first 2 shown]
	v_pk_fma_f16 v73, v67, v21, v73 op_sel_hi:[1,0,1]
	v_pk_fma_f16 v65, v67, v21, v65 op_sel:[0,1,0]
	ds_read_b128 v[18:21], v54 offset:976
	s_waitcnt lgkmcnt(1)
	v_pk_fma_f16 v67, v22, v68, v78 op_sel_hi:[1,0,1]
	v_pk_fma_f16 v74, v22, v68, v74 op_sel:[0,1,0]
	v_pk_fma_f16 v26, v22, v69, v26 op_sel_hi:[1,0,1]
	v_pk_fma_f16 v27, v22, v69, v27 op_sel:[0,1,0]
	;; [unrolled: 2-line block ×8, first 2 shown]
	s_waitcnt lgkmcnt(0)
	v_pk_fma_f16 v71, v24, v18, v67 op_sel_hi:[1,0,1]
	v_pk_fma_f16 v73, v24, v18, v74 op_sel:[0,1,0]
	v_pk_fma_f16 v26, v24, v19, v26 op_sel_hi:[1,0,1]
	v_pk_fma_f16 v27, v24, v19, v27 op_sel:[0,1,0]
	;; [unrolled: 2-line block ×6, first 2 shown]
	v_pk_fma_f16 v69, v25, v20, v69 op_sel_hi:[1,0,1]
	ds_read2_b64 v[16:19], v16 offset0:192 offset1:224
	ds_read_b128 v[64:67], v54 offset:992
	v_pk_fma_f16 v70, v25, v20, v70 op_sel:[0,1,0]
	v_pk_fma_f16 v72, v25, v21, v72 op_sel_hi:[1,0,1]
	v_pk_fma_f16 v25, v25, v21, v23 op_sel:[0,1,0]
	ds_read_b128 v[20:23], v54 offset:1008
	s_waitcnt lgkmcnt(0)
	s_barrier
	s_load_dword s10, s[0:1], 0x4
	v_pk_fma_f16 v71, v16, v64, v71 op_sel_hi:[1,0,1]
	v_pk_fma_f16 v73, v16, v64, v73 op_sel:[0,1,0]
	v_pk_fma_f16 v26, v16, v65, v26 op_sel_hi:[1,0,1]
	v_pk_fma_f16 v27, v16, v65, v27 op_sel:[0,1,0]
	s_waitcnt lgkmcnt(0)
	s_lshl_b32 s10, s10, 6
	v_pk_fma_f16 v74, v16, v66, v74 op_sel_hi:[1,0,1]
	v_pk_fma_f16 v80, v16, v66, v75 op_sel:[0,1,0]
	v_pk_fma_f16 v76, v16, v67, v76 op_sel_hi:[1,0,1]
	v_pk_fma_f16 v16, v16, v67, v24 op_sel:[0,1,0]
	;; [unrolled: 2-line block ×6, first 2 shown]
	s_add_i32 s6, s10, s6
	v_pk_fma_f16 v78, v18, v20, v71 op_sel_hi:[1,0,1]
	v_pk_fma_f16 v77, v18, v20, v73 op_sel:[0,1,0]
	v_pk_fma_f16 v75, v18, v21, v26 op_sel_hi:[1,0,1]
	v_pk_fma_f16 v70, v18, v21, v27 op_sel:[0,1,0]
	;; [unrolled: 2-line block ×7, first 2 shown]
	v_pk_fma_f16 v73, v19, v23, v84 op_sel_hi:[1,0,1]
	s_cmp_ge_i32 s6, s30
	v_pk_fma_f16 v68, v19, v23, v17 op_sel:[0,1,0]
	s_cbranch_scc1 .LBB80_75
; %bb.74:                               ;   in Loop: Header=BB80_9 Depth=1
	v_mov_b32_e32 v20, v0
	v_mov_b32_e32 v21, v1
	;; [unrolled: 1-line block ×8, first 2 shown]
	s_branch .LBB80_9
.LBB80_75:
	v_cmp_lt_i32_e32 vcc, v88, v85
	v_cndmask_b32_e32 v16, v44, v88, vcc
	v_cmp_lt_i32_e32 vcc, v91, v85
	v_cndmask_b32_e32 v18, v44, v91, vcc
	v_cmp_lt_i32_e32 vcc, v90, v85
	v_lshlrev_b32_e32 v21, 2, v16
	v_lshlrev_b32_e32 v24, 2, v18
	v_cndmask_b32_e32 v18, v44, v90, vcc
	v_lshlrev_b32_e32 v25, 2, v18
	ds_bpermute_b32 v18, v21, v14
	ds_bpermute_b32 v19, v21, v15
	ds_bpermute_b32 v16, v21, v12
	ds_bpermute_b32 v17, v21, v13
	ds_bpermute_b32 v22, v21, v8
	ds_bpermute_b32 v23, v21, v9
	s_waitcnt lgkmcnt(4)
	v_pk_add_f32 v[14:15], v[14:15], v[18:19]
	ds_bpermute_b32 v18, v24, v14
	ds_bpermute_b32 v19, v24, v15
	v_cmp_lt_i32_e32 vcc, v89, v85
	s_waitcnt lgkmcnt(4)
	v_pk_add_f32 v[12:13], v[12:13], v[16:17]
	v_cndmask_b32_e32 v20, v44, v89, vcc
	v_cmp_lt_i32_e32 vcc, v87, v85
	s_waitcnt lgkmcnt(0)
	v_pk_add_f32 v[14:15], v[14:15], v[18:19]
	ds_bpermute_b32 v18, v25, v14
	ds_bpermute_b32 v19, v25, v15
	v_pk_add_f32 v[8:9], v[8:9], v[22:23]
	ds_bpermute_b32 v16, v24, v12
	ds_bpermute_b32 v17, v24, v13
	v_lshlrev_b32_e32 v26, 2, v20
	s_waitcnt lgkmcnt(2)
	v_pk_add_f32 v[14:15], v[14:15], v[18:19]
	ds_bpermute_b32 v18, v21, v10
	ds_bpermute_b32 v19, v21, v11
	v_cndmask_b32_e32 v20, v44, v87, vcc
	ds_bpermute_b32 v22, v24, v8
	ds_bpermute_b32 v23, v24, v9
	v_lshlrev_b32_e32 v27, 2, v20
	s_waitcnt lgkmcnt(2)
	v_pk_add_f32 v[10:11], v[10:11], v[18:19]
	ds_bpermute_b32 v18, v24, v10
	ds_bpermute_b32 v19, v24, v11
	;; [unrolled: 1-line block ×4, first 2 shown]
	v_pk_add_f32 v[12:13], v[12:13], v[16:17]
	s_waitcnt lgkmcnt(4)
	v_pk_add_f32 v[8:9], v[8:9], v[22:23]
	s_waitcnt lgkmcnt(2)
	v_pk_add_f32 v[10:11], v[10:11], v[18:19]
	ds_bpermute_b32 v16, v25, v12
	ds_bpermute_b32 v17, v25, v13
	s_waitcnt lgkmcnt(2)
	v_pk_add_f32 v[14:15], v[14:15], v[20:21]
	ds_bpermute_b32 v18, v25, v10
	ds_bpermute_b32 v19, v25, v11
	;; [unrolled: 1-line block ×4, first 2 shown]
	s_waitcnt lgkmcnt(4)
	v_pk_add_f32 v[12:13], v[12:13], v[16:17]
	ds_bpermute_b32 v16, v26, v12
	s_waitcnt lgkmcnt(3)
	v_pk_add_f32 v[10:11], v[10:11], v[18:19]
	ds_bpermute_b32 v17, v26, v13
	;; [unrolled: 3-line block ×3, first 2 shown]
	ds_bpermute_b32 v19, v26, v11
	ds_bpermute_b32 v20, v26, v8
	;; [unrolled: 1-line block ×3, first 2 shown]
	s_waitcnt lgkmcnt(4)
	v_pk_add_f32 v[12:13], v[12:13], v[16:17]
	ds_bpermute_b32 v16, v27, v12
	s_waitcnt lgkmcnt(3)
	v_pk_add_f32 v[10:11], v[10:11], v[18:19]
	ds_bpermute_b32 v17, v27, v13
	s_waitcnt lgkmcnt(2)
	v_pk_add_f32 v[8:9], v[8:9], v[20:21]
	ds_bpermute_b32 v24, v27, v14
	ds_bpermute_b32 v25, v27, v15
	ds_bpermute_b32 v18, v27, v10
	;; [unrolled: 1-line block ×5, first 2 shown]
	s_cmp_lg_u64 s[16:17], 0
	s_cselect_b64 s[0:1], -1, 0
	s_cmp_eq_u32 s7, 0
	s_cselect_b64 s[8:9], -1, 0
	s_and_b64 s[0:1], s[8:9], s[0:1]
	s_waitcnt lgkmcnt(6)
	v_pk_add_f32 v[22:23], v[12:13], v[16:17]
	s_waitcnt lgkmcnt(4)
	v_pk_add_f32 v[20:21], v[14:15], v[24:25]
	;; [unrolled: 2-line block ×4, first 2 shown]
	s_and_b64 vcc, exec, s[0:1]
	s_cbranch_vccz .LBB80_77
; %bb.76:
	s_ashr_i32 s29, s28, 31
	s_lshl_b64 s[0:1], s[28:29], 2
	s_add_u32 s0, s16, s0
	s_addc_u32 s1, s17, s1
	v_mov_b32_e32 v8, 0
	global_load_dwordx2 v[24:25], v8, s[0:1]
	v_max_f32_e32 v8, v1, v1
	v_max_f32_e32 v10, v0, v0
	s_mov_b32 s6, 0x3fb8aa3b
	v_max_f32_e32 v12, v2, v2
	v_max_f32_e32 v11, v3, v3
	s_mov_b32 s1, 0xc2ce8ed0
	s_mov_b32 s0, 0x42b17218
	v_mov_b32_e32 v26, 0x7f800000
	s_waitcnt vmcnt(0)
	v_max_f32_e32 v14, v25, v25
	v_max_f32_e32 v27, v24, v24
	;; [unrolled: 1-line block ×4, first 2 shown]
	v_pk_add_f32 v[0:1], v[0:1], v[8:9] neg_lo:[0,1] neg_hi:[0,1]
	v_mul_f32_e32 v15, 0x3fb8aa3b, v1
	v_max_f32_e32 v10, v12, v27
	v_pk_add_f32 v[12:13], v[24:25], v[8:9] neg_lo:[0,1] neg_hi:[0,1]
	v_mul_f32_e32 v44, 0x3fb8aa3b, v0
	v_fma_f32 v49, v1, s6, -v15
	v_rndne_f32_e32 v50, v15
	v_max_f32_e32 v11, v11, v14
	v_mul_f32_e32 v45, 0x3fb8aa3b, v13
	v_fma_f32 v51, v0, s6, -v44
	v_rndne_f32_e32 v52, v44
	v_fmac_f32_e32 v49, 0x32a5705f, v1
	v_sub_f32_e32 v15, v15, v50
	v_pk_add_f32 v[2:3], v[2:3], v[10:11] neg_lo:[0,1] neg_hi:[0,1]
	v_mul_f32_e32 v46, 0x3fb8aa3b, v12
	v_fma_f32 v53, v13, s6, -v45
	v_rndne_f32_e32 v54, v45
	v_fmac_f32_e32 v51, 0x32a5705f, v0
	v_sub_f32_e32 v44, v44, v52
	v_add_f32_e32 v15, v15, v49
	v_mul_f32_e32 v47, 0x3fb8aa3b, v3
	v_fma_f32 v55, v12, s6, -v46
	v_rndne_f32_e32 v56, v46
	v_cvt_i32_f32_e32 v50, v50
	v_fmac_f32_e32 v53, 0x32a5705f, v13
	v_sub_f32_e32 v45, v45, v54
	v_add_f32_e32 v44, v44, v51
	v_exp_f32_e32 v15, v15
	v_fma_f32 v57, v3, s6, -v47
	v_rndne_f32_e32 v58, v47
	v_cvt_i32_f32_e32 v52, v52
	v_fmac_f32_e32 v55, 0x32a5705f, v12
	v_sub_f32_e32 v46, v46, v56
	v_add_f32_e32 v45, v45, v53
	v_exp_f32_e32 v44, v44
	v_cvt_i32_f32_e32 v54, v54
	v_fmac_f32_e32 v57, 0x32a5705f, v3
	v_sub_f32_e32 v47, v47, v58
	v_add_f32_e32 v46, v46, v55
	v_exp_f32_e32 v45, v45
	v_cvt_i32_f32_e32 v56, v56
	v_add_f32_e32 v47, v47, v57
	v_exp_f32_e32 v46, v46
	v_cvt_i32_f32_e32 v58, v58
	v_exp_f32_e32 v47, v47
	v_ldexp_f32 v15, v15, v50
	v_cmp_ngt_f32_e32 vcc, s1, v1
	v_ldexp_f32 v44, v44, v52
	v_cndmask_b32_e32 v15, 0, v15, vcc
	v_cmp_ngt_f32_e32 vcc, s1, v0
	v_ldexp_f32 v45, v45, v54
	v_cndmask_b32_e32 v44, 0, v44, vcc
	;; [unrolled: 3-line block ×3, first 2 shown]
	v_cmp_ngt_f32_e32 vcc, s1, v12
	v_mul_f32_e32 v48, 0x3fb8aa3b, v2
	v_ldexp_f32 v47, v47, v58
	v_cndmask_b32_e32 v46, 0, v46, vcc
	v_cmp_ngt_f32_e32 vcc, s1, v3
	v_fma_f32 v59, v2, s6, -v48
	v_rndne_f32_e32 v60, v48
	v_cndmask_b32_e32 v47, 0, v47, vcc
	v_cmp_nlt_f32_e32 vcc, s0, v1
	v_fmac_f32_e32 v59, 0x32a5705f, v2
	v_sub_f32_e32 v48, v48, v60
	v_cndmask_b32_e32 v1, v26, v15, vcc
	v_cmp_nlt_f32_e32 vcc, s0, v0
	v_add_f32_e32 v48, v48, v59
	v_cndmask_b32_e32 v0, v26, v44, vcc
	v_cmp_nlt_f32_e32 vcc, s0, v13
	v_cvt_i32_f32_e32 v60, v60
	v_exp_f32_e32 v48, v48
	v_cndmask_b32_e32 v13, v26, v45, vcc
	v_cvt_f16_f32_e32 v15, v0
	v_cmp_nlt_f32_e32 vcc, s0, v12
	v_cvt_f16_f32_e32 v44, v1
	v_cndmask_b32_e32 v12, v26, v46, vcc
	v_pk_fma_f32 v[22:23], v[22:23], v[0:1], v[12:13]
	v_pk_add_f32 v[12:13], v[24:25], v[10:11] neg_lo:[0,1] neg_hi:[0,1]
	v_mul_f32_e32 v1, 0x3fb8aa3b, v13
	v_ldexp_f32 v48, v48, v60
	v_pk_mul_f16 v78, v15, v78 op_sel_hi:[0,1]
	v_pk_mul_f16 v79, v15, v79 op_sel_hi:[0,1]
	;; [unrolled: 1-line block ×4, first 2 shown]
	v_cmp_ngt_f32_e32 vcc, s1, v2
	v_fma_f32 v15, v13, s6, -v1
	v_rndne_f32_e32 v44, v1
	v_cndmask_b32_e32 v0, 0, v48, vcc
	v_cmp_nlt_f32_e32 vcc, s0, v2
	v_fmac_f32_e32 v15, 0x32a5705f, v13
	v_sub_f32_e32 v1, v1, v44
	v_cndmask_b32_e32 v0, v26, v0, vcc
	v_add_f32_e32 v1, v1, v15
	v_cvt_f16_f32_e32 v2, v0
	v_exp_f32_e32 v15, v1
	v_cvt_i32_f32_e32 v44, v44
	v_cmp_nlt_f32_e32 vcc, s0, v3
	v_mul_f32_e32 v3, 0x3fb8aa3b, v12
	v_pk_mul_f16 v75, v2, v75 op_sel_hi:[0,1]
	v_pk_mul_f16 v74, v2, v74 op_sel_hi:[0,1]
	v_ldexp_f32 v2, v15, v44
	v_fma_f32 v15, v12, s6, -v3
	v_rndne_f32_e32 v44, v3
	v_fmac_f32_e32 v15, 0x32a5705f, v12
	v_sub_f32_e32 v3, v3, v44
	v_add_f32_e32 v3, v3, v15
	v_exp_f32_e32 v15, v3
	v_cvt_i32_f32_e32 v44, v44
	v_cndmask_b32_e32 v1, v26, v47, vcc
	v_cmp_ngt_f32_e32 vcc, s1, v13
	v_cndmask_b32_e32 v2, 0, v2, vcc
	v_cmp_nlt_f32_e32 vcc, s0, v13
	v_cndmask_b32_e32 v3, v26, v2, vcc
	v_ldexp_f32 v2, v15, v44
	v_cmp_ngt_f32_e32 vcc, s1, v12
	v_cvt_f16_f32_e32 v13, v1
	v_cndmask_b32_e32 v2, 0, v2, vcc
	v_cmp_nlt_f32_e32 vcc, s0, v12
	v_cndmask_b32_e32 v2, v26, v2, vcc
	v_pk_fma_f32 v[20:21], v[20:21], v[0:1], v[2:3]
	v_max_f32_e32 v0, v5, v5
	v_pk_mul_f16 v70, v13, v70 op_sel_hi:[0,1]
	v_pk_mul_f16 v71, v13, v71 op_sel_hi:[0,1]
	v_max_f32_e32 v13, v0, v14
	v_max_f32_e32 v0, v4, v4
	;; [unrolled: 1-line block ×3, first 2 shown]
	v_pk_add_f32 v[0:1], v[4:5], v[12:13] neg_lo:[0,1] neg_hi:[0,1]
	v_mul_f32_e32 v2, 0x3fb8aa3b, v1
	v_fma_f32 v3, v1, s6, -v2
	v_rndne_f32_e32 v4, v2
	v_fmac_f32_e32 v3, 0x32a5705f, v1
	v_sub_f32_e32 v2, v2, v4
	v_add_f32_e32 v2, v2, v3
	v_cvt_i32_f32_e32 v3, v4
	v_mul_f32_e32 v4, 0x3fb8aa3b, v0
	v_fma_f32 v5, v0, s6, -v4
	v_rndne_f32_e32 v15, v4
	v_fmac_f32_e32 v5, 0x32a5705f, v0
	v_sub_f32_e32 v4, v4, v15
	v_exp_f32_e32 v2, v2
	v_add_f32_e32 v4, v4, v5
	v_exp_f32_e32 v4, v4
	v_cvt_i32_f32_e32 v5, v15
	v_ldexp_f32 v2, v2, v3
	v_cmp_ngt_f32_e32 vcc, s1, v1
	v_cndmask_b32_e32 v15, 0, v2, vcc
	v_ldexp_f32 v2, v4, v5
	v_cmp_ngt_f32_e32 vcc, s1, v0
	v_cndmask_b32_e32 v2, 0, v2, vcc
	v_cmp_nlt_f32_e32 vcc, s0, v0
	v_cndmask_b32_e32 v0, v26, v2, vcc
	v_pk_add_f32 v[2:3], v[24:25], v[12:13] neg_lo:[0,1] neg_hi:[0,1]
	v_mul_f32_e32 v5, 0x3fb8aa3b, v3
	v_fma_f32 v44, v3, s6, -v5
	v_rndne_f32_e32 v45, v5
	v_fmac_f32_e32 v44, 0x32a5705f, v3
	v_sub_f32_e32 v5, v5, v45
	v_add_f32_e32 v5, v5, v44
	v_cvt_f16_f32_e32 v4, v0
	v_exp_f32_e32 v5, v5
	v_cvt_i32_f32_e32 v44, v45
	v_cmp_nlt_f32_e32 vcc, s0, v1
	v_pk_mul_f16 v66, v4, v66 op_sel_hi:[0,1]
	v_pk_mul_f16 v67, v4, v67 op_sel_hi:[0,1]
	v_ldexp_f32 v4, v5, v44
	v_mul_f32_e32 v5, 0x3fb8aa3b, v2
	v_cndmask_b32_e32 v1, v26, v15, vcc
	v_fma_f32 v15, v2, s6, -v5
	v_rndne_f32_e32 v44, v5
	v_fmac_f32_e32 v15, 0x32a5705f, v2
	v_sub_f32_e32 v5, v5, v44
	v_add_f32_e32 v5, v5, v15
	v_exp_f32_e32 v5, v5
	v_cvt_i32_f32_e32 v15, v44
	v_cmp_ngt_f32_e32 vcc, s1, v3
	v_cndmask_b32_e32 v4, 0, v4, vcc
	v_cmp_nlt_f32_e32 vcc, s0, v3
	v_cndmask_b32_e32 v3, v26, v4, vcc
	v_ldexp_f32 v4, v5, v15
	v_cmp_ngt_f32_e32 vcc, s1, v2
	v_cndmask_b32_e32 v4, 0, v4, vcc
	v_cmp_nlt_f32_e32 vcc, s0, v2
	v_cndmask_b32_e32 v2, v26, v4, vcc
	v_pk_fma_f32 v[18:19], v[18:19], v[0:1], v[2:3]
	v_max_f32_e32 v0, v7, v7
	v_max_f32_e32 v15, v0, v14
	;; [unrolled: 1-line block ×4, first 2 shown]
	v_cvt_f16_f32_e32 v5, v1
	v_pk_add_f32 v[0:1], v[6:7], v[14:15] neg_lo:[0,1] neg_hi:[0,1]
	v_mul_f32_e32 v2, 0x3fb8aa3b, v1
	v_fma_f32 v3, v1, s6, -v2
	v_rndne_f32_e32 v4, v2
	v_fmac_f32_e32 v3, 0x32a5705f, v1
	v_sub_f32_e32 v2, v2, v4
	v_add_f32_e32 v2, v2, v3
	v_cvt_i32_f32_e32 v3, v4
	v_mul_f32_e32 v4, 0x3fb8aa3b, v0
	v_pk_mul_f16 v65, v5, v65 op_sel_hi:[0,1]
	v_pk_mul_f16 v64, v5, v64 op_sel_hi:[0,1]
	v_fma_f32 v5, v0, s6, -v4
	v_rndne_f32_e32 v6, v4
	v_fmac_f32_e32 v5, 0x32a5705f, v0
	v_sub_f32_e32 v4, v4, v6
	v_exp_f32_e32 v2, v2
	v_add_f32_e32 v4, v4, v5
	v_exp_f32_e32 v4, v4
	v_cvt_i32_f32_e32 v5, v6
	v_ldexp_f32 v2, v2, v3
	v_cmp_ngt_f32_e32 vcc, s1, v1
	v_cndmask_b32_e32 v6, 0, v2, vcc
	v_ldexp_f32 v2, v4, v5
	v_cmp_ngt_f32_e32 vcc, s1, v0
	v_cndmask_b32_e32 v2, 0, v2, vcc
	v_cmp_nlt_f32_e32 vcc, s0, v0
	v_cndmask_b32_e32 v0, v26, v2, vcc
	v_pk_add_f32 v[2:3], v[24:25], v[14:15] neg_lo:[0,1] neg_hi:[0,1]
	v_mul_f32_e32 v5, 0x3fb8aa3b, v3
	v_fma_f32 v7, v3, s6, -v5
	v_rndne_f32_e32 v24, v5
	v_fmac_f32_e32 v7, 0x32a5705f, v3
	v_sub_f32_e32 v5, v5, v24
	v_add_f32_e32 v5, v5, v7
	v_cvt_f16_f32_e32 v4, v0
	v_exp_f32_e32 v5, v5
	v_cvt_i32_f32_e32 v7, v24
	v_cmp_nlt_f32_e32 vcc, s0, v1
	v_pk_mul_f16 v72, v4, v72 op_sel_hi:[0,1]
	v_pk_mul_f16 v73, v4, v73 op_sel_hi:[0,1]
	v_ldexp_f32 v4, v5, v7
	v_mul_f32_e32 v5, 0x3fb8aa3b, v2
	v_cndmask_b32_e32 v1, v26, v6, vcc
	v_fma_f32 v6, v2, s6, -v5
	v_rndne_f32_e32 v7, v5
	v_fmac_f32_e32 v6, 0x32a5705f, v2
	v_sub_f32_e32 v5, v5, v7
	v_add_f32_e32 v5, v5, v6
	v_exp_f32_e32 v5, v5
	v_cvt_i32_f32_e32 v6, v7
	v_cmp_ngt_f32_e32 vcc, s1, v3
	v_cndmask_b32_e32 v4, 0, v4, vcc
	v_cmp_nlt_f32_e32 vcc, s0, v3
	v_cndmask_b32_e32 v3, v26, v4, vcc
	v_ldexp_f32 v4, v5, v6
	v_cvt_f16_f32_e32 v5, v1
	v_cmp_ngt_f32_e32 vcc, s1, v2
	v_cndmask_b32_e32 v4, 0, v4, vcc
	v_cmp_nlt_f32_e32 vcc, s0, v2
	v_cndmask_b32_e32 v2, v26, v4, vcc
	v_pk_fma_f32 v[16:17], v[16:17], v[0:1], v[2:3]
	v_pk_mul_f16 v69, v5, v69 op_sel_hi:[0,1]
	v_pk_mul_f16 v68, v5, v68 op_sel_hi:[0,1]
	v_pk_mov_b32 v[0:1], v[8:9], v[8:9] op_sel:[0,1]
	v_pk_mov_b32 v[2:3], v[10:11], v[10:11] op_sel:[0,1]
	;; [unrolled: 1-line block ×4, first 2 shown]
.LBB80_77:
	v_cmp_gt_i32_e32 vcc, s2, v43
	s_and_saveexec_b64 s[0:1], vcc
	s_cbranch_execz .LBB80_116
; %bb.78:
	s_load_dword s6, s[4:5], 0xd4
	v_mov_b32_e32 v8, 1.0
	s_waitcnt lgkmcnt(0)
	s_cmp_lg_u32 s6, 1
	s_cselect_b64 s[4:5], -1, 0
	s_cmp_eq_u32 s6, 1
	s_cselect_b64 s[8:9], -1, 0
	s_and_b64 vcc, exec, s[4:5]
	s_cbranch_vccnz .LBB80_80
; %bb.79:
	v_div_scale_f32 v8, s[0:1], v22, v22, 1.0
	v_rcp_f32_e32 v9, v8
	v_div_scale_f32 v10, vcc, 1.0, v22, 1.0
	v_fma_f32 v11, -v8, v9, 1.0
	v_fmac_f32_e32 v9, v11, v9
	v_mul_f32_e32 v11, v10, v9
	v_fma_f32 v12, -v8, v11, v10
	v_fmac_f32_e32 v11, v12, v9
	v_fma_f32 v8, -v8, v11, v10
	v_div_fmas_f32 v8, v8, v9, v11
	v_div_fixup_f32 v8, v8, v22, 1.0
.LBB80_80:
	s_mul_i32 s10, s33, s2
	s_add_i32 s10, s10, s14
	v_add_u32_e32 v9, s10, v41
	v_mul_lo_u32 v9, v9, s3
	v_add_u32_e32 v10, s28, v9
	v_mul_lo_u32 v10, s6, v10
	v_add_u32_e32 v10, s7, v10
	v_cvt_f32_f16_sdwa v15, v78 dst_sel:DWORD dst_unused:UNUSED_PAD src0_sel:WORD_1
	v_cvt_f32_f16_e32 v14, v78
	v_cvt_f32_f16_sdwa v25, v79 dst_sel:DWORD dst_unused:UNUSED_PAD src0_sel:WORD_1
	v_cvt_f32_f16_e32 v24, v79
	v_lshl_add_u32 v12, v10, 7, v36
	v_mov_b32_e32 v13, 0
	v_lshlrev_b64 v[12:13], 2, v[12:13]
	v_cmp_eq_u32_e32 vcc, 0, v42
	v_mov_b32_e32 v11, s21
	v_add_co_u32_e64 v26, s[0:1], s20, v12
	v_addc_co_u32_e64 v27, s[0:1], v11, v13, s[0:1]
	v_pk_mul_f32 v[12:13], v[8:9], v[14:15] op_sel_hi:[0,1]
	v_pk_mul_f32 v[14:15], v[8:9], v[24:25] op_sel_hi:[0,1]
	s_and_b64 s[4:5], vcc, s[4:5]
	global_store_dwordx4 v[26:27], v[12:15], off
	s_and_saveexec_b64 s[0:1], s[4:5]
	s_cbranch_execz .LBB80_82
; %bb.81:
	v_ashrrev_i32_e32 v11, 31, v10
	v_lshlrev_b64 v[10:11], 3, v[10:11]
	v_mov_b32_e32 v8, s23
	v_add_co_u32_e32 v10, vcc, s22, v10
	v_addc_co_u32_e32 v11, vcc, v8, v11, vcc
	v_mov_b32_e32 v12, v0
	v_mov_b32_e32 v13, v22
	global_store_dwordx2 v[10:11], v[12:13], off
.LBB80_82:
	s_or_b64 exec, exec, s[0:1]
	v_cndmask_b32_e64 v0, 0, 1, s[8:9]
	v_cmp_ne_u32_e64 s[0:1], 1, v0
	s_andn2_b64 vcc, exec, s[8:9]
	v_mov_b32_e32 v0, 1.0
	s_cbranch_vccnz .LBB80_84
; %bb.83:
	v_div_scale_f32 v0, s[8:9], v23, v23, 1.0
	v_rcp_f32_e32 v8, v0
	v_div_scale_f32 v10, vcc, 1.0, v23, 1.0
	v_fma_f32 v11, -v0, v8, 1.0
	v_fmac_f32_e32 v8, v11, v8
	v_mul_f32_e32 v11, v10, v8
	v_fma_f32 v12, -v0, v11, v10
	v_fmac_f32_e32 v11, v12, v8
	v_fma_f32 v0, -v0, v11, v10
	v_div_fmas_f32 v0, v0, v8, v11
	v_div_fixup_f32 v0, v0, v23, 1.0
.LBB80_84:
	s_add_i32 s11, s28, 1
	v_add_u32_e32 v8, s11, v9
	v_mul_lo_u32 v8, s6, v8
	v_add_u32_e32 v8, s7, v8
	v_cvt_f32_f16_sdwa v13, v77 dst_sel:DWORD dst_unused:UNUSED_PAD src0_sel:WORD_1
	v_cvt_f32_f16_e32 v12, v77
	v_cvt_f32_f16_sdwa v15, v76 dst_sel:DWORD dst_unused:UNUSED_PAD src0_sel:WORD_1
	v_cvt_f32_f16_e32 v14, v76
	v_lshl_add_u32 v10, v8, 7, v36
	v_mov_b32_e32 v11, 0
	v_lshlrev_b64 v[10:11], 2, v[10:11]
	v_mov_b32_e32 v9, s21
	v_add_co_u32_e32 v24, vcc, s20, v10
	v_addc_co_u32_e32 v25, vcc, v9, v11, vcc
	v_pk_mul_f32 v[10:11], v[0:1], v[12:13] op_sel_hi:[0,1]
	v_pk_mul_f32 v[12:13], v[0:1], v[14:15] op_sel_hi:[0,1]
	global_store_dwordx4 v[24:25], v[10:13], off
	s_and_saveexec_b64 s[8:9], s[4:5]
	s_cbranch_execz .LBB80_86
; %bb.85:
	v_ashrrev_i32_e32 v9, 31, v8
	v_lshlrev_b64 v[8:9], 3, v[8:9]
	v_mov_b32_e32 v0, s23
	v_add_co_u32_e32 v8, vcc, s22, v8
	v_addc_co_u32_e32 v9, vcc, v0, v9, vcc
	v_mov_b32_e32 v22, v1
	global_store_dwordx2 v[8:9], v[22:23], off
.LBB80_86:
	s_or_b64 exec, exec, s[8:9]
	v_cmp_gt_i32_e32 vcc, s2, v40
	s_and_b64 exec, exec, vcc
	s_cbranch_execz .LBB80_116
; %bb.87:
	s_and_b64 vcc, exec, s[0:1]
	v_mov_b32_e32 v8, 1.0
	s_cbranch_vccnz .LBB80_89
; %bb.88:
	v_div_scale_f32 v0, s[8:9], v20, v20, 1.0
	v_rcp_f32_e32 v1, v0
	v_div_scale_f32 v8, vcc, 1.0, v20, 1.0
	v_fma_f32 v9, -v0, v1, 1.0
	v_fmac_f32_e32 v1, v9, v1
	v_mul_f32_e32 v9, v8, v1
	v_fma_f32 v10, -v0, v9, v8
	v_fmac_f32_e32 v9, v10, v1
	v_fma_f32 v0, -v0, v9, v8
	v_div_fmas_f32 v0, v0, v1, v9
	v_div_fixup_f32 v8, v0, v20, 1.0
.LBB80_89:
	v_add_u32_e32 v0, s10, v39
	v_mul_lo_u32 v0, v0, s3
	v_add_u32_e32 v0, s28, v0
	v_mul_lo_u32 v0, s6, v0
	v_add_u32_e32 v0, s7, v0
	v_cvt_f32_f16_sdwa v13, v75 dst_sel:DWORD dst_unused:UNUSED_PAD src0_sel:WORD_1
	v_cvt_f32_f16_e32 v12, v75
	v_cvt_f32_f16_sdwa v15, v74 dst_sel:DWORD dst_unused:UNUSED_PAD src0_sel:WORD_1
	v_cvt_f32_f16_e32 v14, v74
	v_lshl_add_u32 v10, v0, 7, v36
	v_mov_b32_e32 v11, 0
	v_lshlrev_b64 v[10:11], 2, v[10:11]
	v_mov_b32_e32 v1, s21
	v_add_co_u32_e32 v22, vcc, s20, v10
	v_addc_co_u32_e32 v23, vcc, v1, v11, vcc
	v_pk_mul_f32 v[10:11], v[8:9], v[12:13] op_sel_hi:[0,1]
	v_pk_mul_f32 v[12:13], v[8:9], v[14:15] op_sel_hi:[0,1]
	global_store_dwordx4 v[22:23], v[10:13], off
	s_and_saveexec_b64 s[8:9], s[4:5]
	s_cbranch_execz .LBB80_91
; %bb.90:
	v_ashrrev_i32_e32 v1, 31, v0
	v_lshlrev_b64 v[0:1], 3, v[0:1]
	v_mov_b32_e32 v8, s23
	v_add_co_u32_e32 v0, vcc, s22, v0
	v_addc_co_u32_e32 v1, vcc, v8, v1, vcc
	v_mov_b32_e32 v8, v2
	v_mov_b32_e32 v9, v20
	global_store_dwordx2 v[0:1], v[8:9], off
.LBB80_91:
	s_or_b64 exec, exec, s[8:9]
	v_cmp_gt_i32_e32 vcc, s2, v38
	s_and_b64 exec, exec, vcc
	s_cbranch_execz .LBB80_116
; %bb.92:
	s_and_b64 vcc, exec, s[0:1]
	v_mov_b32_e32 v2, 1.0
	s_cbranch_vccnz .LBB80_94
; %bb.93:
	v_div_scale_f32 v0, s[8:9], v21, v21, 1.0
	v_rcp_f32_e32 v1, v0
	v_div_scale_f32 v2, vcc, 1.0, v21, 1.0
	v_fma_f32 v8, -v0, v1, 1.0
	v_fmac_f32_e32 v1, v8, v1
	v_mul_f32_e32 v8, v2, v1
	v_fma_f32 v9, -v0, v8, v2
	v_fmac_f32_e32 v8, v9, v1
	v_fma_f32 v0, -v0, v8, v2
	v_div_fmas_f32 v0, v0, v1, v8
	v_div_fixup_f32 v2, v0, v21, 1.0
.LBB80_94:
	v_add_u32_e32 v0, s10, v37
	v_mul_lo_u32 v0, v0, s3
	v_add_u32_e32 v0, s11, v0
	v_mul_lo_u32 v0, s6, v0
	v_add_u32_e32 v0, s7, v0
	v_cvt_f32_f16_sdwa v11, v70 dst_sel:DWORD dst_unused:UNUSED_PAD src0_sel:WORD_1
	v_cvt_f32_f16_e32 v10, v70
	v_cvt_f32_f16_sdwa v13, v71 dst_sel:DWORD dst_unused:UNUSED_PAD src0_sel:WORD_1
	v_cvt_f32_f16_e32 v12, v71
	v_lshl_add_u32 v8, v0, 7, v36
	v_mov_b32_e32 v9, 0
	v_lshlrev_b64 v[8:9], 2, v[8:9]
	v_mov_b32_e32 v1, s21
	v_add_co_u32_e32 v14, vcc, s20, v8
	v_addc_co_u32_e32 v15, vcc, v1, v9, vcc
	v_pk_mul_f32 v[8:9], v[2:3], v[10:11] op_sel_hi:[0,1]
	v_pk_mul_f32 v[10:11], v[2:3], v[12:13] op_sel_hi:[0,1]
	global_store_dwordx4 v[14:15], v[8:11], off
	s_and_saveexec_b64 s[8:9], s[4:5]
	s_cbranch_execz .LBB80_96
; %bb.95:
	v_ashrrev_i32_e32 v1, 31, v0
	v_lshlrev_b64 v[0:1], 3, v[0:1]
	v_mov_b32_e32 v2, s23
	v_add_co_u32_e32 v0, vcc, s22, v0
	v_addc_co_u32_e32 v1, vcc, v2, v1, vcc
	v_mov_b32_e32 v20, v3
	global_store_dwordx2 v[0:1], v[20:21], off
.LBB80_96:
	s_or_b64 exec, exec, s[8:9]
	v_cmp_gt_i32_e32 vcc, s2, v35
	s_and_b64 exec, exec, vcc
	s_cbranch_execz .LBB80_116
; %bb.97:
	s_and_b64 vcc, exec, s[0:1]
	v_mov_b32_e32 v2, 1.0
	s_cbranch_vccnz .LBB80_99
; %bb.98:
	v_div_scale_f32 v0, s[8:9], v18, v18, 1.0
	v_rcp_f32_e32 v1, v0
	v_div_scale_f32 v2, vcc, 1.0, v18, 1.0
	v_fma_f32 v3, -v0, v1, 1.0
	v_fmac_f32_e32 v1, v3, v1
	v_mul_f32_e32 v3, v2, v1
	v_fma_f32 v8, -v0, v3, v2
	v_fmac_f32_e32 v3, v8, v1
	v_fma_f32 v0, -v0, v3, v2
	v_div_fmas_f32 v0, v0, v1, v3
	v_div_fixup_f32 v2, v0, v18, 1.0
.LBB80_99:
	v_add_u32_e32 v0, s10, v34
	v_mul_lo_u32 v0, v0, s3
	v_add_u32_e32 v0, s28, v0
	v_mul_lo_u32 v0, s6, v0
	v_add_u32_e32 v0, s7, v0
	v_cvt_f32_f16_sdwa v11, v66 dst_sel:DWORD dst_unused:UNUSED_PAD src0_sel:WORD_1
	v_cvt_f32_f16_e32 v10, v66
	v_cvt_f32_f16_sdwa v13, v67 dst_sel:DWORD dst_unused:UNUSED_PAD src0_sel:WORD_1
	v_cvt_f32_f16_e32 v12, v67
	v_lshl_add_u32 v8, v0, 7, v36
	v_mov_b32_e32 v9, 0
	v_lshlrev_b64 v[8:9], 2, v[8:9]
	v_mov_b32_e32 v1, s21
	v_add_co_u32_e32 v14, vcc, s20, v8
	v_addc_co_u32_e32 v15, vcc, v1, v9, vcc
	v_pk_mul_f32 v[8:9], v[2:3], v[10:11] op_sel_hi:[0,1]
	v_pk_mul_f32 v[10:11], v[2:3], v[12:13] op_sel_hi:[0,1]
	global_store_dwordx4 v[14:15], v[8:11], off
	s_and_saveexec_b64 s[8:9], s[4:5]
	s_cbranch_execz .LBB80_101
; %bb.100:
	v_ashrrev_i32_e32 v1, 31, v0
	v_lshlrev_b64 v[0:1], 3, v[0:1]
	v_mov_b32_e32 v2, s23
	v_add_co_u32_e32 v0, vcc, s22, v0
	v_addc_co_u32_e32 v1, vcc, v2, v1, vcc
	v_mov_b32_e32 v2, v4
	v_mov_b32_e32 v3, v18
	global_store_dwordx2 v[0:1], v[2:3], off
.LBB80_101:
	s_or_b64 exec, exec, s[8:9]
	v_cmp_gt_i32_e32 vcc, s2, v33
	s_and_b64 exec, exec, vcc
	s_cbranch_execz .LBB80_116
; %bb.102:
	s_and_b64 vcc, exec, s[0:1]
	v_mov_b32_e32 v2, 1.0
	s_cbranch_vccnz .LBB80_104
; %bb.103:
	v_div_scale_f32 v0, s[8:9], v19, v19, 1.0
	v_rcp_f32_e32 v1, v0
	v_div_scale_f32 v2, vcc, 1.0, v19, 1.0
	v_fma_f32 v3, -v0, v1, 1.0
	v_fmac_f32_e32 v1, v3, v1
	v_mul_f32_e32 v3, v2, v1
	v_fma_f32 v4, -v0, v3, v2
	v_fmac_f32_e32 v3, v4, v1
	v_fma_f32 v0, -v0, v3, v2
	v_div_fmas_f32 v0, v0, v1, v3
	v_div_fixup_f32 v2, v0, v19, 1.0
.LBB80_104:
	v_add_u32_e32 v0, s10, v32
	v_mul_lo_u32 v0, v0, s3
	v_add_u32_e32 v0, s11, v0
	v_mul_lo_u32 v0, s6, v0
	v_add_u32_e32 v0, s7, v0
	v_cvt_f32_f16_sdwa v11, v65 dst_sel:DWORD dst_unused:UNUSED_PAD src0_sel:WORD_1
	v_cvt_f32_f16_e32 v10, v65
	v_cvt_f32_f16_sdwa v13, v64 dst_sel:DWORD dst_unused:UNUSED_PAD src0_sel:WORD_1
	v_cvt_f32_f16_e32 v12, v64
	v_lshl_add_u32 v8, v0, 7, v36
	v_mov_b32_e32 v9, 0
	v_lshlrev_b64 v[8:9], 2, v[8:9]
	v_mov_b32_e32 v1, s21
	v_add_co_u32_e32 v14, vcc, s20, v8
	v_addc_co_u32_e32 v15, vcc, v1, v9, vcc
	v_pk_mul_f32 v[8:9], v[2:3], v[10:11] op_sel_hi:[0,1]
	v_pk_mul_f32 v[10:11], v[2:3], v[12:13] op_sel_hi:[0,1]
	global_store_dwordx4 v[14:15], v[8:11], off
	s_and_saveexec_b64 s[8:9], s[4:5]
	s_cbranch_execz .LBB80_106
; %bb.105:
	v_ashrrev_i32_e32 v1, 31, v0
	v_lshlrev_b64 v[0:1], 3, v[0:1]
	v_mov_b32_e32 v2, s23
	v_add_co_u32_e32 v0, vcc, s22, v0
	v_addc_co_u32_e32 v1, vcc, v2, v1, vcc
	v_mov_b32_e32 v18, v5
	global_store_dwordx2 v[0:1], v[18:19], off
.LBB80_106:
	s_or_b64 exec, exec, s[8:9]
	v_cmp_gt_i32_e32 vcc, s2, v31
	s_and_b64 exec, exec, vcc
	s_cbranch_execz .LBB80_116
; %bb.107:
	s_and_b64 vcc, exec, s[0:1]
	v_mov_b32_e32 v2, 1.0
	s_cbranch_vccnz .LBB80_109
; %bb.108:
	v_div_scale_f32 v0, s[8:9], v16, v16, 1.0
	v_rcp_f32_e32 v1, v0
	v_div_scale_f32 v2, vcc, 1.0, v16, 1.0
	v_fma_f32 v3, -v0, v1, 1.0
	v_fmac_f32_e32 v1, v3, v1
	v_mul_f32_e32 v3, v2, v1
	v_fma_f32 v4, -v0, v3, v2
	v_fmac_f32_e32 v3, v4, v1
	v_fma_f32 v0, -v0, v3, v2
	v_div_fmas_f32 v0, v0, v1, v3
	v_div_fixup_f32 v2, v0, v16, 1.0
.LBB80_109:
	v_add_u32_e32 v0, s10, v30
	v_mul_lo_u32 v0, v0, s3
	v_add_u32_e32 v0, s28, v0
	v_mul_lo_u32 v0, s6, v0
	v_add_u32_e32 v0, s7, v0
	v_cvt_f32_f16_sdwa v9, v72 dst_sel:DWORD dst_unused:UNUSED_PAD src0_sel:WORD_1
	v_cvt_f32_f16_e32 v8, v72
	v_cvt_f32_f16_sdwa v11, v73 dst_sel:DWORD dst_unused:UNUSED_PAD src0_sel:WORD_1
	v_cvt_f32_f16_e32 v10, v73
	v_lshl_add_u32 v4, v0, 7, v36
	v_mov_b32_e32 v5, 0
	v_lshlrev_b64 v[4:5], 2, v[4:5]
	v_mov_b32_e32 v1, s21
	v_add_co_u32_e32 v4, vcc, s20, v4
	v_addc_co_u32_e32 v5, vcc, v1, v5, vcc
	v_pk_mul_f32 v[8:9], v[2:3], v[8:9] op_sel_hi:[0,1]
	v_pk_mul_f32 v[10:11], v[2:3], v[10:11] op_sel_hi:[0,1]
	global_store_dwordx4 v[4:5], v[8:11], off
	s_and_saveexec_b64 s[8:9], s[4:5]
	s_cbranch_execz .LBB80_111
; %bb.110:
	v_ashrrev_i32_e32 v1, 31, v0
	v_lshlrev_b64 v[0:1], 3, v[0:1]
	v_mov_b32_e32 v2, s23
	v_add_co_u32_e32 v0, vcc, s22, v0
	v_addc_co_u32_e32 v1, vcc, v2, v1, vcc
	v_mov_b32_e32 v2, v6
	v_mov_b32_e32 v3, v16
	global_store_dwordx2 v[0:1], v[2:3], off
.LBB80_111:
	s_or_b64 exec, exec, s[8:9]
	v_cmp_gt_i32_e32 vcc, s2, v29
	s_and_b64 exec, exec, vcc
	s_cbranch_execz .LBB80_116
; %bb.112:
	s_and_b64 vcc, exec, s[0:1]
	v_mov_b32_e32 v2, 1.0
	s_cbranch_vccnz .LBB80_114
; %bb.113:
	v_div_scale_f32 v0, s[0:1], v17, v17, 1.0
	v_rcp_f32_e32 v1, v0
	v_div_scale_f32 v2, vcc, 1.0, v17, 1.0
	v_fma_f32 v3, -v0, v1, 1.0
	v_fmac_f32_e32 v1, v3, v1
	v_mul_f32_e32 v3, v2, v1
	v_fma_f32 v4, -v0, v3, v2
	v_fmac_f32_e32 v3, v4, v1
	v_fma_f32 v0, -v0, v3, v2
	v_div_fmas_f32 v0, v0, v1, v3
	v_div_fixup_f32 v2, v0, v17, 1.0
.LBB80_114:
	v_add_u32_e32 v0, s10, v28
	v_mul_lo_u32 v0, v0, s3
	v_add_u32_e32 v0, s11, v0
	v_mul_lo_u32 v0, s6, v0
	v_add_u32_e32 v0, s7, v0
	v_cvt_f32_f16_sdwa v9, v69 dst_sel:DWORD dst_unused:UNUSED_PAD src0_sel:WORD_1
	v_cvt_f32_f16_e32 v8, v69
	v_cvt_f32_f16_sdwa v11, v68 dst_sel:DWORD dst_unused:UNUSED_PAD src0_sel:WORD_1
	v_cvt_f32_f16_e32 v10, v68
	v_lshl_add_u32 v4, v0, 7, v36
	v_mov_b32_e32 v5, 0
	v_lshlrev_b64 v[4:5], 2, v[4:5]
	v_mov_b32_e32 v1, s21
	v_add_co_u32_e32 v4, vcc, s20, v4
	v_addc_co_u32_e32 v5, vcc, v1, v5, vcc
	v_pk_mul_f32 v[8:9], v[2:3], v[8:9] op_sel_hi:[0,1]
	v_pk_mul_f32 v[10:11], v[2:3], v[10:11] op_sel_hi:[0,1]
	global_store_dwordx4 v[4:5], v[8:11], off
	s_and_b64 exec, exec, s[4:5]
	s_cbranch_execz .LBB80_116
; %bb.115:
	v_ashrrev_i32_e32 v1, 31, v0
	v_lshlrev_b64 v[0:1], 3, v[0:1]
	v_mov_b32_e32 v2, s23
	v_add_co_u32_e32 v0, vcc, s22, v0
	v_addc_co_u32_e32 v1, vcc, v2, v1, vcc
	v_mov_b32_e32 v16, v7
	global_store_dwordx2 v[0:1], v[16:17], off
.LBB80_116:
	s_endpgm
	.section	.rodata,"a",@progbits
	.p2align	6, 0x0
	.amdhsa_kernel _ZL15flash_attn_tileILi128ELi128ELi32ELi2ELb1EEvPKcS1_S1_S1_S1_PKiPfP15HIP_vector_typeIfLj2EEffffjfiS5_IjLj3EEiiiiiiiiiiiliiliiiiil
		.amdhsa_group_segment_fixed_size 29696
		.amdhsa_private_segment_fixed_size 0
		.amdhsa_kernarg_size 464
		.amdhsa_user_sgpr_count 6
		.amdhsa_user_sgpr_private_segment_buffer 1
		.amdhsa_user_sgpr_dispatch_ptr 0
		.amdhsa_user_sgpr_queue_ptr 0
		.amdhsa_user_sgpr_kernarg_segment_ptr 1
		.amdhsa_user_sgpr_dispatch_id 0
		.amdhsa_user_sgpr_flat_scratch_init 0
		.amdhsa_user_sgpr_kernarg_preload_length 0
		.amdhsa_user_sgpr_kernarg_preload_offset 0
		.amdhsa_user_sgpr_private_segment_size 0
		.amdhsa_uses_dynamic_stack 0
		.amdhsa_system_sgpr_private_segment_wavefront_offset 0
		.amdhsa_system_sgpr_workgroup_id_x 1
		.amdhsa_system_sgpr_workgroup_id_y 1
		.amdhsa_system_sgpr_workgroup_id_z 1
		.amdhsa_system_sgpr_workgroup_info 0
		.amdhsa_system_vgpr_workitem_id 1
		.amdhsa_next_free_vgpr 128
		.amdhsa_next_free_sgpr 42
		.amdhsa_accum_offset 128
		.amdhsa_reserve_vcc 1
		.amdhsa_reserve_flat_scratch 0
		.amdhsa_float_round_mode_32 0
		.amdhsa_float_round_mode_16_64 0
		.amdhsa_float_denorm_mode_32 3
		.amdhsa_float_denorm_mode_16_64 3
		.amdhsa_dx10_clamp 1
		.amdhsa_ieee_mode 1
		.amdhsa_fp16_overflow 0
		.amdhsa_tg_split 0
		.amdhsa_exception_fp_ieee_invalid_op 0
		.amdhsa_exception_fp_denorm_src 0
		.amdhsa_exception_fp_ieee_div_zero 0
		.amdhsa_exception_fp_ieee_overflow 0
		.amdhsa_exception_fp_ieee_underflow 0
		.amdhsa_exception_fp_ieee_inexact 0
		.amdhsa_exception_int_div_zero 0
	.end_amdhsa_kernel
	.section	.text._ZL15flash_attn_tileILi128ELi128ELi32ELi2ELb1EEvPKcS1_S1_S1_S1_PKiPfP15HIP_vector_typeIfLj2EEffffjfiS5_IjLj3EEiiiiiiiiiiiliiliiiiil,"axG",@progbits,_ZL15flash_attn_tileILi128ELi128ELi32ELi2ELb1EEvPKcS1_S1_S1_S1_PKiPfP15HIP_vector_typeIfLj2EEffffjfiS5_IjLj3EEiiiiiiiiiiiliiliiiiil,comdat
.Lfunc_end80:
	.size	_ZL15flash_attn_tileILi128ELi128ELi32ELi2ELb1EEvPKcS1_S1_S1_S1_PKiPfP15HIP_vector_typeIfLj2EEffffjfiS5_IjLj3EEiiiiiiiiiiiliiliiiiil, .Lfunc_end80-_ZL15flash_attn_tileILi128ELi128ELi32ELi2ELb1EEvPKcS1_S1_S1_S1_PKiPfP15HIP_vector_typeIfLj2EEffffjfiS5_IjLj3EEiiiiiiiiiiiliiliiiiil
                                        ; -- End function
	.section	.AMDGPU.csdata,"",@progbits
; Kernel info:
; codeLenInByte = 33320
; NumSgprs: 46
; NumVgprs: 128
; NumAgprs: 0
; TotalNumVgprs: 128
; ScratchSize: 0
; MemoryBound: 0
; FloatMode: 240
; IeeeMode: 1
; LDSByteSize: 29696 bytes/workgroup (compile time only)
; SGPRBlocks: 5
; VGPRBlocks: 15
; NumSGPRsForWavesPerEU: 46
; NumVGPRsForWavesPerEU: 128
; AccumOffset: 128
; Occupancy: 2
; WaveLimiterHint : 1
; COMPUTE_PGM_RSRC2:SCRATCH_EN: 0
; COMPUTE_PGM_RSRC2:USER_SGPR: 6
; COMPUTE_PGM_RSRC2:TRAP_HANDLER: 0
; COMPUTE_PGM_RSRC2:TGID_X_EN: 1
; COMPUTE_PGM_RSRC2:TGID_Y_EN: 1
; COMPUTE_PGM_RSRC2:TGID_Z_EN: 1
; COMPUTE_PGM_RSRC2:TIDIG_COMP_CNT: 1
; COMPUTE_PGM_RSRC3_GFX90A:ACCUM_OFFSET: 31
; COMPUTE_PGM_RSRC3_GFX90A:TG_SPLIT: 0
	.section	.text._ZL15flash_attn_tileILi128ELi128ELi16ELi2ELb1EEvPKcS1_S1_S1_S1_PKiPfP15HIP_vector_typeIfLj2EEffffjfiS5_IjLj3EEiiiiiiiiiiiliiliiiiil,"axG",@progbits,_ZL15flash_attn_tileILi128ELi128ELi16ELi2ELb1EEvPKcS1_S1_S1_S1_PKiPfP15HIP_vector_typeIfLj2EEffffjfiS5_IjLj3EEiiiiiiiiiiiliiliiiiil,comdat
	.globl	_ZL15flash_attn_tileILi128ELi128ELi16ELi2ELb1EEvPKcS1_S1_S1_S1_PKiPfP15HIP_vector_typeIfLj2EEffffjfiS5_IjLj3EEiiiiiiiiiiiliiliiiiil ; -- Begin function _ZL15flash_attn_tileILi128ELi128ELi16ELi2ELb1EEvPKcS1_S1_S1_S1_PKiPfP15HIP_vector_typeIfLj2EEffffjfiS5_IjLj3EEiiiiiiiiiiiliiliiiiil
	.p2align	8
	.type	_ZL15flash_attn_tileILi128ELi128ELi16ELi2ELb1EEvPKcS1_S1_S1_S1_PKiPfP15HIP_vector_typeIfLj2EEffffjfiS5_IjLj3EEiiiiiiiiiiiliiliiiiil,@function
_ZL15flash_attn_tileILi128ELi128ELi16ELi2ELb1EEvPKcS1_S1_S1_S1_PKiPfP15HIP_vector_typeIfLj2EEffffjfiS5_IjLj3EEiiiiiiiiiiiliiliiiiil: ; @_ZL15flash_attn_tileILi128ELi128ELi16ELi2ELb1EEvPKcS1_S1_S1_S1_PKiPfP15HIP_vector_typeIfLj2EEffffjfiS5_IjLj3EEiiiiiiiiiiiliiliiiiil
; %bb.0:
	s_load_dwordx4 s[0:3], s[4:5], 0x5c
	s_load_dwordx2 s[30:31], s[4:5], 0x80
	s_load_dwordx2 s[36:37], s[4:5], 0xb8
	s_mov_b64 s[34:35], 0
	s_waitcnt lgkmcnt(0)
	s_lshr_b32 s9, s3, 31
	s_add_i32 s9, s3, s9
	s_ashr_i32 s9, s9, 1
	v_cvt_f32_u32_e32 v1, s9
	s_sub_i32 s10, 0, s9
	v_rcp_iflag_f32_e32 v1, v1
	v_mul_f32_e32 v1, 0x4f7ffffe, v1
	v_cvt_u32_f32_e32 v1, v1
	v_readfirstlane_b32 s11, v1
	s_mul_i32 s10, s10, s11
	s_mul_hi_u32 s10, s11, s10
	s_add_i32 s11, s11, s10
	s_mul_hi_u32 s10, s8, s11
	s_mul_i32 s11, s10, s9
	s_sub_i32 s11, s8, s11
	s_add_i32 s12, s10, 1
	s_sub_i32 s13, s11, s9
	s_cmp_ge_u32 s11, s9
	s_cselect_b32 s10, s12, s10
	s_cselect_b32 s11, s13, s11
	s_add_i32 s12, s10, 1
	s_cmp_ge_u32 s11, s9
	s_cselect_b32 s33, s12, s10
	s_abs_i32 s9, s31
	v_cvt_f32_u32_e32 v1, s9
	s_lshl_b32 s8, s8, 1
	s_mul_i32 s12, s33, s3
	s_sub_i32 s13, 0, s9
	v_rcp_iflag_f32_e32 v1, v1
	s_sub_i32 s28, s8, s12
	s_abs_i32 s11, s3
	s_xor_b32 s10, s3, s31
	v_mul_f32_e32 v1, 0x4f7ffffe, v1
	v_cvt_u32_f32_e32 v1, v1
	s_ashr_i32 s10, s10, 31
	v_readfirstlane_b32 s8, v1
	s_mul_i32 s13, s13, s8
	s_mul_hi_u32 s12, s8, s13
	s_add_i32 s8, s8, s12
	s_mul_hi_u32 s8, s11, s8
	s_mul_i32 s12, s8, s9
	s_sub_i32 s11, s11, s12
	s_add_i32 s13, s8, 1
	s_sub_i32 s12, s11, s9
	s_cmp_ge_u32 s11, s9
	s_cselect_b32 s8, s13, s8
	s_cselect_b32 s11, s12, s11
	s_add_i32 s12, s8, 1
	s_cmp_ge_u32 s11, s9
	s_cselect_b32 s8, s12, s8
	s_xor_b32 s8, s8, s10
	s_sub_i32 s31, s8, s10
	s_abs_i32 s29, s31
	v_cvt_f32_u32_e32 v1, s29
	s_load_dwordx16 s[8:23], s[4:5], 0x0
	v_rcp_iflag_f32_e32 v1, v1
	s_waitcnt lgkmcnt(0)
	s_cmp_eq_u64 s[14:15], 0
	v_mul_f32_e32 v1, 0x4f7ffffe, v1
	v_cvt_u32_f32_e32 v1, v1
	v_readfirstlane_b32 s38, v1
	s_cbranch_scc1 .LBB81_2
; %bb.1:
	s_abs_i32 s26, s36
	v_cvt_f32_u32_e32 v1, s26
	s_sub_i32 s35, 0, s26
	s_abs_i32 s34, s33
	s_ashr_i32 s27, s33, 31
	v_rcp_iflag_f32_e32 v1, v1
	s_load_dwordx2 s[24:25], s[4:5], 0xc8
	v_mul_f32_e32 v1, 0x4f7ffffe, v1
	v_cvt_u32_f32_e32 v1, v1
	v_readfirstlane_b32 s36, v1
	s_mul_i32 s35, s35, s36
	s_mul_hi_u32 s35, s36, s35
	s_add_i32 s36, s36, s35
	s_mul_hi_u32 s35, s34, s36
	s_mul_i32 s35, s35, s26
	s_sub_i32 s34, s34, s35
	s_sub_i32 s35, s34, s26
	s_cmp_ge_u32 s34, s26
	s_cselect_b32 s34, s35, s34
	s_sub_i32 s35, s34, s26
	s_cmp_ge_u32 s34, s26
	s_cselect_b32 s26, s35, s34
	s_xor_b32 s26, s26, s27
	s_sub_i32 s26, s26, s27
	s_ashr_i32 s27, s26, 31
	s_waitcnt lgkmcnt(0)
	s_mul_i32 s25, s26, s25
	s_mul_hi_u32 s34, s26, s24
	s_add_i32 s25, s34, s25
	s_mul_i32 s27, s27, s24
	s_add_i32 s25, s25, s27
	s_mul_i32 s26, s26, s24
	s_add_u32 s34, s14, s26
	s_addc_u32 s35, s15, s25
.LBB81_2:
	s_load_dwordx4 s[24:27], s[4:5], 0x70
	v_bfe_u32 v8, v0, 10, 10
	s_lshl_b32 s14, s6, 4
	v_lshlrev_b32_e32 v33, 1, v8
	v_add_u32_e32 v35, s14, v33
	s_waitcnt lgkmcnt(0)
	s_mul_i32 s15, s33, s26
	s_ashr_i32 s27, s15, 31
	v_and_b32_e32 v34, 0x3ff, v0
	v_mul_hi_u32 v0, v35, s0
	s_mul_i32 s26, s28, s25
	s_add_u32 s8, s8, s15
	v_add_u32_e32 v0, v35, v0
	s_addc_u32 s9, s9, s27
	s_ashr_i32 s15, s26, 31
	v_lshrrev_b32_e32 v0, s1, v0
	s_add_u32 s26, s8, s26
	v_mul_lo_u32 v0, v0, s2
	s_addc_u32 s15, s9, s15
	s_ashr_i32 s36, s24, 31
	v_sub_u32_e32 v9, v35, v0
	v_mov_b32_e32 v0, s24
	v_alignbit_b32 v11, s36, v0, 2
	v_mad_u64_u32 v[0:1], s[8:9], v11, v9, 0
	v_mov_b32_e32 v2, v1
	s_lshr_b32 s24, s36, 2
	v_mad_u64_u32 v[2:3], s[8:9], s24, v9, v[2:3]
	v_mov_b32_e32 v1, v2
	v_lshlrev_b64 v[0:1], 2, v[0:1]
	v_mov_b32_e32 v2, s15
	v_add_co_u32_e32 v3, vcc, s26, v0
	s_ashr_i32 s27, s25, 31
	v_addc_co_u32_e32 v2, vcc, v2, v1, vcc
	v_lshlrev_b32_e32 v20, 4, v34
	s_and_b32 s8, s25, -4
	v_add_co_u32_e32 v12, vcc, v3, v20
	s_add_u32 s25, s26, s8
	v_lshlrev_b32_e32 v10, 2, v8
	v_addc_co_u32_e32 v13, vcc, 0, v2, vcc
	s_addc_u32 s27, s15, s27
	v_mov_b32_e32 v2, s27
	v_add_co_u32_e32 v0, vcc, s25, v0
	v_or_b32_e32 v21, 2, v10
	v_addc_co_u32_e32 v1, vcc, v2, v1, vcc
	v_lshrrev_b32_e32 v30, 1, v21
	v_add_co_u32_e32 v14, vcc, v0, v20
	v_add_u32_e32 v31, s14, v30
	v_addc_co_u32_e32 v15, vcc, 0, v1, vcc
	global_load_dwordx4 v[0:3], v[12:13], off
	global_load_dwordx4 v[4:7], v[14:15], off
	v_mul_hi_u32 v12, v31, s0
	v_add_u32_e32 v12, v31, v12
	v_lshrrev_b32_e32 v12, s1, v12
	v_mul_lo_u32 v12, v12, s2
	v_or_b32_e32 v22, 3, v10
	v_sub_u32_e32 v15, v31, v12
	v_lshrrev_b32_e32 v28, 1, v22
	v_mad_u64_u32 v[12:13], s[8:9], v11, v15, 0
	v_add_u32_e32 v29, s14, v28
	v_mov_b32_e32 v14, v13
	v_mul_hi_u32 v16, v29, s0
	v_mad_u64_u32 v[14:15], s[8:9], s24, v15, v[14:15]
	v_add_u32_e32 v16, v29, v16
	v_mov_b32_e32 v13, v14
	v_lshrrev_b32_e32 v16, s1, v16
	v_lshlrev_b64 v[12:13], 2, v[12:13]
	v_mul_lo_u32 v16, v16, s2
	v_mov_b32_e32 v14, s15
	v_add_co_u32_e32 v12, vcc, s26, v12
	v_sub_u32_e32 v19, v29, v16
	v_addc_co_u32_e32 v13, vcc, v14, v13, vcc
	v_mad_u64_u32 v[16:17], s[8:9], v11, v19, 0
	v_add_co_u32_e32 v12, vcc, v12, v20
	v_mov_b32_e32 v18, v17
	v_addc_co_u32_e32 v13, vcc, 0, v13, vcc
	v_mad_u64_u32 v[18:19], s[8:9], s24, v19, v[18:19]
	global_load_dwordx4 v[12:15], v[12:13], off
	v_mov_b32_e32 v17, v18
	v_lshlrev_b64 v[16:17], 2, v[16:17]
	v_mov_b32_e32 v11, s27
	v_add_co_u32_e32 v16, vcc, s25, v16
	v_addc_co_u32_e32 v11, vcc, v11, v17, vcc
	v_add_co_u32_e32 v16, vcc, v16, v20
	v_addc_co_u32_e32 v17, vcc, 0, v11, vcc
	global_load_dwordx4 v[16:19], v[16:17], off
	s_load_dword s8, s[4:5], 0x40
	v_lshlrev_b32_e32 v11, 1, v34
	s_cmp_eq_u64 s[18:19], 0
	s_waitcnt vmcnt(3) lgkmcnt(0)
	v_pk_mul_f32 v[0:1], v[0:1], s[8:9] op_sel_hi:[1,0]
	v_cvt_f16_f32_e32 v20, v1
	v_cvt_f16_f32_e32 v23, v0
	v_pk_mul_f32 v[0:1], v[2:3], s[8:9] op_sel_hi:[1,0]
	v_cvt_f16_f32_e32 v25, v0
	v_lshlrev_b32_e32 v0, 8, v8
	v_cvt_f16_f32_e32 v24, v1
	v_add_lshl_u32 v26, v0, v11, 2
	s_waitcnt vmcnt(2)
	v_pk_mul_f32 v[0:1], v[4:5], s[8:9] op_sel_hi:[1,0]
	v_pk_mul_f32 v[2:3], v[6:7], s[8:9] op_sel_hi:[1,0]
	v_cvt_f16_f32_e32 v4, v1
	v_cvt_f16_f32_e32 v3, v3
	;; [unrolled: 1-line block ×4, first 2 shown]
	v_pack_b32_f16 v1, v25, v24
	v_pack_b32_f16 v0, v23, v20
	;; [unrolled: 1-line block ×4, first 2 shown]
	v_add_u32_e32 v4, 0x2000, v26
	ds_write2_b64 v4, v[0:1], v[2:3] offset0:128 offset1:160
	s_waitcnt vmcnt(1)
	v_pk_mul_f32 v[0:1], v[12:13], s[8:9] op_sel_hi:[1,0]
	v_pk_mul_f32 v[2:3], v[14:15], s[8:9] op_sel_hi:[1,0]
	v_cvt_f16_f32_e32 v4, v1
	v_cvt_f16_f32_e32 v1, v3
	;; [unrolled: 1-line block ×4, first 2 shown]
	v_lshlrev_b32_e32 v3, 6, v21
	v_add_lshl_u32 v3, v3, v11, 2
	v_pack_b32_f16 v1, v2, v1
	v_pack_b32_f16 v0, v0, v4
	ds_write_b64 v3, v[0:1] offset:9216
	s_waitcnt vmcnt(0)
	v_pk_mul_f32 v[0:1], v[16:17], s[8:9] op_sel_hi:[1,0]
	v_pk_mul_f32 v[2:3], v[18:19], s[8:9] op_sel_hi:[1,0]
	v_cvt_f16_f32_e32 v4, v1
	v_cvt_f16_f32_e32 v1, v3
	v_cvt_f16_f32_e32 v2, v2
	v_cvt_f16_f32_e32 v0, v0
	v_lshlrev_b32_e32 v3, 6, v22
	v_add_lshl_u32 v3, v3, v11, 2
	v_pack_b32_f16 v1, v2, v1
	v_pack_b32_f16 v0, v0, v4
	ds_write_b64 v3, v[0:1] offset:9216
	s_waitcnt lgkmcnt(0)
	s_barrier
	s_cbranch_scc1 .LBB81_4
; %bb.3:
	s_load_dword s8, s[4:5], 0xd0
	s_mov_b32 s9, 0
	s_waitcnt lgkmcnt(0)
	s_mul_i32 s8, s8, s33
	s_add_i32 s8, s8, s6
	s_lshl_b64 s[8:9], s[8:9], 2
	s_add_u32 s8, s18, s8
	s_addc_u32 s9, s19, s9
	s_load_dword s30, s[8:9], 0x0
.LBB81_4:
	s_lshl_b32 s6, s7, 6
	s_waitcnt lgkmcnt(0)
	s_cmp_lt_i32 s6, s30
	v_mbcnt_lo_u32_b32 v12, -1, 0
	s_cbranch_scc1 .LBB81_6
; %bb.5:
	v_mbcnt_hi_u32_b32 v36, -1, v12
	v_and_b32_e32 v0, 0x60, v36
	s_mov_b32 s15, 0
	v_add_u32_e32 v61, 32, v0
	v_xor_b32_e32 v64, 16, v36
	v_xor_b32_e32 v65, 8, v36
	;; [unrolled: 1-line block ×5, first 2 shown]
	s_mov_b64 s[8:9], 0
	s_mov_b32 s18, 0xfeffffff
	s_branch .LBB81_7
.LBB81_6:
	s_mov_b64 s[8:9], -1
                                        ; implicit-def: $sgpr18
                                        ; implicit-def: $sgpr15
                                        ; implicit-def: $vgpr36
                                        ; implicit-def: $vgpr61
                                        ; implicit-def: $vgpr64
                                        ; implicit-def: $vgpr65
                                        ; implicit-def: $vgpr66
                                        ; implicit-def: $vgpr63
                                        ; implicit-def: $vgpr62
.LBB81_7:
	v_lshlrev_b32_e32 v32, 2, v34
	s_andn2_b64 vcc, exec, s[8:9]
	v_mov_b32_e32 v3, s18
	v_mov_b32_e32 v5, s15
	;; [unrolled: 1-line block ×16, first 2 shown]
	s_cbranch_vccnz .LBB81_43
; %bb.8:
	s_sub_i32 s8, 0, s29
	s_mul_i32 s8, s8, s38
	s_mul_hi_u32 s8, s38, s8
	s_add_i32 s38, s38, s8
	s_load_dwordx4 s[24:27], s[4:5], 0x98
	s_load_dword s8, s[4:5], 0x54
	s_load_dwordx2 s[18:19], s[4:5], 0x8c
	s_abs_i32 s9, s28
	s_ashr_i32 s40, s28, 31
	s_waitcnt lgkmcnt(0)
	s_ashr_i32 s15, s26, 2
	s_ashr_i32 s26, s37, 1
	;; [unrolled: 1-line block ×3, first 2 shown]
	s_mul_i32 s25, s33, s25
	s_mul_hi_u32 s41, s33, s24
	s_add_i32 s25, s41, s25
	s_mul_i32 s41, s37, s24
	s_ashr_i32 s31, s31, 31
	s_ashr_i32 s18, s18, 2
	s_add_i32 s25, s25, s41
	s_mul_i32 s24, s33, s24
	s_mul_hi_u32 s36, s9, s38
	s_add_u32 s10, s10, s24
	s_addc_u32 s11, s11, s25
	s_mul_i32 s25, s36, s29
	s_sub_i32 s9, s9, s25
	s_xor_b32 s24, s40, s31
	s_add_i32 s25, s36, 1
	s_sub_i32 s31, s9, s29
	s_cmp_ge_u32 s9, s29
	s_cselect_b32 s25, s25, s36
	s_cselect_b32 s9, s31, s9
	s_add_i32 s31, s25, 1
	s_cmp_ge_u32 s9, s29
	s_cselect_b32 s9, s31, s25
	s_load_dwordx2 s[38:39], s[4:5], 0xa8
	s_xor_b32 s9, s9, s24
	s_sub_i32 s9, s9, s24
	s_mul_i32 s19, s9, s19
	s_ashr_i32 s24, s19, 31
	s_add_u32 s19, s10, s19
	s_addc_u32 s24, s11, s24
	s_waitcnt lgkmcnt(0)
	s_mul_i32 s10, s33, s39
	s_mul_hi_u32 s11, s33, s38
	s_add_i32 s10, s11, s10
	s_mul_i32 s37, s37, s38
	s_add_i32 s10, s10, s37
	s_mul_i32 s11, s33, s38
	s_add_u32 s11, s12, s11
	s_mul_i32 s9, s9, s27
	v_lshrrev_b32_e32 v0, 3, v34
	s_addc_u32 s10, s13, s10
	s_ashr_i32 s13, s9, 31
	v_add_u32_e32 v1, v0, v10
	v_and_b32_e32 v0, 28, v32
	s_add_u32 s12, s11, s9
	v_lshlrev_b32_e32 v2, 2, v0
	s_movk_i32 s9, 0x90
	v_mad_u32_u24 v37, v1, s9, v2
	v_mul_lo_u32 v2, s18, v1
	v_mov_b32_e32 v1, 0x2400
	v_lshl_add_u32 v40, v8, 10, v1
	v_add3_u32 v1, s14, v33, 1
	v_mul_hi_u32 v6, s0, v1
	v_add_u32_e32 v6, v1, v6
	v_lshrrev_b32_e32 v6, s1, v6
	v_mul_lo_u32 v6, v6, s2
	v_sub_u32_e32 v1, v1, v6
	v_mul_lo_u32 v42, v1, s26
	v_mov_b32_e32 v1, 0x4400
	v_lshl_add_u32 v43, v8, 9, v1
	v_lshrrev_b32_e32 v1, 4, v34
	v_add_u32_e32 v1, v1, v33
	v_and_b32_e32 v6, 60, v32
	v_mul_lo_u32 v14, s15, v1
	s_addc_u32 s13, s10, s13
	v_lshl_add_u32 v4, s18, 5, v2
	v_lshlrev_b32_e32 v7, 2, v6
	v_lshl_add_u32 v18, s15, 4, v14
	v_mov_b32_e32 v54, 0
	v_ashrrev_i32_e32 v3, 31, v2
	v_ashrrev_i32_e32 v5, 31, v4
	v_lshl_or_b32 v45, v1, 8, v7
	v_ashrrev_i32_e32 v15, 31, v14
	v_ashrrev_i32_e32 v19, 31, v18
	s_add_u32 s0, s4, 0xd0
	v_mov_b32_e32 v16, 0xfeffffff
	v_add_u32_e32 v38, 0x1200, v37
	v_mul_u32_u24_e32 v39, 0x90, v34
	v_mul_lo_u32 v41, v9, s26
	v_lshlrev_b32_e32 v44, 3, v34
	v_add_u32_e32 v46, 0x1000, v45
	s_addc_u32 s1, s5, 0
	s_mov_b32 s9, s8
	v_lshlrev_b64 v[8:9], 2, v[2:3]
	v_lshlrev_b32_e32 v47, 2, v0
	v_lshlrev_b64 v[10:11], 2, v[4:5]
	s_mov_b32 s25, 0x3f200000
	s_mov_b32 s26, 0x3fb8aa3b
	;; [unrolled: 1-line block ×4, first 2 shown]
	v_mov_b32_e32 v48, 0xbd5c1c4e
	v_mov_b32_e32 v49, 0x3e088382
	;; [unrolled: 1-line block ×3, first 2 shown]
	s_brev_b32 s31, -2
	v_mbcnt_hi_u32_b32 v36, -1, v12
	v_lshlrev_b64 v[12:13], 2, v[14:15]
	v_lshlrev_b32_e32 v51, 2, v6
	v_lshlrev_b64 v[14:15], 2, v[18:19]
	v_mov_b32_e32 v52, 0x7f800000
	v_mov_b32_e32 v57, 0
	;; [unrolled: 1-line block ×15, first 2 shown]
.LBB81_9:                               ; =>This Inner Loop Header: Depth=1
	s_mul_hi_i32 s11, s6, s18
	s_mul_i32 s10, s6, s18
	s_lshl_b64 s[10:11], s[10:11], 2
	s_add_u32 s10, s19, s10
	s_addc_u32 s11, s24, s11
	v_mov_b32_e32 v2, s11
	v_add_co_u32_e32 v3, vcc, s10, v8
	v_addc_co_u32_e32 v18, vcc, v2, v9, vcc
	v_add_co_u32_e32 v2, vcc, v3, v47
	v_addc_co_u32_e32 v3, vcc, 0, v18, vcc
	v_mov_b32_e32 v18, s11
	v_add_co_u32_e32 v19, vcc, s10, v10
	v_addc_co_u32_e32 v20, vcc, v18, v11, vcc
	v_add_co_u32_e32 v18, vcc, v19, v47
	v_addc_co_u32_e32 v19, vcc, 0, v20, vcc
	global_load_dwordx4 v[62:65], v[2:3], off
	global_load_dwordx4 v[66:69], v[18:19], off
	v_mov_b32_e32 v20, 0
	v_mov_b32_e32 v27, 0
	;; [unrolled: 1-line block ×8, first 2 shown]
	s_waitcnt vmcnt(1)
	ds_write_b128 v37, v[62:65]
	s_waitcnt vmcnt(0)
	ds_write_b128 v38, v[66:69]
	s_waitcnt lgkmcnt(0)
	s_barrier
	ds_read_b128 v[62:65], v40
	ds_read_b128 v[66:69], v39
	ds_read_b128 v[70:73], v39 offset:4608
	ds_read_b128 v[74:77], v40 offset:256
	;; [unrolled: 1-line block ×4, first 2 shown]
	s_waitcnt lgkmcnt(4)
	;;#ASMSTART
	v_dot2_f32_f16 v20, v66, v62, v20
	;;#ASMEND
	;;#ASMSTART
	v_dot2_f32_f16 v20, v67, v63, v20
	;;#ASMEND
	;;#ASMSTART
	v_dot2_f32_f16 v20, v68, v64, v20
	;;#ASMEND
	;;#ASMSTART
	v_dot2_f32_f16 v20, v69, v65, v20
	;;#ASMEND
	s_waitcnt lgkmcnt(2)
	;;#ASMSTART
	v_dot2_f32_f16 v27, v66, v74, v27
	;;#ASMEND
	;;#ASMSTART
	v_dot2_f32_f16 v27, v67, v75, v27
	;;#ASMEND
	;;#ASMSTART
	v_dot2_f32_f16 v27, v68, v76, v27
	;;#ASMEND
	;;#ASMSTART
	v_dot2_f32_f16 v27, v69, v77, v27
	;;#ASMEND
	;; [unrolled: 13-line block ×4, first 2 shown]
	;;#ASMSTART
	v_dot2_f32_f16 v21, v70, v62, v21
	;;#ASMEND
	;;#ASMSTART
	v_dot2_f32_f16 v21, v71, v63, v21
	;;#ASMEND
	;; [unrolled: 3-line block ×16, first 2 shown]
	ds_read_b128 v[62:65], v40 offset:16
	ds_read_b128 v[66:69], v39 offset:16
	;; [unrolled: 1-line block ×6, first 2 shown]
	s_waitcnt lgkmcnt(4)
	;;#ASMSTART
	v_dot2_f32_f16 v20, v66, v62, v20
	;;#ASMEND
	;;#ASMSTART
	v_dot2_f32_f16 v20, v67, v63, v20
	;;#ASMEND
	;;#ASMSTART
	v_dot2_f32_f16 v20, v68, v64, v20
	;;#ASMEND
	;;#ASMSTART
	v_dot2_f32_f16 v20, v69, v65, v20
	;;#ASMEND
	s_waitcnt lgkmcnt(2)
	;;#ASMSTART
	v_dot2_f32_f16 v27, v66, v74, v27
	;;#ASMEND
	;;#ASMSTART
	v_dot2_f32_f16 v27, v67, v75, v27
	;;#ASMEND
	;;#ASMSTART
	v_dot2_f32_f16 v27, v68, v76, v27
	;;#ASMEND
	;;#ASMSTART
	v_dot2_f32_f16 v27, v69, v77, v27
	;;#ASMEND
	;; [unrolled: 13-line block ×4, first 2 shown]
	;;#ASMSTART
	v_dot2_f32_f16 v21, v70, v62, v21
	;;#ASMEND
	;;#ASMSTART
	v_dot2_f32_f16 v21, v71, v63, v21
	;;#ASMEND
	;; [unrolled: 3-line block ×16, first 2 shown]
	ds_read_b128 v[62:65], v40 offset:32
	ds_read_b128 v[66:69], v39 offset:32
	;; [unrolled: 1-line block ×6, first 2 shown]
	s_waitcnt lgkmcnt(4)
	;;#ASMSTART
	v_dot2_f32_f16 v20, v66, v62, v20
	;;#ASMEND
	;;#ASMSTART
	v_dot2_f32_f16 v20, v67, v63, v20
	;;#ASMEND
	;;#ASMSTART
	v_dot2_f32_f16 v20, v68, v64, v20
	;;#ASMEND
	;;#ASMSTART
	v_dot2_f32_f16 v20, v69, v65, v20
	;;#ASMEND
	s_waitcnt lgkmcnt(2)
	;;#ASMSTART
	v_dot2_f32_f16 v27, v66, v74, v27
	;;#ASMEND
	;;#ASMSTART
	v_dot2_f32_f16 v27, v67, v75, v27
	;;#ASMEND
	;;#ASMSTART
	v_dot2_f32_f16 v27, v68, v76, v27
	;;#ASMEND
	;;#ASMSTART
	v_dot2_f32_f16 v27, v69, v77, v27
	;;#ASMEND
	;; [unrolled: 13-line block ×4, first 2 shown]
	;;#ASMSTART
	v_dot2_f32_f16 v21, v70, v62, v21
	;;#ASMEND
	;;#ASMSTART
	v_dot2_f32_f16 v21, v71, v63, v21
	;;#ASMEND
	;; [unrolled: 3-line block ×16, first 2 shown]
	ds_read_b128 v[62:65], v40 offset:48
	ds_read_b128 v[66:69], v39 offset:48
	;; [unrolled: 1-line block ×6, first 2 shown]
	s_waitcnt lgkmcnt(4)
	;;#ASMSTART
	v_dot2_f32_f16 v20, v66, v62, v20
	;;#ASMEND
	;;#ASMSTART
	v_dot2_f32_f16 v20, v67, v63, v20
	;;#ASMEND
	;;#ASMSTART
	v_dot2_f32_f16 v20, v68, v64, v20
	;;#ASMEND
	;;#ASMSTART
	v_dot2_f32_f16 v20, v69, v65, v20
	;;#ASMEND
	s_waitcnt lgkmcnt(2)
	;;#ASMSTART
	v_dot2_f32_f16 v27, v66, v74, v27
	;;#ASMEND
	;;#ASMSTART
	v_dot2_f32_f16 v27, v67, v75, v27
	;;#ASMEND
	;;#ASMSTART
	v_dot2_f32_f16 v27, v68, v76, v27
	;;#ASMEND
	;;#ASMSTART
	v_dot2_f32_f16 v27, v69, v77, v27
	;;#ASMEND
	;; [unrolled: 13-line block ×4, first 2 shown]
	;;#ASMSTART
	v_dot2_f32_f16 v21, v70, v62, v21
	;;#ASMEND
	;;#ASMSTART
	v_dot2_f32_f16 v21, v71, v63, v21
	;;#ASMEND
	;;#ASMSTART
	v_dot2_f32_f16 v21, v72, v64, v21
	;;#ASMEND
	;;#ASMSTART
	v_dot2_f32_f16 v21, v73, v65, v21
	;;#ASMEND
	;;#ASMSTART
	v_dot2_f32_f16 v60, v70, v74, v60
	;;#ASMEND
	;;#ASMSTART
	v_dot2_f32_f16 v60, v71, v75, v60
	;;#ASMEND
	;;#ASMSTART
	v_dot2_f32_f16 v60, v72, v76, v60
	;;#ASMEND
	;;#ASMSTART
	v_dot2_f32_f16 v60, v73, v77, v60
	;;#ASMEND
	;;#ASMSTART
	v_dot2_f32_f16 v26, v70, v78, v26
	;;#ASMEND
	;;#ASMSTART
	v_dot2_f32_f16 v26, v71, v79, v26
	;;#ASMEND
	;;#ASMSTART
	v_dot2_f32_f16 v26, v72, v80, v26
	;;#ASMEND
	;;#ASMSTART
	v_dot2_f32_f16 v26, v73, v81, v26
	;;#ASMEND
	;;#ASMSTART
	v_dot2_f32_f16 v24, v70, v82, v24
	;;#ASMEND
	;;#ASMSTART
	v_dot2_f32_f16 v24, v71, v83, v24
	;;#ASMEND
	;;#ASMSTART
	v_dot2_f32_f16 v24, v72, v84, v24
	;;#ASMEND
	;;#ASMSTART
	v_dot2_f32_f16 v24, v73, v85, v24
	;;#ASMEND
	ds_read_b128 v[62:65], v40 offset:64
	ds_read_b128 v[66:69], v39 offset:64
	;; [unrolled: 1-line block ×6, first 2 shown]
	s_waitcnt lgkmcnt(4)
	;;#ASMSTART
	v_dot2_f32_f16 v20, v66, v62, v20
	;;#ASMEND
	;;#ASMSTART
	v_dot2_f32_f16 v20, v67, v63, v20
	;;#ASMEND
	;;#ASMSTART
	v_dot2_f32_f16 v20, v68, v64, v20
	;;#ASMEND
	;;#ASMSTART
	v_dot2_f32_f16 v20, v69, v65, v20
	;;#ASMEND
	s_waitcnt lgkmcnt(2)
	;;#ASMSTART
	v_dot2_f32_f16 v27, v66, v74, v27
	;;#ASMEND
	;;#ASMSTART
	v_dot2_f32_f16 v27, v67, v75, v27
	;;#ASMEND
	;;#ASMSTART
	v_dot2_f32_f16 v27, v68, v76, v27
	;;#ASMEND
	;;#ASMSTART
	v_dot2_f32_f16 v27, v69, v77, v27
	;;#ASMEND
	;; [unrolled: 13-line block ×4, first 2 shown]
	;;#ASMSTART
	v_dot2_f32_f16 v21, v70, v62, v21
	;;#ASMEND
	;;#ASMSTART
	v_dot2_f32_f16 v21, v71, v63, v21
	;;#ASMEND
	;; [unrolled: 3-line block ×16, first 2 shown]
	ds_read_b128 v[62:65], v40 offset:80
	ds_read_b128 v[66:69], v39 offset:80
	;; [unrolled: 1-line block ×6, first 2 shown]
	s_waitcnt lgkmcnt(4)
	;;#ASMSTART
	v_dot2_f32_f16 v20, v66, v62, v20
	;;#ASMEND
	;;#ASMSTART
	v_dot2_f32_f16 v20, v67, v63, v20
	;;#ASMEND
	;;#ASMSTART
	v_dot2_f32_f16 v20, v68, v64, v20
	;;#ASMEND
	;;#ASMSTART
	v_dot2_f32_f16 v20, v69, v65, v20
	;;#ASMEND
	s_waitcnt lgkmcnt(2)
	;;#ASMSTART
	v_dot2_f32_f16 v27, v66, v74, v27
	;;#ASMEND
	;;#ASMSTART
	v_dot2_f32_f16 v27, v67, v75, v27
	;;#ASMEND
	;;#ASMSTART
	v_dot2_f32_f16 v27, v68, v76, v27
	;;#ASMEND
	;;#ASMSTART
	v_dot2_f32_f16 v27, v69, v77, v27
	;;#ASMEND
	;; [unrolled: 13-line block ×4, first 2 shown]
	;;#ASMSTART
	v_dot2_f32_f16 v21, v70, v62, v21
	;;#ASMEND
	;;#ASMSTART
	v_dot2_f32_f16 v21, v71, v63, v21
	;;#ASMEND
	;; [unrolled: 3-line block ×16, first 2 shown]
	ds_read_b128 v[62:65], v40 offset:96
	ds_read_b128 v[66:69], v39 offset:96
	ds_read_b128 v[70:73], v39 offset:4704
	ds_read_b128 v[74:77], v40 offset:352
	ds_read_b128 v[78:81], v40 offset:608
	ds_read_b128 v[82:85], v40 offset:864
	s_waitcnt lgkmcnt(4)
	;;#ASMSTART
	v_dot2_f32_f16 v20, v66, v62, v20
	;;#ASMEND
	;;#ASMSTART
	v_dot2_f32_f16 v20, v67, v63, v20
	;;#ASMEND
	;;#ASMSTART
	v_dot2_f32_f16 v20, v68, v64, v20
	;;#ASMEND
	;;#ASMSTART
	v_dot2_f32_f16 v20, v69, v65, v20
	;;#ASMEND
	s_waitcnt lgkmcnt(2)
	;;#ASMSTART
	v_dot2_f32_f16 v27, v66, v74, v27
	;;#ASMEND
	;;#ASMSTART
	v_dot2_f32_f16 v27, v67, v75, v27
	;;#ASMEND
	;;#ASMSTART
	v_dot2_f32_f16 v27, v68, v76, v27
	;;#ASMEND
	;;#ASMSTART
	v_dot2_f32_f16 v27, v69, v77, v27
	;;#ASMEND
	;; [unrolled: 13-line block ×4, first 2 shown]
	;;#ASMSTART
	v_dot2_f32_f16 v21, v70, v62, v21
	;;#ASMEND
	;;#ASMSTART
	v_dot2_f32_f16 v21, v71, v63, v21
	;;#ASMEND
	;; [unrolled: 3-line block ×16, first 2 shown]
	ds_read_b128 v[62:65], v40 offset:112
	ds_read_b128 v[66:69], v39 offset:112
	;; [unrolled: 1-line block ×6, first 2 shown]
	s_waitcnt lgkmcnt(4)
	;;#ASMSTART
	v_dot2_f32_f16 v20, v66, v62, v20
	;;#ASMEND
	;;#ASMSTART
	v_dot2_f32_f16 v20, v67, v63, v20
	;;#ASMEND
	;;#ASMSTART
	v_dot2_f32_f16 v20, v68, v64, v20
	;;#ASMEND
	;;#ASMSTART
	v_dot2_f32_f16 v20, v69, v65, v20
	;;#ASMEND
	s_waitcnt lgkmcnt(2)
	;;#ASMSTART
	v_dot2_f32_f16 v27, v66, v74, v27
	;;#ASMEND
	;;#ASMSTART
	v_dot2_f32_f16 v27, v67, v75, v27
	;;#ASMEND
	;;#ASMSTART
	v_dot2_f32_f16 v27, v68, v76, v27
	;;#ASMEND
	;;#ASMSTART
	v_dot2_f32_f16 v27, v69, v77, v27
	;;#ASMEND
	;; [unrolled: 13-line block ×4, first 2 shown]
	;;#ASMSTART
	v_dot2_f32_f16 v21, v70, v62, v21
	;;#ASMEND
	;;#ASMSTART
	v_dot2_f32_f16 v21, v71, v63, v21
	;;#ASMEND
	;; [unrolled: 3-line block ×16, first 2 shown]
	s_barrier
	global_load_dwordx4 v[62:65], v[2:3], off offset:128
	global_load_dwordx4 v[66:69], v[18:19], off offset:128
	s_waitcnt vmcnt(1)
	ds_write_b128 v37, v[62:65]
	s_waitcnt vmcnt(0)
	ds_write_b128 v38, v[66:69]
	s_waitcnt lgkmcnt(0)
	s_barrier
	ds_read_b128 v[62:65], v40 offset:128
	ds_read_b128 v[66:69], v39
	ds_read_b128 v[70:73], v39 offset:4608
	ds_read_b128 v[74:77], v40 offset:384
	;; [unrolled: 1-line block ×4, first 2 shown]
	s_waitcnt lgkmcnt(4)
	;;#ASMSTART
	v_dot2_f32_f16 v20, v66, v62, v20
	;;#ASMEND
	;;#ASMSTART
	v_dot2_f32_f16 v20, v67, v63, v20
	;;#ASMEND
	;;#ASMSTART
	v_dot2_f32_f16 v20, v68, v64, v20
	;;#ASMEND
	;;#ASMSTART
	v_dot2_f32_f16 v20, v69, v65, v20
	;;#ASMEND
	s_waitcnt lgkmcnt(2)
	;;#ASMSTART
	v_dot2_f32_f16 v27, v66, v74, v27
	;;#ASMEND
	;;#ASMSTART
	v_dot2_f32_f16 v27, v67, v75, v27
	;;#ASMEND
	;;#ASMSTART
	v_dot2_f32_f16 v27, v68, v76, v27
	;;#ASMEND
	;;#ASMSTART
	v_dot2_f32_f16 v27, v69, v77, v27
	;;#ASMEND
	s_waitcnt lgkmcnt(1)
	;;#ASMSTART
	v_dot2_f32_f16 v25, v66, v78, v25
	;;#ASMEND
	;;#ASMSTART
	v_dot2_f32_f16 v25, v67, v79, v25
	;;#ASMEND
	;;#ASMSTART
	v_dot2_f32_f16 v25, v68, v80, v25
	;;#ASMEND
	;;#ASMSTART
	v_dot2_f32_f16 v25, v69, v81, v25
	;;#ASMEND
	s_waitcnt lgkmcnt(0)
	;;#ASMSTART
	v_dot2_f32_f16 v22, v66, v82, v22
	;;#ASMEND
	;;#ASMSTART
	v_dot2_f32_f16 v22, v67, v83, v22
	;;#ASMEND
	;;#ASMSTART
	v_dot2_f32_f16 v22, v68, v84, v22
	;;#ASMEND
	;;#ASMSTART
	v_dot2_f32_f16 v22, v69, v85, v22
	;;#ASMEND
	;;#ASMSTART
	v_dot2_f32_f16 v21, v70, v62, v21
	;;#ASMEND
	;;#ASMSTART
	v_dot2_f32_f16 v21, v71, v63, v21
	;;#ASMEND
	;; [unrolled: 3-line block ×16, first 2 shown]
	ds_read_b128 v[62:65], v40 offset:144
	ds_read_b128 v[66:69], v39 offset:16
	;; [unrolled: 1-line block ×6, first 2 shown]
	s_waitcnt lgkmcnt(4)
	;;#ASMSTART
	v_dot2_f32_f16 v20, v66, v62, v20
	;;#ASMEND
	;;#ASMSTART
	v_dot2_f32_f16 v20, v67, v63, v20
	;;#ASMEND
	;;#ASMSTART
	v_dot2_f32_f16 v20, v68, v64, v20
	;;#ASMEND
	;;#ASMSTART
	v_dot2_f32_f16 v20, v69, v65, v20
	;;#ASMEND
	s_waitcnt lgkmcnt(2)
	;;#ASMSTART
	v_dot2_f32_f16 v27, v66, v74, v27
	;;#ASMEND
	;;#ASMSTART
	v_dot2_f32_f16 v27, v67, v75, v27
	;;#ASMEND
	;;#ASMSTART
	v_dot2_f32_f16 v27, v68, v76, v27
	;;#ASMEND
	;;#ASMSTART
	v_dot2_f32_f16 v27, v69, v77, v27
	;;#ASMEND
	;; [unrolled: 13-line block ×4, first 2 shown]
	;;#ASMSTART
	v_dot2_f32_f16 v21, v70, v62, v21
	;;#ASMEND
	;;#ASMSTART
	v_dot2_f32_f16 v21, v71, v63, v21
	;;#ASMEND
	;;#ASMSTART
	v_dot2_f32_f16 v21, v72, v64, v21
	;;#ASMEND
	;;#ASMSTART
	v_dot2_f32_f16 v21, v73, v65, v21
	;;#ASMEND
	;;#ASMSTART
	v_dot2_f32_f16 v60, v70, v74, v60
	;;#ASMEND
	;;#ASMSTART
	v_dot2_f32_f16 v60, v71, v75, v60
	;;#ASMEND
	;;#ASMSTART
	v_dot2_f32_f16 v60, v72, v76, v60
	;;#ASMEND
	;;#ASMSTART
	v_dot2_f32_f16 v60, v73, v77, v60
	;;#ASMEND
	;;#ASMSTART
	v_dot2_f32_f16 v26, v70, v78, v26
	;;#ASMEND
	;;#ASMSTART
	v_dot2_f32_f16 v26, v71, v79, v26
	;;#ASMEND
	;;#ASMSTART
	v_dot2_f32_f16 v26, v72, v80, v26
	;;#ASMEND
	;;#ASMSTART
	v_dot2_f32_f16 v26, v73, v81, v26
	;;#ASMEND
	;;#ASMSTART
	v_dot2_f32_f16 v24, v70, v82, v24
	;;#ASMEND
	;;#ASMSTART
	v_dot2_f32_f16 v24, v71, v83, v24
	;;#ASMEND
	;;#ASMSTART
	v_dot2_f32_f16 v24, v72, v84, v24
	;;#ASMEND
	;;#ASMSTART
	v_dot2_f32_f16 v24, v73, v85, v24
	;;#ASMEND
	ds_read_b128 v[62:65], v40 offset:160
	ds_read_b128 v[66:69], v39 offset:32
	ds_read_b128 v[70:73], v39 offset:4640
	ds_read_b128 v[74:77], v40 offset:416
	ds_read_b128 v[78:81], v40 offset:672
	ds_read_b128 v[82:85], v40 offset:928
	s_waitcnt lgkmcnt(4)
	;;#ASMSTART
	v_dot2_f32_f16 v20, v66, v62, v20
	;;#ASMEND
	;;#ASMSTART
	v_dot2_f32_f16 v20, v67, v63, v20
	;;#ASMEND
	;;#ASMSTART
	v_dot2_f32_f16 v20, v68, v64, v20
	;;#ASMEND
	;;#ASMSTART
	v_dot2_f32_f16 v20, v69, v65, v20
	;;#ASMEND
	s_waitcnt lgkmcnt(2)
	;;#ASMSTART
	v_dot2_f32_f16 v27, v66, v74, v27
	;;#ASMEND
	;;#ASMSTART
	v_dot2_f32_f16 v27, v67, v75, v27
	;;#ASMEND
	;;#ASMSTART
	v_dot2_f32_f16 v27, v68, v76, v27
	;;#ASMEND
	;;#ASMSTART
	v_dot2_f32_f16 v27, v69, v77, v27
	;;#ASMEND
	;; [unrolled: 13-line block ×4, first 2 shown]
	;;#ASMSTART
	v_dot2_f32_f16 v21, v70, v62, v21
	;;#ASMEND
	;;#ASMSTART
	v_dot2_f32_f16 v21, v71, v63, v21
	;;#ASMEND
	;; [unrolled: 3-line block ×16, first 2 shown]
	ds_read_b128 v[62:65], v40 offset:176
	ds_read_b128 v[66:69], v39 offset:48
	;; [unrolled: 1-line block ×6, first 2 shown]
	s_waitcnt lgkmcnt(4)
	;;#ASMSTART
	v_dot2_f32_f16 v20, v66, v62, v20
	;;#ASMEND
	;;#ASMSTART
	v_dot2_f32_f16 v20, v67, v63, v20
	;;#ASMEND
	;;#ASMSTART
	v_dot2_f32_f16 v20, v68, v64, v20
	;;#ASMEND
	;;#ASMSTART
	v_dot2_f32_f16 v20, v69, v65, v20
	;;#ASMEND
	s_waitcnt lgkmcnt(2)
	;;#ASMSTART
	v_dot2_f32_f16 v27, v66, v74, v27
	;;#ASMEND
	;;#ASMSTART
	v_dot2_f32_f16 v27, v67, v75, v27
	;;#ASMEND
	;;#ASMSTART
	v_dot2_f32_f16 v27, v68, v76, v27
	;;#ASMEND
	;;#ASMSTART
	v_dot2_f32_f16 v27, v69, v77, v27
	;;#ASMEND
	;; [unrolled: 13-line block ×4, first 2 shown]
	;;#ASMSTART
	v_dot2_f32_f16 v21, v70, v62, v21
	;;#ASMEND
	;;#ASMSTART
	v_dot2_f32_f16 v21, v71, v63, v21
	;;#ASMEND
	;; [unrolled: 3-line block ×16, first 2 shown]
	ds_read_b128 v[62:65], v40 offset:192
	ds_read_b128 v[66:69], v39 offset:64
	;; [unrolled: 1-line block ×6, first 2 shown]
	s_waitcnt lgkmcnt(4)
	;;#ASMSTART
	v_dot2_f32_f16 v20, v66, v62, v20
	;;#ASMEND
	;;#ASMSTART
	v_dot2_f32_f16 v20, v67, v63, v20
	;;#ASMEND
	;;#ASMSTART
	v_dot2_f32_f16 v20, v68, v64, v20
	;;#ASMEND
	;;#ASMSTART
	v_dot2_f32_f16 v20, v69, v65, v20
	;;#ASMEND
	s_waitcnt lgkmcnt(2)
	;;#ASMSTART
	v_dot2_f32_f16 v27, v66, v74, v27
	;;#ASMEND
	;;#ASMSTART
	v_dot2_f32_f16 v27, v67, v75, v27
	;;#ASMEND
	;;#ASMSTART
	v_dot2_f32_f16 v27, v68, v76, v27
	;;#ASMEND
	;;#ASMSTART
	v_dot2_f32_f16 v27, v69, v77, v27
	;;#ASMEND
	;; [unrolled: 13-line block ×4, first 2 shown]
	;;#ASMSTART
	v_dot2_f32_f16 v21, v70, v62, v21
	;;#ASMEND
	;;#ASMSTART
	v_dot2_f32_f16 v21, v71, v63, v21
	;;#ASMEND
	;; [unrolled: 3-line block ×16, first 2 shown]
	ds_read_b128 v[62:65], v40 offset:208
	ds_read_b128 v[66:69], v39 offset:80
	;; [unrolled: 1-line block ×6, first 2 shown]
	s_waitcnt lgkmcnt(4)
	;;#ASMSTART
	v_dot2_f32_f16 v20, v66, v62, v20
	;;#ASMEND
	;;#ASMSTART
	v_dot2_f32_f16 v20, v67, v63, v20
	;;#ASMEND
	;;#ASMSTART
	v_dot2_f32_f16 v20, v68, v64, v20
	;;#ASMEND
	;;#ASMSTART
	v_dot2_f32_f16 v20, v69, v65, v20
	;;#ASMEND
	s_waitcnt lgkmcnt(2)
	;;#ASMSTART
	v_dot2_f32_f16 v27, v66, v74, v27
	;;#ASMEND
	;;#ASMSTART
	v_dot2_f32_f16 v27, v67, v75, v27
	;;#ASMEND
	;;#ASMSTART
	v_dot2_f32_f16 v27, v68, v76, v27
	;;#ASMEND
	;;#ASMSTART
	v_dot2_f32_f16 v27, v69, v77, v27
	;;#ASMEND
	s_waitcnt lgkmcnt(1)
	;;#ASMSTART
	v_dot2_f32_f16 v25, v66, v78, v25
	;;#ASMEND
	;;#ASMSTART
	v_dot2_f32_f16 v25, v67, v79, v25
	;;#ASMEND
	;;#ASMSTART
	v_dot2_f32_f16 v25, v68, v80, v25
	;;#ASMEND
	;;#ASMSTART
	v_dot2_f32_f16 v25, v69, v81, v25
	;;#ASMEND
	s_waitcnt lgkmcnt(0)
	;;#ASMSTART
	v_dot2_f32_f16 v22, v66, v82, v22
	;;#ASMEND
	;;#ASMSTART
	v_dot2_f32_f16 v22, v67, v83, v22
	;;#ASMEND
	;;#ASMSTART
	v_dot2_f32_f16 v22, v68, v84, v22
	;;#ASMEND
	;;#ASMSTART
	v_dot2_f32_f16 v22, v69, v85, v22
	;;#ASMEND
	;;#ASMSTART
	v_dot2_f32_f16 v21, v70, v62, v21
	;;#ASMEND
	;;#ASMSTART
	v_dot2_f32_f16 v21, v71, v63, v21
	;;#ASMEND
	;; [unrolled: 3-line block ×16, first 2 shown]
	ds_read_b128 v[62:65], v40 offset:224
	ds_read_b128 v[66:69], v39 offset:96
	;; [unrolled: 1-line block ×6, first 2 shown]
	s_waitcnt lgkmcnt(4)
	;;#ASMSTART
	v_dot2_f32_f16 v20, v66, v62, v20
	;;#ASMEND
	;;#ASMSTART
	v_dot2_f32_f16 v20, v67, v63, v20
	;;#ASMEND
	;;#ASMSTART
	v_dot2_f32_f16 v20, v68, v64, v20
	;;#ASMEND
	;;#ASMSTART
	v_dot2_f32_f16 v20, v69, v65, v20
	;;#ASMEND
	s_waitcnt lgkmcnt(2)
	;;#ASMSTART
	v_dot2_f32_f16 v27, v66, v74, v27
	;;#ASMEND
	;;#ASMSTART
	v_dot2_f32_f16 v27, v67, v75, v27
	;;#ASMEND
	;;#ASMSTART
	v_dot2_f32_f16 v27, v68, v76, v27
	;;#ASMEND
	;;#ASMSTART
	v_dot2_f32_f16 v27, v69, v77, v27
	;;#ASMEND
	;; [unrolled: 13-line block ×4, first 2 shown]
	;;#ASMSTART
	v_dot2_f32_f16 v21, v70, v62, v21
	;;#ASMEND
	;;#ASMSTART
	v_dot2_f32_f16 v21, v71, v63, v21
	;;#ASMEND
	;; [unrolled: 3-line block ×16, first 2 shown]
	ds_read_b128 v[62:65], v40 offset:240
	ds_read_b128 v[66:69], v39 offset:112
	;; [unrolled: 1-line block ×6, first 2 shown]
	s_waitcnt lgkmcnt(4)
	;;#ASMSTART
	v_dot2_f32_f16 v20, v66, v62, v20
	;;#ASMEND
	;;#ASMSTART
	v_dot2_f32_f16 v20, v67, v63, v20
	;;#ASMEND
	;;#ASMSTART
	v_dot2_f32_f16 v20, v68, v64, v20
	;;#ASMEND
	;;#ASMSTART
	v_dot2_f32_f16 v20, v69, v65, v20
	;;#ASMEND
	s_waitcnt lgkmcnt(2)
	;;#ASMSTART
	v_dot2_f32_f16 v27, v66, v74, v27
	;;#ASMEND
	;;#ASMSTART
	v_dot2_f32_f16 v27, v67, v75, v27
	;;#ASMEND
	;;#ASMSTART
	v_dot2_f32_f16 v27, v68, v76, v27
	;;#ASMEND
	;;#ASMSTART
	v_dot2_f32_f16 v27, v69, v77, v27
	;;#ASMEND
	s_waitcnt lgkmcnt(1)
	;;#ASMSTART
	v_dot2_f32_f16 v25, v66, v78, v25
	;;#ASMEND
	;;#ASMSTART
	v_dot2_f32_f16 v25, v67, v79, v25
	;;#ASMEND
	;;#ASMSTART
	v_dot2_f32_f16 v25, v68, v80, v25
	;;#ASMEND
	;;#ASMSTART
	v_dot2_f32_f16 v25, v69, v81, v25
	;;#ASMEND
	s_waitcnt lgkmcnt(0)
	;;#ASMSTART
	v_dot2_f32_f16 v22, v66, v82, v22
	;;#ASMEND
	;;#ASMSTART
	v_dot2_f32_f16 v22, v67, v83, v22
	;;#ASMEND
	;;#ASMSTART
	v_dot2_f32_f16 v22, v68, v84, v22
	;;#ASMEND
	;;#ASMSTART
	v_dot2_f32_f16 v22, v69, v85, v22
	;;#ASMEND
	;;#ASMSTART
	v_dot2_f32_f16 v21, v70, v62, v21
	;;#ASMEND
	;;#ASMSTART
	v_dot2_f32_f16 v21, v71, v63, v21
	;;#ASMEND
	;; [unrolled: 3-line block ×15, first 2 shown]
	v_cmp_nlt_f32_e64 s[10:11], |v20|, s25
	;;#ASMSTART
	v_dot2_f32_f16 v24, v73, v85, v24
	;;#ASMEND
                                        ; implicit-def: $vgpr18
	s_and_saveexec_b64 s[36:37], s[10:11]
	s_xor_b64 s[10:11], exec, s[36:37]
	s_cbranch_execz .LBB81_11
; %bb.10:                               ;   in Loop: Header=BB81_9 Depth=1
	v_add_f32_e64 v2, |v20|, |v20|
	v_mul_f32_e32 v3, 0x3fb8aa3b, v2
	v_rndne_f32_e32 v18, v3
	v_sub_f32_e32 v19, v3, v18
	v_fma_f32 v3, v2, s26, -v3
	v_fmac_f32_e32 v3, 0x32a5705f, v2
	v_add_f32_e32 v3, v19, v3
	v_cvt_i32_f32_e32 v18, v18
	v_exp_f32_e32 v3, v3
	v_cmp_ngt_f32_e32 vcc, s27, v2
	v_ldexp_f32 v3, v3, v18
	v_cndmask_b32_e32 v3, 0, v3, vcc
	v_cmp_nlt_f32_e32 vcc, s29, v2
	v_cndmask_b32_e32 v2, v52, v3, vcc
	v_add_f32_e32 v2, 1.0, v2
	v_rcp_f32_e32 v2, v2
	v_fma_f32 v18, v2, -2.0, 1.0
.LBB81_11:                              ;   in Loop: Header=BB81_9 Depth=1
	s_andn2_saveexec_b64 s[10:11], s[10:11]
; %bb.12:                               ;   in Loop: Header=BB81_9 Depth=1
	v_mul_f32_e32 v2, v20, v20
	v_mov_b32_e32 v3, 0x3ca908c9
	v_fmac_f32_e32 v3, 0xbbbac73d, v2
	v_fma_f32 v3, v2, v3, v48
	v_fma_f32 v3, v2, v3, v49
	;; [unrolled: 1-line block ×3, first 2 shown]
	v_mul_f32_e64 v3, |v20|, v3
	v_fma_f32 v18, v2, v3, |v20|
; %bb.13:                               ;   in Loop: Header=BB81_9 Depth=1
	s_or_b64 exec, exec, s[10:11]
	v_add_u32_e32 v75, s6, v34
	v_add_u32_e32 v2, v75, v41
	v_ashrrev_i32_e32 v3, 31, v2
	v_lshlrev_b64 v[2:3], 1, v[2:3]
	v_mov_b32_e32 v19, s35
	v_add_co_u32_e32 v2, vcc, s34, v2
	v_addc_co_u32_e32 v3, vcc, v19, v3, vcc
	flat_load_ushort v19, v[2:3]
	v_cmp_nlt_f32_e64 s[10:11], |v21|, s25
                                        ; implicit-def: $vgpr62
	s_and_saveexec_b64 s[36:37], s[10:11]
	s_xor_b64 s[10:11], exec, s[36:37]
	s_cbranch_execz .LBB81_15
; %bb.14:                               ;   in Loop: Header=BB81_9 Depth=1
	v_add_f32_e64 v61, |v21|, |v21|
	v_mul_f32_e32 v62, 0x3fb8aa3b, v61
	v_rndne_f32_e32 v63, v62
	v_sub_f32_e32 v64, v62, v63
	v_fma_f32 v62, v61, s26, -v62
	v_fmac_f32_e32 v62, 0x32a5705f, v61
	v_add_f32_e32 v62, v64, v62
	v_cvt_i32_f32_e32 v63, v63
	v_exp_f32_e32 v62, v62
	v_cmp_ngt_f32_e32 vcc, s27, v61
	v_ldexp_f32 v62, v62, v63
	v_cndmask_b32_e32 v62, 0, v62, vcc
	v_cmp_nlt_f32_e32 vcc, s29, v61
	v_cndmask_b32_e32 v61, v52, v62, vcc
	v_add_f32_e32 v61, 1.0, v61
	v_rcp_f32_e32 v61, v61
	v_fma_f32 v62, v61, -2.0, 1.0
.LBB81_15:                              ;   in Loop: Header=BB81_9 Depth=1
	s_andn2_saveexec_b64 s[10:11], s[10:11]
; %bb.16:                               ;   in Loop: Header=BB81_9 Depth=1
	v_mul_f32_e32 v61, v21, v21
	v_mov_b32_e32 v62, 0x3ca908c9
	v_fmac_f32_e32 v62, 0xbbbac73d, v61
	v_fma_f32 v62, v61, v62, v48
	v_fma_f32 v62, v61, v62, v49
	;; [unrolled: 1-line block ×3, first 2 shown]
	v_mul_f32_e64 v62, |v21|, v62
	v_fma_f32 v62, v61, v62, |v21|
; %bb.17:                               ;   in Loop: Header=BB81_9 Depth=1
	s_or_b64 exec, exec, s[10:11]
	flat_load_ushort v2, v[2:3] offset:64
	v_bfi_b32 v3, s31, v18, v20
	v_and_b32_e32 v18, 0x60, v36
	v_add_u32_e32 v61, 32, v18
	v_xor_b32_e32 v64, 16, v36
	v_cmp_lt_i32_e32 vcc, v64, v61
	v_cndmask_b32_e32 v18, v36, v64, vcc
	v_lshlrev_b32_e32 v72, 2, v18
	v_bfi_b32 v18, s31, v62, v21
	s_waitcnt vmcnt(0) lgkmcnt(0)
	v_fma_mix_f32 v20, v3, s8, v19 op_sel_hi:[0,0,1]
	v_add_f32_e32 v3, 0x40051340, v20
	v_xor_b32_e32 v65, 8, v36
	v_cmp_lt_i32_e32 vcc, v65, v61
	v_cndmask_b32_e32 v62, v36, v65, vcc
	v_lshlrev_b32_e32 v74, 2, v62
	v_xor_b32_e32 v66, 4, v36
	v_cmp_lt_i32_e32 vcc, v66, v61
	v_cndmask_b32_e32 v62, v36, v66, vcc
	v_lshlrev_b32_e32 v71, 2, v62
	v_xor_b32_e32 v63, 2, v36
	v_cmp_lt_i32_e32 vcc, v63, v61
	v_cndmask_b32_e32 v62, v36, v63, vcc
	v_lshlrev_b32_e32 v70, 2, v62
	v_xor_b32_e32 v62, 1, v36
	v_cmp_lt_i32_e32 vcc, v62, v61
	v_cndmask_b32_e32 v67, v36, v62, vcc
	v_lshlrev_b32_e32 v69, 2, v67
	v_cmp_nlt_f32_e64 s[10:11], |v27|, s25
	v_fma_mix_f32 v18, v18, s8, v2 op_sel_hi:[0,0,1]
	v_add_f32_e32 v21, 0x40051340, v18
	v_max3_f32 v3, v16, v3, v21
	ds_bpermute_b32 v21, v72, v3
	s_waitcnt lgkmcnt(0)
	v_max_f32_e32 v21, v21, v21
	v_max_f32_e32 v3, v3, v21
	ds_bpermute_b32 v21, v74, v3
	s_waitcnt lgkmcnt(0)
	v_max_f32_e32 v21, v21, v21
	v_max_f32_e32 v3, v3, v21
	ds_bpermute_b32 v21, v71, v3
	s_waitcnt lgkmcnt(0)
	v_max_f32_e32 v21, v21, v21
	v_max_f32_e32 v3, v3, v21
	ds_bpermute_b32 v21, v70, v3
	s_waitcnt lgkmcnt(0)
	v_max_f32_e32 v21, v21, v21
	v_max_f32_e32 v67, v3, v21
	ds_bpermute_b32 v68, v69, v67
                                        ; implicit-def: $vgpr3
	s_and_saveexec_b64 s[36:37], s[10:11]
	s_xor_b64 s[10:11], exec, s[36:37]
	s_cbranch_execz .LBB81_19
; %bb.18:                               ;   in Loop: Header=BB81_9 Depth=1
	v_add_f32_e64 v3, |v27|, |v27|
	v_mul_f32_e32 v21, 0x3fb8aa3b, v3
	v_rndne_f32_e32 v73, v21
	v_sub_f32_e32 v76, v21, v73
	v_fma_f32 v21, v3, s26, -v21
	v_fmac_f32_e32 v21, 0x32a5705f, v3
	v_add_f32_e32 v21, v76, v21
	v_cvt_i32_f32_e32 v73, v73
	v_exp_f32_e32 v21, v21
	v_cmp_ngt_f32_e32 vcc, s27, v3
	v_ldexp_f32 v21, v21, v73
	v_cndmask_b32_e32 v21, 0, v21, vcc
	v_cmp_nlt_f32_e32 vcc, s29, v3
	v_cndmask_b32_e32 v3, v52, v21, vcc
	v_add_f32_e32 v3, 1.0, v3
	v_rcp_f32_e32 v3, v3
	v_fma_f32 v3, v3, -2.0, 1.0
.LBB81_19:                              ;   in Loop: Header=BB81_9 Depth=1
	s_andn2_saveexec_b64 s[10:11], s[10:11]
; %bb.20:                               ;   in Loop: Header=BB81_9 Depth=1
	v_mul_f32_e32 v3, v27, v27
	v_mov_b32_e32 v21, 0x3ca908c9
	v_fmac_f32_e32 v21, 0xbbbac73d, v3
	v_fma_f32 v21, v3, v21, v48
	v_fma_f32 v21, v3, v21, v49
	;; [unrolled: 1-line block ×3, first 2 shown]
	v_mul_f32_e64 v21, |v27|, v21
	v_fma_f32 v3, v3, v21, |v27|
; %bb.21:                               ;   in Loop: Header=BB81_9 Depth=1
	s_or_b64 exec, exec, s[10:11]
	v_cmp_nlt_f32_e64 s[10:11], |v60|, s25
                                        ; implicit-def: $vgpr73
	s_and_saveexec_b64 s[36:37], s[10:11]
	s_xor_b64 s[10:11], exec, s[36:37]
	s_cbranch_execz .LBB81_23
; %bb.22:                               ;   in Loop: Header=BB81_9 Depth=1
	v_add_f32_e64 v21, |v60|, |v60|
	v_mul_f32_e32 v73, 0x3fb8aa3b, v21
	v_rndne_f32_e32 v76, v73
	v_sub_f32_e32 v77, v73, v76
	v_fma_f32 v73, v21, s26, -v73
	v_fmac_f32_e32 v73, 0x32a5705f, v21
	v_add_f32_e32 v73, v77, v73
	v_cvt_i32_f32_e32 v76, v76
	v_exp_f32_e32 v73, v73
	v_cmp_ngt_f32_e32 vcc, s27, v21
	v_ldexp_f32 v73, v73, v76
	v_cndmask_b32_e32 v73, 0, v73, vcc
	v_cmp_nlt_f32_e32 vcc, s29, v21
	v_cndmask_b32_e32 v21, v52, v73, vcc
	v_add_f32_e32 v21, 1.0, v21
	v_rcp_f32_e32 v21, v21
	v_fma_f32 v73, v21, -2.0, 1.0
.LBB81_23:                              ;   in Loop: Header=BB81_9 Depth=1
	s_andn2_saveexec_b64 s[10:11], s[10:11]
; %bb.24:                               ;   in Loop: Header=BB81_9 Depth=1
	v_mul_f32_e32 v21, v60, v60
	v_mov_b32_e32 v73, 0x3ca908c9
	v_fmac_f32_e32 v73, 0xbbbac73d, v21
	v_fma_f32 v73, v21, v73, v48
	v_fma_f32 v73, v21, v73, v49
	;; [unrolled: 1-line block ×3, first 2 shown]
	v_mul_f32_e64 v73, |v60|, v73
	v_fma_f32 v73, v21, v73, |v60|
; %bb.25:                               ;   in Loop: Header=BB81_9 Depth=1
	s_or_b64 exec, exec, s[10:11]
	v_cvt_f32_f16_e32 v21, v19
	v_cvt_f32_f16_e32 v19, v2
	v_bfi_b32 v2, s31, v3, v27
	v_bfi_b32 v3, s31, v73, v60
	v_fmac_f32_e32 v21, s8, v2
	v_fmac_f32_e32 v19, s8, v3
	v_add_f32_e32 v2, 0x40051340, v21
	v_add_f32_e32 v3, 0x40051340, v19
	v_max3_f32 v2, v17, v2, v3
	ds_bpermute_b32 v3, v72, v2
	v_cmp_nlt_f32_e64 s[10:11], |v25|, s25
                                        ; implicit-def: $vgpr76
	s_waitcnt lgkmcnt(0)
	v_max_f32_e32 v3, v3, v3
	v_max_f32_e32 v2, v2, v3
	ds_bpermute_b32 v3, v74, v2
	s_waitcnt lgkmcnt(0)
	v_max_f32_e32 v3, v3, v3
	v_max_f32_e32 v2, v2, v3
	ds_bpermute_b32 v3, v71, v2
	;; [unrolled: 4-line block ×4, first 2 shown]
	s_and_saveexec_b64 s[36:37], s[10:11]
	s_xor_b64 s[10:11], exec, s[36:37]
	s_cbranch_execz .LBB81_27
; %bb.26:                               ;   in Loop: Header=BB81_9 Depth=1
	v_add_f32_e64 v2, |v25|, |v25|
	v_mul_f32_e32 v3, 0x3fb8aa3b, v2
	v_rndne_f32_e32 v27, v3
	v_sub_f32_e32 v76, v3, v27
	v_fma_f32 v3, v2, s26, -v3
	v_fmac_f32_e32 v3, 0x32a5705f, v2
	v_add_f32_e32 v3, v76, v3
	v_cvt_i32_f32_e32 v27, v27
	v_exp_f32_e32 v3, v3
	v_cmp_ngt_f32_e32 vcc, s27, v2
	v_ldexp_f32 v3, v3, v27
	v_cndmask_b32_e32 v3, 0, v3, vcc
	v_cmp_nlt_f32_e32 vcc, s29, v2
	v_cndmask_b32_e32 v2, v52, v3, vcc
	v_add_f32_e32 v2, 1.0, v2
	v_rcp_f32_e32 v2, v2
	v_fma_f32 v76, v2, -2.0, 1.0
.LBB81_27:                              ;   in Loop: Header=BB81_9 Depth=1
	s_andn2_saveexec_b64 s[10:11], s[10:11]
; %bb.28:                               ;   in Loop: Header=BB81_9 Depth=1
	v_mul_f32_e32 v2, v25, v25
	v_mov_b32_e32 v3, 0x3ca908c9
	v_fmac_f32_e32 v3, 0xbbbac73d, v2
	v_fma_f32 v3, v2, v3, v48
	v_fma_f32 v3, v2, v3, v49
	;; [unrolled: 1-line block ×3, first 2 shown]
	v_mul_f32_e64 v3, |v25|, v3
	v_fma_f32 v76, v2, v3, |v25|
; %bb.29:                               ;   in Loop: Header=BB81_9 Depth=1
	s_or_b64 exec, exec, s[10:11]
	v_add_u32_e32 v2, v75, v42
	v_ashrrev_i32_e32 v3, 31, v2
	v_lshlrev_b64 v[2:3], 1, v[2:3]
	v_mov_b32_e32 v27, s35
	v_add_co_u32_e32 v2, vcc, s34, v2
	v_addc_co_u32_e32 v3, vcc, v27, v3, vcc
	flat_load_ushort v27, v[2:3]
	v_cmp_nlt_f32_e64 s[10:11], |v26|, s25
                                        ; implicit-def: $vgpr77
	s_and_saveexec_b64 s[36:37], s[10:11]
	s_xor_b64 s[10:11], exec, s[36:37]
	s_cbranch_execz .LBB81_31
; %bb.30:                               ;   in Loop: Header=BB81_9 Depth=1
	v_add_f32_e64 v75, |v26|, |v26|
	v_mul_f32_e32 v77, 0x3fb8aa3b, v75
	v_rndne_f32_e32 v78, v77
	v_sub_f32_e32 v79, v77, v78
	v_fma_f32 v77, v75, s26, -v77
	v_fmac_f32_e32 v77, 0x32a5705f, v75
	v_add_f32_e32 v77, v79, v77
	v_cvt_i32_f32_e32 v78, v78
	v_exp_f32_e32 v77, v77
	v_cmp_ngt_f32_e32 vcc, s27, v75
	v_ldexp_f32 v77, v77, v78
	v_cndmask_b32_e32 v77, 0, v77, vcc
	v_cmp_nlt_f32_e32 vcc, s29, v75
	v_cndmask_b32_e32 v75, v52, v77, vcc
	v_add_f32_e32 v75, 1.0, v75
	v_rcp_f32_e32 v75, v75
	v_fma_f32 v77, v75, -2.0, 1.0
.LBB81_31:                              ;   in Loop: Header=BB81_9 Depth=1
	s_andn2_saveexec_b64 s[10:11], s[10:11]
; %bb.32:                               ;   in Loop: Header=BB81_9 Depth=1
	v_mul_f32_e32 v75, v26, v26
	v_mov_b32_e32 v77, 0x3ca908c9
	v_fmac_f32_e32 v77, 0xbbbac73d, v75
	v_fma_f32 v77, v75, v77, v48
	v_fma_f32 v77, v75, v77, v49
	;; [unrolled: 1-line block ×3, first 2 shown]
	v_mul_f32_e64 v77, |v26|, v77
	v_fma_f32 v77, v75, v77, |v26|
; %bb.33:                               ;   in Loop: Header=BB81_9 Depth=1
	s_or_b64 exec, exec, s[10:11]
	flat_load_ushort v75, v[2:3] offset:64
	v_bfi_b32 v2, s31, v76, v25
	v_bfi_b32 v3, s31, v77, v26
	s_waitcnt vmcnt(0) lgkmcnt(0)
	v_fma_mix_f32 v25, v2, s8, v27 op_sel_hi:[0,0,1]
	v_add_f32_e32 v2, 0x40051340, v25
	v_cmp_nlt_f32_e64 s[10:11], |v22|, s25
                                        ; implicit-def: $vgpr76
	v_fma_mix_f32 v3, v3, s8, v75 op_sel_hi:[0,0,1]
	v_add_f32_e32 v26, 0x40051340, v3
	v_max3_f32 v2, v0, v2, v26
	ds_bpermute_b32 v26, v72, v2
	s_waitcnt lgkmcnt(0)
	v_max_f32_e32 v26, v26, v26
	v_max_f32_e32 v2, v2, v26
	ds_bpermute_b32 v26, v74, v2
	s_waitcnt lgkmcnt(0)
	v_max_f32_e32 v26, v26, v26
	v_max_f32_e32 v2, v2, v26
	ds_bpermute_b32 v26, v71, v2
	s_waitcnt lgkmcnt(0)
	v_max_f32_e32 v26, v26, v26
	v_max_f32_e32 v2, v2, v26
	ds_bpermute_b32 v26, v70, v2
	s_waitcnt lgkmcnt(0)
	v_max_f32_e32 v26, v26, v26
	v_max_f32_e32 v2, v2, v26
	ds_bpermute_b32 v26, v69, v2
	s_and_saveexec_b64 s[36:37], s[10:11]
	s_xor_b64 s[10:11], exec, s[36:37]
	s_cbranch_execz .LBB81_35
; %bb.34:                               ;   in Loop: Header=BB81_9 Depth=1
	v_add_f32_e64 v76, |v22|, |v22|
	v_mul_f32_e32 v77, 0x3fb8aa3b, v76
	v_rndne_f32_e32 v78, v77
	v_sub_f32_e32 v79, v77, v78
	v_fma_f32 v77, v76, s26, -v77
	v_fmac_f32_e32 v77, 0x32a5705f, v76
	v_add_f32_e32 v77, v79, v77
	v_cvt_i32_f32_e32 v78, v78
	v_exp_f32_e32 v77, v77
	v_cmp_ngt_f32_e32 vcc, s27, v76
	v_ldexp_f32 v77, v77, v78
	v_cndmask_b32_e32 v77, 0, v77, vcc
	v_cmp_nlt_f32_e32 vcc, s29, v76
	v_cndmask_b32_e32 v76, v52, v77, vcc
	v_add_f32_e32 v76, 1.0, v76
	v_rcp_f32_e32 v76, v76
	v_fma_f32 v76, v76, -2.0, 1.0
.LBB81_35:                              ;   in Loop: Header=BB81_9 Depth=1
	s_andn2_saveexec_b64 s[10:11], s[10:11]
; %bb.36:                               ;   in Loop: Header=BB81_9 Depth=1
	v_mul_f32_e32 v76, v22, v22
	v_mov_b32_e32 v77, 0x3ca908c9
	v_fmac_f32_e32 v77, 0xbbbac73d, v76
	v_fma_f32 v77, v76, v77, v48
	v_fma_f32 v77, v76, v77, v49
	;; [unrolled: 1-line block ×3, first 2 shown]
	v_mul_f32_e64 v77, |v22|, v77
	v_fma_f32 v76, v76, v77, |v22|
; %bb.37:                               ;   in Loop: Header=BB81_9 Depth=1
	s_or_b64 exec, exec, s[10:11]
	v_cmp_nlt_f32_e64 s[10:11], |v24|, s25
                                        ; implicit-def: $vgpr77
	s_and_saveexec_b64 s[36:37], s[10:11]
	s_xor_b64 s[10:11], exec, s[36:37]
	s_cbranch_execz .LBB81_39
; %bb.38:                               ;   in Loop: Header=BB81_9 Depth=1
	v_add_f32_e64 v77, |v24|, |v24|
	v_mul_f32_e32 v78, 0x3fb8aa3b, v77
	v_rndne_f32_e32 v79, v78
	v_sub_f32_e32 v80, v78, v79
	v_fma_f32 v78, v77, s26, -v78
	v_fmac_f32_e32 v78, 0x32a5705f, v77
	v_add_f32_e32 v78, v80, v78
	v_cvt_i32_f32_e32 v79, v79
	v_exp_f32_e32 v78, v78
	v_cmp_ngt_f32_e32 vcc, s27, v77
	v_ldexp_f32 v78, v78, v79
	v_cndmask_b32_e32 v78, 0, v78, vcc
	v_cmp_nlt_f32_e32 vcc, s29, v77
	v_cndmask_b32_e32 v77, v52, v78, vcc
	v_add_f32_e32 v77, 1.0, v77
	v_rcp_f32_e32 v77, v77
	v_fma_f32 v77, v77, -2.0, 1.0
.LBB81_39:                              ;   in Loop: Header=BB81_9 Depth=1
	s_andn2_saveexec_b64 s[10:11], s[10:11]
; %bb.40:                               ;   in Loop: Header=BB81_9 Depth=1
	v_mul_f32_e32 v77, v24, v24
	v_mov_b32_e32 v78, 0x3ca908c9
	v_fmac_f32_e32 v78, 0xbbbac73d, v77
	v_fma_f32 v78, v77, v78, v48
	v_fma_f32 v78, v77, v78, v49
	;; [unrolled: 1-line block ×3, first 2 shown]
	v_mul_f32_e64 v78, |v24|, v78
	v_fma_f32 v77, v77, v78, |v24|
; %bb.41:                               ;   in Loop: Header=BB81_9 Depth=1
	s_or_b64 exec, exec, s[10:11]
	v_cvt_f32_f16_e32 v78, v27
	v_cvt_f32_f16_e32 v79, v75
	v_bfi_b32 v77, s31, v77, v24
	v_bfi_b32 v76, s31, v76, v22
	s_waitcnt lgkmcnt(0)
	v_max_f32_e32 v26, v26, v26
	v_pk_fma_f32 v[76:77], v[76:77], s[8:9], v[78:79]
	v_add_f32_e32 v22, 0x40051340, v76
	v_add_f32_e32 v24, 0x40051340, v77
	v_max3_f32 v22, v1, v22, v24
	ds_bpermute_b32 v24, v72, v22
	v_max_f32_e32 v2, v2, v2
	v_max_f32_e32 v2, v2, v26
	v_sub_f32_e32 v25, v25, v2
	v_mul_f32_e32 v26, 0x3fb8aa3b, v25
	s_waitcnt lgkmcnt(0)
	v_max_f32_e32 v24, v24, v24
	v_max_f32_e32 v22, v22, v24
	ds_bpermute_b32 v24, v74, v22
	v_fma_f32 v27, v25, s26, -v26
	v_fmac_f32_e32 v27, 0x32a5705f, v25
	v_cmp_ngt_f32_e32 vcc, s27, v25
	s_mul_hi_i32 s11, s6, s15
	s_waitcnt lgkmcnt(0)
	v_max_f32_e32 v24, v24, v24
	v_max_f32_e32 v22, v22, v24
	ds_bpermute_b32 v24, v71, v22
	v_rndne_f32_e32 v71, v26
	v_sub_f32_e32 v26, v26, v71
	v_add_f32_e32 v26, v26, v27
	v_exp_f32_e32 v26, v26
	s_waitcnt lgkmcnt(0)
	v_max_f32_e32 v24, v24, v24
	v_max_f32_e32 v22, v22, v24
	ds_bpermute_b32 v24, v70, v22
	v_cvt_i32_f32_e32 v70, v71
	v_sub_f32_e32 v27, v3, v2
	s_mul_i32 s10, s6, s15
	s_lshl_b64 s[10:11], s[10:11], 2
	s_waitcnt lgkmcnt(0)
	v_max_f32_e32 v24, v24, v24
	v_max_f32_e32 v22, v22, v24
	ds_bpermute_b32 v24, v69, v22
	v_ldexp_f32 v3, v26, v70
	v_cndmask_b32_e32 v26, 0, v3, vcc
	v_cmp_nlt_f32_e32 vcc, s29, v25
	s_add_u32 s10, s12, s10
	s_waitcnt lgkmcnt(0)
	v_max_f32_e32 v3, v24, v24
	v_max_f32_e32 v3, v22, v3
	v_mul_f32_e32 v22, 0x3fb8aa3b, v27
	v_fma_f32 v24, v27, s26, -v22
	v_rndne_f32_e32 v69, v22
	v_fmac_f32_e32 v24, 0x32a5705f, v27
	v_sub_f32_e32 v22, v22, v69
	v_add_f32_e32 v22, v22, v24
	v_exp_f32_e32 v24, v22
	v_cvt_i32_f32_e32 v69, v69
	v_pk_add_f32 v[0:1], v[0:1], v[2:3] neg_lo:[0,1] neg_hi:[0,1]
	v_cndmask_b32_e32 v22, v52, v26, vcc
	v_cmp_ngt_f32_e32 vcc, s27, v27
	v_ldexp_f32 v24, v24, v69
	v_mul_f32_e32 v25, 0x3fb8aa3b, v1
	v_cndmask_b32_e32 v24, 0, v24, vcc
	v_cmp_nlt_f32_e32 vcc, s29, v27
	v_fma_f32 v26, v1, s26, -v25
	v_rndne_f32_e32 v27, v25
	v_fmac_f32_e32 v26, 0x32a5705f, v1
	v_sub_f32_e32 v25, v25, v27
	v_add_f32_e32 v25, v25, v26
	v_cvt_i32_f32_e32 v26, v27
	v_mul_f32_e32 v27, 0x3fb8aa3b, v0
	v_fma_f32 v69, v0, s26, -v27
	v_rndne_f32_e32 v70, v27
	v_fmac_f32_e32 v69, 0x32a5705f, v0
	v_sub_f32_e32 v27, v27, v70
	v_exp_f32_e32 v25, v25
	v_add_f32_e32 v27, v27, v69
	v_exp_f32_e32 v27, v27
	v_cvt_i32_f32_e32 v69, v70
	v_cndmask_b32_e32 v24, v52, v24, vcc
	v_ldexp_f32 v25, v25, v26
	v_cmp_ngt_f32_e32 vcc, s27, v1
	v_cndmask_b32_e32 v25, 0, v25, vcc
	v_ldexp_f32 v26, v27, v69
	v_cmp_ngt_f32_e32 vcc, s27, v0
	v_cndmask_b32_e32 v26, 0, v26, vcc
	v_cmp_nlt_f32_e32 vcc, s29, v0
	v_cndmask_b32_e32 v26, v52, v26, vcc
	v_mov_b32_e32 v0, v3
	v_cvt_f16_f32_e32 v82, v26
	v_pk_add_f32 v[70:71], v[76:77], v[0:1] op_sel_hi:[1,0] neg_lo:[0,1] neg_hi:[0,1]
	v_mul_f32_e32 v0, 0x3fb8aa3b, v71
	v_fma_f32 v27, v71, s26, -v0
	v_rndne_f32_e32 v69, v0
	v_fmac_f32_e32 v27, 0x32a5705f, v71
	v_sub_f32_e32 v0, v0, v69
	v_cmp_nlt_f32_e32 vcc, s29, v1
	v_mul_f32_e32 v1, 0x3fb8aa3b, v70
	v_add_f32_e32 v0, v0, v27
	v_cndmask_b32_e32 v27, v52, v25, vcc
	v_pk_mul_f16 v83, v82, v23 op_sel_hi:[0,1]
	v_fma_f32 v23, v70, s26, -v1
	v_rndne_f32_e32 v25, v1
	v_exp_f32_e32 v0, v0
	v_cvt_i32_f32_e32 v69, v69
	v_fmac_f32_e32 v23, 0x32a5705f, v70
	v_sub_f32_e32 v1, v1, v25
	v_add_f32_e32 v1, v1, v23
	v_exp_f32_e32 v1, v1
	v_cvt_i32_f32_e32 v23, v25
	v_ldexp_f32 v0, v0, v69
	v_cmp_ngt_f32_e32 vcc, s27, v71
	v_cndmask_b32_e32 v0, 0, v0, vcc
	v_cmp_nlt_f32_e32 vcc, s29, v71
	v_cndmask_b32_e32 v25, v52, v0, vcc
	v_ldexp_f32 v0, v1, v23
	v_cmp_ngt_f32_e32 vcc, s27, v70
	v_cndmask_b32_e32 v0, 0, v0, vcc
	v_cmp_nlt_f32_e32 vcc, s29, v70
	v_cndmask_b32_e32 v23, v52, v0, vcc
	v_max_f32_e32 v0, v73, v73
	v_max_f32_e32 v1, v60, v60
	;; [unrolled: 1-line block ×6, first 2 shown]
	v_pk_add_f32 v[20:21], v[20:21], v[0:1] neg_lo:[0,1] neg_hi:[0,1]
	v_mul_f32_e32 v60, 0x3fb8aa3b, v21
	v_fma_f32 v67, v21, s26, -v60
	v_rndne_f32_e32 v68, v60
	v_fmac_f32_e32 v67, 0x32a5705f, v21
	v_sub_f32_e32 v60, v60, v68
	v_add_f32_e32 v60, v60, v67
	v_cvt_f16_f32_e32 v69, v27
	v_exp_f32_e32 v60, v60
	v_cvt_i32_f32_e32 v67, v68
	v_cmp_ngt_f32_e32 vcc, s27, v21
	v_pk_mul_f16 v86, v69, v57 op_sel_hi:[0,1]
	s_addc_u32 s11, s13, s11
	v_ldexp_f32 v57, v60, v67
	v_mul_f32_e32 v60, 0x3fb8aa3b, v20
	v_fma_f32 v67, v20, s26, -v60
	v_rndne_f32_e32 v68, v60
	v_fmac_f32_e32 v67, 0x32a5705f, v20
	v_sub_f32_e32 v60, v60, v68
	v_pk_mul_f16 v54, v69, v54 op_sel_hi:[0,1]
	v_cndmask_b32_e32 v57, 0, v57, vcc
	v_add_f32_e32 v60, v60, v67
	v_cvt_i32_f32_e32 v67, v68
	v_mov_b32_e32 v68, s11
	v_add_co_u32_e32 v69, vcc, s10, v12
	v_addc_co_u32_e32 v68, vcc, v68, v13, vcc
	v_add_co_u32_e32 v76, vcc, v69, v51
	v_addc_co_u32_e32 v77, vcc, 0, v68, vcc
	v_mov_b32_e32 v68, s11
	v_add_co_u32_e32 v69, vcc, s10, v14
	v_addc_co_u32_e32 v68, vcc, v68, v15, vcc
	v_add_co_u32_e32 v78, vcc, v69, v51
	s_barrier
	v_addc_co_u32_e32 v79, vcc, 0, v68, vcc
	global_load_dwordx4 v[68:71], v[76:77], off
	global_load_dwordx4 v[72:75], v[78:79], off
	v_exp_f32_e32 v60, v60
	v_cmp_nlt_f32_e32 vcc, s29, v21
	v_pk_add_f32 v[18:19], v[18:19], v[0:1] neg_lo:[0,1] neg_hi:[0,1]
	v_cndmask_b32_e32 v21, v52, v57, vcc
	v_ldexp_f32 v57, v60, v67
	v_mul_f32_e32 v60, 0x3fb8aa3b, v19
	v_fma_f32 v67, v19, s26, -v60
	v_rndne_f32_e32 v76, v60
	v_fmac_f32_e32 v67, 0x32a5705f, v19
	v_sub_f32_e32 v60, v60, v76
	v_add_f32_e32 v60, v60, v67
	v_exp_f32_e32 v60, v60
	v_cvt_i32_f32_e32 v67, v76
	v_cmp_ngt_f32_e32 vcc, s27, v20
	v_cndmask_b32_e32 v57, 0, v57, vcc
	v_cmp_nlt_f32_e32 vcc, s29, v20
	v_cndmask_b32_e32 v20, v52, v57, vcc
	v_ldexp_f32 v57, v60, v67
	v_mul_f32_e32 v60, 0x3fb8aa3b, v18
	v_fma_f32 v67, v18, s26, -v60
	v_rndne_f32_e32 v76, v60
	v_fmac_f32_e32 v67, 0x32a5705f, v18
	v_sub_f32_e32 v60, v60, v76
	v_add_f32_e32 v60, v60, v67
	v_exp_f32_e32 v60, v60
	v_cvt_i32_f32_e32 v67, v76
	v_cmp_ngt_f32_e32 vcc, s27, v19
	v_cndmask_b32_e32 v57, 0, v57, vcc
	v_cmp_nlt_f32_e32 vcc, s29, v19
	v_cndmask_b32_e32 v19, v52, v57, vcc
	v_ldexp_f32 v57, v60, v67
	v_cmp_ngt_f32_e32 vcc, s27, v18
	v_cndmask_b32_e32 v57, 0, v57, vcc
	v_cmp_nlt_f32_e32 vcc, s29, v18
	v_pk_add_f32 v[16:17], v[16:17], v[0:1] neg_lo:[0,1] neg_hi:[0,1]
	v_cndmask_b32_e32 v18, v52, v57, vcc
	v_mul_f32_e32 v57, 0x3fb8aa3b, v17
	v_fma_f32 v60, v17, s26, -v57
	v_rndne_f32_e32 v67, v57
	v_fmac_f32_e32 v60, 0x32a5705f, v17
	v_sub_f32_e32 v57, v57, v67
	v_add_f32_e32 v57, v57, v60
	v_cvt_i32_f32_e32 v60, v67
	v_mul_f32_e32 v67, 0x3fb8aa3b, v16
	v_fma_f32 v76, v16, s26, -v67
	v_rndne_f32_e32 v77, v67
	v_fmac_f32_e32 v76, 0x32a5705f, v16
	v_sub_f32_e32 v67, v67, v77
	v_exp_f32_e32 v57, v57
	v_add_f32_e32 v67, v67, v76
	v_exp_f32_e32 v67, v67
	v_cvt_i32_f32_e32 v76, v77
	v_ldexp_f32 v57, v57, v60
	v_cmp_ngt_f32_e32 vcc, s27, v17
	v_cndmask_b32_e32 v57, 0, v57, vcc
	v_ldexp_f32 v60, v67, v76
	v_cmp_ngt_f32_e32 vcc, s27, v16
	v_cndmask_b32_e32 v60, 0, v60, vcc
	v_cmp_nlt_f32_e32 vcc, s29, v16
	v_cndmask_b32_e32 v76, v52, v60, vcc
	v_cmp_nlt_f32_e32 vcc, s29, v17
	v_cndmask_b32_e32 v77, v52, v57, vcc
	v_cvt_f16_f32_e32 v80, v22
	v_cvt_f16_f32_e32 v81, v24
	;; [unrolled: 1-line block ×9, first 2 shown]
	v_pk_add_f32 v[16:17], v[22:23], v[24:25]
	v_pk_mul_f16 v89, v67, v56 op_sel_hi:[0,1]
	v_pk_add_f32 v[56:57], v[20:21], v[18:19]
	v_pk_fma_f32 v[4:5], v[4:5], v[26:27], v[16:17]
	v_add_u32_e32 v20, v43, v44
	v_pack_b32_f16 v17, v80, v84
	v_pack_b32_f16 v16, v79, v78
	;; [unrolled: 1-line block ×4, first 2 shown]
	ds_write2_b64 v20, v[16:17], v[18:19] offset1:32
	s_waitcnt vmcnt(1)
	ds_write_b128 v45, v[68:71]
	s_waitcnt vmcnt(0)
	ds_write_b128 v46, v[72:75]
	s_waitcnt lgkmcnt(0)
	s_barrier
	ds_read2_b64 v[16:19], v44 offset1:32
	ds_read_b128 v[20:23], v43
	v_cvt_f16_f32_e32 v60, v76
	v_pk_fma_f32 v[6:7], v[6:7], v[76:77], v[56:57]
	ds_read_b128 v[24:27], v43 offset:16
	ds_read_b128 v[68:71], v43 offset:32
	;; [unrolled: 1-line block ×3, first 2 shown]
	s_or_b32 s10, s6, 32
	s_waitcnt lgkmcnt(3)
	v_pk_mul_f16 v56, v16, v20 op_sel_hi:[1,0]
	v_pk_mul_f16 v57, v16, v20 op_sel:[0,1]
	v_pk_mul_f16 v59, v60, v59 op_sel_hi:[0,1]
	v_pk_fma_f16 v56, v60, v58, v56 op_sel_hi:[0,1,1]
	v_pk_fma_f16 v55, v67, v55, v57 op_sel_hi:[0,1,1]
	v_pk_mul_f16 v57, v16, v21 op_sel_hi:[1,0]
	v_pk_fma_f16 v53, v82, v53, v57 op_sel_hi:[0,1,1]
	v_pk_fma_f16 v16, v16, v21, v86 op_sel:[0,1,0]
	v_pk_fma_f16 v58, v17, v20, v59 op_sel_hi:[1,0,1]
	v_pk_fma_f16 v20, v17, v20, v89 op_sel:[0,1,0]
	;; [unrolled: 2-line block ×4, first 2 shown]
	ds_read2_b64 v[54:57], v44 offset0:64 offset1:96
	v_pk_fma_f16 v16, v18, v23, v16 op_sel:[0,1,0]
	v_pk_fma_f16 v53, v18, v23, v53 op_sel_hi:[1,0,1]
	v_pk_fma_f16 v18, v19, v22, v58 op_sel_hi:[1,0,1]
	v_pk_fma_f16 v20, v19, v22, v20 op_sel:[0,1,0]
	v_pk_fma_f16 v22, v19, v23, v59 op_sel_hi:[1,0,1]
	v_pk_fma_f16 v17, v19, v23, v17 op_sel:[0,1,0]
	s_waitcnt lgkmcnt(0)
	v_pk_fma_f16 v19, v54, v24, v21 op_sel_hi:[1,0,1]
	v_pk_fma_f16 v16, v54, v25, v16 op_sel:[0,1,0]
	v_pk_fma_f16 v21, v54, v24, v60 op_sel:[0,1,0]
	v_pk_fma_f16 v23, v54, v25, v53 op_sel_hi:[1,0,1]
	v_pk_fma_f16 v53, v55, v24, v18 op_sel_hi:[1,0,1]
	v_pk_fma_f16 v20, v55, v24, v20 op_sel:[0,1,0]
	v_pk_fma_f16 v22, v55, v25, v22 op_sel_hi:[1,0,1]
	v_pk_fma_f16 v24, v55, v25, v17 op_sel:[0,1,0]
	;; [unrolled: 2-line block ×3, first 2 shown]
	ds_read2_b64 v[16:19], v44 offset0:128 offset1:160
	v_pk_fma_f16 v21, v56, v26, v21 op_sel:[0,1,0]
	v_pk_fma_f16 v23, v56, v27, v23 op_sel_hi:[1,0,1]
	v_pk_fma_f16 v53, v57, v26, v53 op_sel_hi:[1,0,1]
	v_pk_fma_f16 v20, v57, v26, v20 op_sel:[0,1,0]
	v_pk_fma_f16 v22, v57, v27, v22 op_sel_hi:[1,0,1]
	v_pk_fma_f16 v24, v57, v27, v24 op_sel:[0,1,0]
	s_waitcnt lgkmcnt(0)
	v_pk_fma_f16 v25, v16, v68, v25 op_sel_hi:[1,0,1]
	v_pk_fma_f16 v21, v16, v68, v21 op_sel:[0,1,0]
	v_pk_fma_f16 v23, v16, v69, v23 op_sel_hi:[1,0,1]
	v_pk_fma_f16 v16, v16, v69, v54 op_sel:[0,1,0]
	;; [unrolled: 2-line block ×5, first 2 shown]
	v_pk_fma_f16 v54, v18, v71, v23 op_sel_hi:[1,0,1]
	ds_read2_b64 v[20:23], v44 offset0:192 offset1:224
	v_pk_fma_f16 v16, v18, v71, v16 op_sel:[0,1,0]
	v_pk_fma_f16 v18, v19, v70, v26 op_sel_hi:[1,0,1]
	v_pk_fma_f16 v26, v19, v70, v27 op_sel:[0,1,0]
	v_pk_fma_f16 v27, v19, v71, v53 op_sel_hi:[1,0,1]
	v_pk_fma_f16 v17, v19, v71, v17 op_sel:[0,1,0]
	s_waitcnt lgkmcnt(0)
	v_pk_fma_f16 v19, v20, v72, v24 op_sel_hi:[1,0,1]
	v_pk_fma_f16 v24, v20, v72, v25 op_sel:[0,1,0]
	v_pk_fma_f16 v25, v20, v73, v54 op_sel_hi:[1,0,1]
	v_pk_fma_f16 v16, v20, v73, v16 op_sel:[0,1,0]
	v_pk_fma_f16 v18, v21, v72, v18 op_sel_hi:[1,0,1]
	v_pk_fma_f16 v58, v22, v74, v19 op_sel_hi:[1,0,1]
	v_pk_fma_f16 v59, v22, v74, v24 op_sel:[0,1,0]
	v_pk_fma_f16 v60, v22, v75, v25 op_sel_hi:[1,0,1]
	v_pk_fma_f16 v22, v22, v75, v16 op_sel:[0,1,0]
	v_add_u32_e32 v16, 0x800, v44
	v_pk_fma_f16 v53, v21, v72, v26 op_sel:[0,1,0]
	v_pk_fma_f16 v54, v21, v73, v27 op_sel_hi:[1,0,1]
	v_pk_fma_f16 v17, v21, v73, v17 op_sel:[0,1,0]
	v_pk_fma_f16 v67, v23, v74, v18 op_sel_hi:[1,0,1]
	ds_read2_b64 v[18:21], v16 offset1:32
	ds_read_b128 v[24:27], v43 offset:64
	v_pk_fma_f16 v53, v23, v74, v53 op_sel:[0,1,0]
	v_pk_fma_f16 v68, v23, v75, v54 op_sel_hi:[1,0,1]
	v_pk_fma_f16 v17, v23, v75, v17 op_sel:[0,1,0]
	ds_read_b128 v[54:57], v43 offset:80
	s_waitcnt lgkmcnt(1)
	v_pk_fma_f16 v23, v18, v24, v58 op_sel_hi:[1,0,1]
	v_pk_fma_f16 v58, v18, v24, v59 op_sel:[0,1,0]
	v_pk_fma_f16 v59, v18, v25, v60 op_sel_hi:[1,0,1]
	v_pk_fma_f16 v18, v18, v25, v22 op_sel:[0,1,0]
	;; [unrolled: 2-line block ×4, first 2 shown]
	v_pk_fma_f16 v19, v20, v26, v23 op_sel_hi:[1,0,1]
	ds_read2_b64 v[22:25], v16 offset0:64 offset1:96
	v_pk_fma_f16 v58, v20, v26, v58 op_sel:[0,1,0]
	v_pk_fma_f16 v59, v20, v27, v59 op_sel_hi:[1,0,1]
	v_pk_fma_f16 v18, v20, v27, v18 op_sel:[0,1,0]
	v_pk_fma_f16 v20, v21, v26, v60 op_sel_hi:[1,0,1]
	;; [unrolled: 2-line block ×3, first 2 shown]
	v_pk_fma_f16 v17, v21, v27, v17 op_sel:[0,1,0]
	s_waitcnt lgkmcnt(0)
	v_pk_fma_f16 v19, v22, v54, v19 op_sel_hi:[1,0,1]
	v_pk_fma_f16 v21, v22, v54, v58 op_sel:[0,1,0]
	v_pk_fma_f16 v18, v22, v55, v18 op_sel:[0,1,0]
	v_pk_fma_f16 v20, v23, v54, v20 op_sel_hi:[1,0,1]
	v_pk_fma_f16 v27, v22, v55, v59 op_sel_hi:[1,0,1]
	v_pk_fma_f16 v22, v23, v54, v26 op_sel:[0,1,0]
	v_pk_fma_f16 v26, v23, v55, v53 op_sel_hi:[1,0,1]
	v_pk_fma_f16 v17, v23, v55, v17 op_sel:[0,1,0]
	v_pk_fma_f16 v53, v24, v56, v19 op_sel_hi:[1,0,1]
	v_pk_fma_f16 v54, v24, v56, v21 op_sel:[0,1,0]
	v_pk_fma_f16 v55, v24, v57, v18 op_sel:[0,1,0]
	v_pk_fma_f16 v58, v25, v56, v20 op_sel_hi:[1,0,1]
	ds_read2_b64 v[18:21], v16 offset0:128 offset1:160
	ds_read_b128 v[68:71], v43 offset:96
	v_pk_fma_f16 v27, v24, v57, v27 op_sel_hi:[1,0,1]
	v_pk_fma_f16 v56, v25, v56, v22 op_sel:[0,1,0]
	v_pk_fma_f16 v26, v25, v57, v26 op_sel_hi:[1,0,1]
	v_pk_fma_f16 v17, v25, v57, v17 op_sel:[0,1,0]
	s_waitcnt lgkmcnt(0)
	v_pk_fma_f16 v53, v18, v68, v53 op_sel_hi:[1,0,1]
	v_pk_fma_f16 v54, v18, v68, v54 op_sel:[0,1,0]
	ds_read_b128 v[22:25], v43 offset:112
	v_pk_fma_f16 v27, v18, v69, v27 op_sel_hi:[1,0,1]
	v_pk_fma_f16 v18, v18, v69, v55 op_sel:[0,1,0]
	v_pk_fma_f16 v58, v19, v68, v58 op_sel_hi:[1,0,1]
	v_pk_fma_f16 v59, v19, v68, v56 op_sel:[0,1,0]
	;; [unrolled: 2-line block ×4, first 2 shown]
	ds_read2_b64 v[54:57], v16 offset0:192 offset1:224
	v_pk_fma_f16 v27, v20, v71, v27 op_sel_hi:[1,0,1]
	v_pk_fma_f16 v18, v20, v71, v18 op_sel:[0,1,0]
	v_pk_fma_f16 v20, v21, v70, v58 op_sel_hi:[1,0,1]
	v_pk_fma_f16 v26, v21, v71, v26 op_sel_hi:[1,0,1]
	v_pk_fma_f16 v17, v21, v71, v17 op_sel:[0,1,0]
	v_pk_fma_f16 v58, v21, v70, v59 op_sel:[0,1,0]
	s_waitcnt lgkmcnt(0)
	v_pk_fma_f16 v19, v54, v22, v19 op_sel_hi:[1,0,1]
	v_pk_fma_f16 v21, v54, v22, v53 op_sel:[0,1,0]
	v_pk_fma_f16 v27, v54, v23, v27 op_sel_hi:[1,0,1]
	v_pk_fma_f16 v18, v54, v23, v18 op_sel:[0,1,0]
	v_pk_fma_f16 v20, v55, v22, v20 op_sel_hi:[1,0,1]
	v_pk_fma_f16 v26, v55, v23, v26 op_sel_hi:[1,0,1]
	v_pk_fma_f16 v23, v55, v23, v17 op_sel:[0,1,0]
	v_add_u32_e32 v17, 0x1000, v44
	v_pk_fma_f16 v22, v55, v22, v58 op_sel:[0,1,0]
	v_pk_fma_f16 v53, v56, v24, v19 op_sel_hi:[1,0,1]
	v_pk_fma_f16 v54, v56, v24, v21 op_sel:[0,1,0]
	v_pk_fma_f16 v27, v56, v25, v27 op_sel_hi:[1,0,1]
	;; [unrolled: 2-line block ×3, first 2 shown]
	ds_read2_b64 v[18:21], v17 offset1:32
	ds_read_b128 v[68:71], v43 offset:128
	v_pk_fma_f16 v58, v57, v24, v22 op_sel:[0,1,0]
	v_pk_fma_f16 v26, v57, v25, v26 op_sel_hi:[1,0,1]
	v_pk_fma_f16 v57, v57, v25, v23 op_sel:[0,1,0]
	ds_read_b128 v[22:25], v43 offset:144
	s_waitcnt lgkmcnt(1)
	v_pk_fma_f16 v54, v18, v68, v54 op_sel:[0,1,0]
	v_pk_fma_f16 v53, v18, v68, v53 op_sel_hi:[1,0,1]
	v_pk_fma_f16 v27, v18, v69, v27 op_sel_hi:[1,0,1]
	v_pk_fma_f16 v18, v18, v69, v55 op_sel:[0,1,0]
	v_pk_fma_f16 v59, v19, v68, v56 op_sel_hi:[1,0,1]
	v_pk_fma_f16 v58, v19, v68, v58 op_sel:[0,1,0]
	;; [unrolled: 2-line block ×3, first 2 shown]
	v_pk_fma_f16 v60, v20, v70, v54 op_sel:[0,1,0]
	ds_read2_b64 v[54:57], v17 offset0:64 offset1:96
	v_pk_fma_f16 v53, v20, v70, v53 op_sel_hi:[1,0,1]
	v_pk_fma_f16 v27, v20, v71, v27 op_sel_hi:[1,0,1]
	v_pk_fma_f16 v18, v20, v71, v18 op_sel:[0,1,0]
	v_pk_fma_f16 v20, v21, v70, v59 op_sel_hi:[1,0,1]
	v_pk_fma_f16 v58, v21, v70, v58 op_sel:[0,1,0]
	;; [unrolled: 2-line block ×3, first 2 shown]
	s_waitcnt lgkmcnt(0)
	v_pk_fma_f16 v21, v54, v22, v53 op_sel_hi:[1,0,1]
	v_pk_fma_f16 v53, v54, v22, v60 op_sel:[0,1,0]
	v_pk_fma_f16 v27, v54, v23, v27 op_sel_hi:[1,0,1]
	v_pk_fma_f16 v18, v54, v23, v18 op_sel:[0,1,0]
	;; [unrolled: 2-line block ×6, first 2 shown]
	v_pk_fma_f16 v56, v57, v24, v20 op_sel_hi:[1,0,1]
	ds_read2_b64 v[18:21], v17 offset0:128 offset1:160
	ds_read_b128 v[68:71], v43 offset:160
	s_mul_hi_i32 s11, s10, s15
	s_mul_i32 s10, s10, s15
	s_lshl_b64 s[10:11], s[10:11], 2
	v_pk_fma_f16 v58, v57, v24, v22 op_sel:[0,1,0]
	v_pk_fma_f16 v26, v57, v25, v26 op_sel_hi:[1,0,1]
	v_pk_fma_f16 v57, v57, v25, v23 op_sel:[0,1,0]
	s_add_u32 s10, s12, s10
	s_waitcnt lgkmcnt(0)
	v_pk_fma_f16 v54, v18, v68, v54 op_sel_hi:[1,0,1]
	v_pk_fma_f16 v53, v18, v68, v53 op_sel:[0,1,0]
	v_pk_fma_f16 v27, v18, v69, v27 op_sel_hi:[1,0,1]
	v_pk_fma_f16 v18, v18, v69, v55 op_sel:[0,1,0]
	;; [unrolled: 2-line block ×4, first 2 shown]
	s_addc_u32 s11, s13, s11
	v_pk_fma_f16 v60, v20, v70, v54 op_sel_hi:[1,0,1]
	v_pk_fma_f16 v53, v20, v70, v53 op_sel:[0,1,0]
	v_pk_fma_f16 v67, v20, v71, v27 op_sel_hi:[1,0,1]
	v_pk_fma_f16 v108, v20, v71, v18 op_sel:[0,1,0]
	;; [unrolled: 2-line block ×4, first 2 shown]
	v_mov_b32_e32 v20, s11
	v_add_co_u32_e32 v21, vcc, s10, v12
	v_addc_co_u32_e32 v26, vcc, v20, v13, vcc
	v_add_co_u32_e32 v20, vcc, v21, v51
	v_addc_co_u32_e32 v21, vcc, 0, v26, vcc
	v_mov_b32_e32 v26, s11
	v_add_co_u32_e32 v27, vcc, s10, v14
	v_addc_co_u32_e32 v100, vcc, v26, v15, vcc
	v_add_u32_e32 v18, 0x1800, v44
	v_add_co_u32_e32 v26, vcc, v27, v51
	ds_read_b128 v[22:25], v43 offset:176
	ds_read2_b64 v[54:57], v17 offset0:192 offset1:224
	ds_read2_b64 v[68:71], v18 offset1:32
	ds_read2_b64 v[72:75], v18 offset0:64 offset1:96
	ds_read_b128 v[76:79], v43 offset:192
	ds_read_b128 v[80:83], v43 offset:208
	ds_read2_b64 v[84:87], v18 offset0:128 offset1:160
	ds_read2_b64 v[88:91], v18 offset0:192 offset1:224
	ds_read_b128 v[92:95], v43 offset:224
	ds_read_b128 v[96:99], v43 offset:240
	s_waitcnt lgkmcnt(0)
	s_barrier
	v_addc_co_u32_e32 v27, vcc, 0, v100, vcc
	global_load_dwordx4 v[100:103], v[20:21], off
	global_load_dwordx4 v[104:107], v[26:27], off
	v_pk_fma_f16 v60, v54, v22, v60 op_sel_hi:[1,0,1]
	v_pk_fma_f16 v20, v54, v22, v53 op_sel:[0,1,0]
	v_pk_fma_f16 v21, v54, v23, v67 op_sel_hi:[1,0,1]
	v_pk_fma_f16 v26, v54, v23, v108 op_sel:[0,1,0]
	v_pk_fma_f16 v27, v55, v22, v59 op_sel_hi:[1,0,1]
	v_pk_fma_f16 v22, v55, v22, v58 op_sel:[0,1,0]
	v_pk_fma_f16 v53, v55, v23, v109 op_sel_hi:[1,0,1]
	v_pk_fma_f16 v19, v55, v23, v19 op_sel:[0,1,0]
	v_pk_fma_f16 v23, v56, v24, v60 op_sel_hi:[1,0,1]
	v_pk_fma_f16 v20, v56, v24, v20 op_sel:[0,1,0]
	v_pk_fma_f16 v21, v56, v25, v21 op_sel_hi:[1,0,1]
	v_pk_fma_f16 v26, v56, v25, v26 op_sel:[0,1,0]
	v_pk_fma_f16 v27, v57, v24, v27 op_sel_hi:[1,0,1]
	v_pk_fma_f16 v22, v57, v24, v22 op_sel:[0,1,0]
	v_pk_fma_f16 v24, v57, v25, v53 op_sel_hi:[1,0,1]
	v_pk_fma_f16 v19, v57, v25, v19 op_sel:[0,1,0]
	v_pk_fma_f16 v23, v68, v76, v23 op_sel_hi:[1,0,1]
	v_pk_fma_f16 v20, v68, v76, v20 op_sel:[0,1,0]
	v_pk_fma_f16 v21, v68, v77, v21 op_sel_hi:[1,0,1]
	v_pk_fma_f16 v25, v68, v77, v26 op_sel:[0,1,0]
	v_pk_fma_f16 v26, v69, v76, v27 op_sel_hi:[1,0,1]
	v_pk_fma_f16 v22, v69, v76, v22 op_sel:[0,1,0]
	v_pk_fma_f16 v24, v69, v77, v24 op_sel_hi:[1,0,1]
	v_pk_fma_f16 v23, v70, v78, v23 op_sel_hi:[1,0,1]
	v_pk_fma_f16 v20, v70, v78, v20 op_sel:[0,1,0]
	v_pk_fma_f16 v21, v70, v79, v21 op_sel_hi:[1,0,1]
	v_pk_fma_f16 v25, v70, v79, v25 op_sel:[0,1,0]
	v_pk_fma_f16 v26, v71, v78, v26 op_sel_hi:[1,0,1]
	v_pk_fma_f16 v22, v71, v78, v22 op_sel:[0,1,0]
	v_pk_fma_f16 v24, v71, v79, v24 op_sel_hi:[1,0,1]
	v_pk_fma_f16 v23, v72, v80, v23 op_sel_hi:[1,0,1]
	v_pk_fma_f16 v20, v72, v80, v20 op_sel:[0,1,0]
	v_pk_fma_f16 v21, v72, v81, v21 op_sel_hi:[1,0,1]
	v_pk_fma_f16 v25, v72, v81, v25 op_sel:[0,1,0]
	v_pk_fma_f16 v26, v73, v80, v26 op_sel_hi:[1,0,1]
	v_pk_fma_f16 v22, v73, v80, v22 op_sel:[0,1,0]
	;; [unrolled: 7-line block ×6, first 2 shown]
	v_pk_fma_f16 v24, v89, v97, v24 op_sel_hi:[1,0,1]
	v_pk_fma_f16 v19, v69, v77, v19 op_sel:[0,1,0]
	v_pk_fma_f16 v53, v90, v98, v23 op_sel_hi:[1,0,1]
	v_pk_fma_f16 v58, v90, v98, v20 op_sel:[0,1,0]
	;; [unrolled: 2-line block ×4, first 2 shown]
	v_pk_fma_f16 v77, v91, v99, v24 op_sel_hi:[1,0,1]
	s_waitcnt vmcnt(1)
	ds_write_b128 v45, v[100:103]
	s_waitcnt vmcnt(0)
	ds_write_b128 v46, v[104:107]
	s_waitcnt lgkmcnt(0)
	s_barrier
	ds_read2_b64 v[20:23], v44 offset1:32
	ds_read_b128 v[24:27], v43 offset:256
	v_pk_fma_f16 v19, v71, v79, v19 op_sel:[0,1,0]
	v_pk_fma_f16 v19, v73, v81, v19 op_sel:[0,1,0]
	v_pk_fma_f16 v19, v75, v83, v19 op_sel:[0,1,0]
	v_pk_fma_f16 v19, v85, v93, v19 op_sel:[0,1,0]
	ds_read_b128 v[54:57], v43 offset:272
	ds_read_b128 v[68:71], v43 offset:288
	;; [unrolled: 1-line block ×3, first 2 shown]
	s_waitcnt lgkmcnt(3)
	v_pk_fma_f16 v53, v20, v24, v53 op_sel_hi:[1,0,1]
	v_pk_fma_f16 v58, v20, v24, v58 op_sel:[0,1,0]
	v_pk_fma_f16 v59, v20, v25, v59 op_sel_hi:[1,0,1]
	v_pk_fma_f16 v20, v20, v25, v60 op_sel:[0,1,0]
	v_pk_fma_f16 v60, v21, v24, v67 op_sel_hi:[1,0,1]
	v_pk_fma_f16 v24, v21, v24, v76 op_sel:[0,1,0]
	v_pk_fma_f16 v67, v21, v25, v77 op_sel_hi:[1,0,1]
	ds_read2_b64 v[76:79], v44 offset0:64 offset1:96
	v_pk_fma_f16 v19, v87, v95, v19 op_sel:[0,1,0]
	v_pk_fma_f16 v19, v89, v97, v19 op_sel:[0,1,0]
	;; [unrolled: 1-line block ×4, first 2 shown]
	v_pk_fma_f16 v21, v22, v26, v53 op_sel_hi:[1,0,1]
	v_pk_fma_f16 v25, v22, v26, v58 op_sel:[0,1,0]
	v_pk_fma_f16 v20, v22, v27, v20 op_sel:[0,1,0]
	v_pk_fma_f16 v53, v22, v27, v59 op_sel_hi:[1,0,1]
	v_pk_fma_f16 v22, v23, v26, v60 op_sel_hi:[1,0,1]
	v_pk_fma_f16 v24, v23, v26, v24 op_sel:[0,1,0]
	v_pk_fma_f16 v26, v23, v27, v67 op_sel_hi:[1,0,1]
	v_pk_fma_f16 v19, v23, v27, v19 op_sel:[0,1,0]
	s_waitcnt lgkmcnt(0)
	v_pk_fma_f16 v21, v76, v54, v21 op_sel_hi:[1,0,1]
	v_pk_fma_f16 v23, v76, v54, v25 op_sel:[0,1,0]
	v_pk_fma_f16 v20, v76, v55, v20 op_sel:[0,1,0]
	v_pk_fma_f16 v25, v76, v55, v53 op_sel_hi:[1,0,1]
	v_pk_fma_f16 v27, v77, v54, v22 op_sel_hi:[1,0,1]
	v_pk_fma_f16 v24, v77, v54, v24 op_sel:[0,1,0]
	v_pk_fma_f16 v26, v77, v55, v26 op_sel_hi:[1,0,1]
	v_pk_fma_f16 v19, v77, v55, v19 op_sel:[0,1,0]
	;; [unrolled: 2-line block ×3, first 2 shown]
	v_pk_fma_f16 v55, v78, v57, v20 op_sel:[0,1,0]
	ds_read2_b64 v[20:23], v44 offset0:128 offset1:160
	v_pk_fma_f16 v25, v78, v57, v25 op_sel_hi:[1,0,1]
	v_pk_fma_f16 v27, v79, v56, v27 op_sel_hi:[1,0,1]
	v_pk_fma_f16 v24, v79, v56, v24 op_sel:[0,1,0]
	v_pk_fma_f16 v26, v79, v57, v26 op_sel_hi:[1,0,1]
	v_pk_fma_f16 v19, v79, v57, v19 op_sel:[0,1,0]
	s_waitcnt lgkmcnt(0)
	v_pk_fma_f16 v53, v20, v68, v53 op_sel_hi:[1,0,1]
	v_pk_fma_f16 v54, v20, v68, v54 op_sel:[0,1,0]
	v_pk_fma_f16 v25, v20, v69, v25 op_sel_hi:[1,0,1]
	v_pk_fma_f16 v20, v20, v69, v55 op_sel:[0,1,0]
	;; [unrolled: 2-line block ×5, first 2 shown]
	v_pk_fma_f16 v54, v22, v71, v25 op_sel_hi:[1,0,1]
	ds_read2_b64 v[24:27], v44 offset0:192 offset1:224
	v_pk_fma_f16 v20, v22, v71, v20 op_sel:[0,1,0]
	v_pk_fma_f16 v22, v23, v70, v55 op_sel_hi:[1,0,1]
	v_pk_fma_f16 v55, v23, v70, v56 op_sel:[0,1,0]
	v_pk_fma_f16 v56, v23, v71, v57 op_sel_hi:[1,0,1]
	v_pk_fma_f16 v19, v23, v71, v19 op_sel:[0,1,0]
	s_waitcnt lgkmcnt(0)
	v_pk_fma_f16 v21, v24, v72, v21 op_sel_hi:[1,0,1]
	v_pk_fma_f16 v23, v24, v72, v53 op_sel:[0,1,0]
	v_pk_fma_f16 v20, v24, v73, v20 op_sel:[0,1,0]
	v_pk_fma_f16 v22, v25, v72, v22 op_sel_hi:[1,0,1]
	v_pk_fma_f16 v53, v24, v73, v54 op_sel_hi:[1,0,1]
	v_pk_fma_f16 v24, v25, v72, v55 op_sel:[0,1,0]
	v_pk_fma_f16 v58, v25, v73, v56 op_sel_hi:[1,0,1]
	v_pk_fma_f16 v59, v26, v74, v21 op_sel_hi:[1,0,1]
	v_pk_fma_f16 v60, v26, v74, v23 op_sel:[0,1,0]
	v_pk_fma_f16 v67, v26, v75, v20 op_sel:[0,1,0]
	v_pk_fma_f16 v68, v27, v74, v22 op_sel_hi:[1,0,1]
	ds_read2_b64 v[20:23], v16 offset1:32
	ds_read_b128 v[54:57], v43 offset:320
	v_pk_fma_f16 v19, v25, v73, v19 op_sel:[0,1,0]
	v_pk_fma_f16 v53, v26, v75, v53 op_sel_hi:[1,0,1]
	v_pk_fma_f16 v69, v27, v74, v24 op_sel:[0,1,0]
	v_pk_fma_f16 v58, v27, v75, v58 op_sel_hi:[1,0,1]
	v_pk_fma_f16 v19, v27, v75, v19 op_sel:[0,1,0]
	ds_read_b128 v[24:27], v43 offset:336
	s_waitcnt lgkmcnt(1)
	v_pk_fma_f16 v59, v20, v54, v59 op_sel_hi:[1,0,1]
	v_pk_fma_f16 v60, v20, v54, v60 op_sel:[0,1,0]
	v_pk_fma_f16 v53, v20, v55, v53 op_sel_hi:[1,0,1]
	v_pk_fma_f16 v20, v20, v55, v67 op_sel:[0,1,0]
	;; [unrolled: 2-line block ×3, first 2 shown]
	ds_read2_b64 v[68:71], v16 offset0:64 offset1:96
	v_pk_fma_f16 v58, v21, v55, v58 op_sel_hi:[1,0,1]
	v_pk_fma_f16 v19, v21, v55, v19 op_sel:[0,1,0]
	v_pk_fma_f16 v21, v22, v56, v59 op_sel_hi:[1,0,1]
	v_pk_fma_f16 v55, v22, v56, v60 op_sel:[0,1,0]
	;; [unrolled: 2-line block ×5, first 2 shown]
	s_waitcnt lgkmcnt(0)
	v_pk_fma_f16 v21, v68, v24, v21 op_sel_hi:[1,0,1]
	v_pk_fma_f16 v23, v68, v24, v55 op_sel:[0,1,0]
	v_pk_fma_f16 v20, v68, v25, v20 op_sel:[0,1,0]
	v_pk_fma_f16 v22, v69, v24, v22 op_sel_hi:[1,0,1]
	v_pk_fma_f16 v53, v68, v25, v53 op_sel_hi:[1,0,1]
	v_pk_fma_f16 v24, v69, v24, v54 op_sel:[0,1,0]
	v_pk_fma_f16 v58, v69, v25, v56 op_sel_hi:[1,0,1]
	v_pk_fma_f16 v59, v70, v26, v21 op_sel_hi:[1,0,1]
	v_pk_fma_f16 v60, v70, v26, v23 op_sel:[0,1,0]
	v_pk_fma_f16 v67, v70, v27, v20 op_sel:[0,1,0]
	v_pk_fma_f16 v68, v71, v26, v22 op_sel_hi:[1,0,1]
	ds_read2_b64 v[20:23], v16 offset0:128 offset1:160
	ds_read_b128 v[54:57], v43 offset:352
	v_pk_fma_f16 v19, v69, v25, v19 op_sel:[0,1,0]
	v_pk_fma_f16 v53, v70, v27, v53 op_sel_hi:[1,0,1]
	v_pk_fma_f16 v69, v71, v26, v24 op_sel:[0,1,0]
	v_pk_fma_f16 v58, v71, v27, v58 op_sel_hi:[1,0,1]
	v_pk_fma_f16 v19, v71, v27, v19 op_sel:[0,1,0]
	ds_read_b128 v[24:27], v43 offset:368
	s_waitcnt lgkmcnt(1)
	v_pk_fma_f16 v59, v20, v54, v59 op_sel_hi:[1,0,1]
	v_pk_fma_f16 v60, v20, v54, v60 op_sel:[0,1,0]
	v_pk_fma_f16 v53, v20, v55, v53 op_sel_hi:[1,0,1]
	v_pk_fma_f16 v20, v20, v55, v67 op_sel:[0,1,0]
	;; [unrolled: 2-line block ×3, first 2 shown]
	ds_read2_b64 v[68:71], v16 offset0:192 offset1:224
	v_pk_fma_f16 v58, v21, v55, v58 op_sel_hi:[1,0,1]
	v_pk_fma_f16 v19, v21, v55, v19 op_sel:[0,1,0]
	v_pk_fma_f16 v21, v22, v56, v59 op_sel_hi:[1,0,1]
	v_pk_fma_f16 v55, v22, v56, v60 op_sel:[0,1,0]
	v_pk_fma_f16 v20, v22, v57, v20 op_sel:[0,1,0]
	v_pk_fma_f16 v53, v22, v57, v53 op_sel_hi:[1,0,1]
	v_pk_fma_f16 v16, v23, v56, v67 op_sel_hi:[1,0,1]
	v_pk_fma_f16 v22, v23, v56, v54 op_sel:[0,1,0]
	v_pk_fma_f16 v54, v23, v57, v58 op_sel_hi:[1,0,1]
	v_pk_fma_f16 v19, v23, v57, v19 op_sel:[0,1,0]
	s_waitcnt lgkmcnt(0)
	v_pk_fma_f16 v21, v68, v24, v21 op_sel_hi:[1,0,1]
	v_pk_fma_f16 v23, v68, v24, v55 op_sel:[0,1,0]
	v_pk_fma_f16 v20, v68, v25, v20 op_sel:[0,1,0]
	v_pk_fma_f16 v16, v69, v24, v16 op_sel_hi:[1,0,1]
	v_pk_fma_f16 v24, v69, v24, v22 op_sel:[0,1,0]
	v_pk_fma_f16 v58, v69, v25, v54 op_sel_hi:[1,0,1]
	v_pk_fma_f16 v59, v70, v26, v21 op_sel_hi:[1,0,1]
	v_pk_fma_f16 v60, v70, v26, v23 op_sel:[0,1,0]
	v_pk_fma_f16 v67, v70, v27, v20 op_sel:[0,1,0]
	ds_read2_b64 v[20:23], v17 offset1:32
	ds_read_b128 v[54:57], v43 offset:384
	v_pk_fma_f16 v53, v68, v25, v53 op_sel_hi:[1,0,1]
	v_pk_fma_f16 v19, v69, v25, v19 op_sel:[0,1,0]
	v_pk_fma_f16 v16, v71, v26, v16 op_sel_hi:[1,0,1]
	v_pk_fma_f16 v68, v71, v26, v24 op_sel:[0,1,0]
	v_pk_fma_f16 v53, v70, v27, v53 op_sel_hi:[1,0,1]
	v_pk_fma_f16 v58, v71, v27, v58 op_sel_hi:[1,0,1]
	v_pk_fma_f16 v19, v71, v27, v19 op_sel:[0,1,0]
	ds_read_b128 v[24:27], v43 offset:400
	s_waitcnt lgkmcnt(1)
	v_pk_fma_f16 v59, v20, v54, v59 op_sel_hi:[1,0,1]
	v_pk_fma_f16 v60, v20, v54, v60 op_sel:[0,1,0]
	v_pk_fma_f16 v16, v21, v54, v16 op_sel_hi:[1,0,1]
	v_pk_fma_f16 v54, v21, v54, v68 op_sel:[0,1,0]
	ds_read2_b64 v[68:71], v17 offset0:64 offset1:96
	v_pk_fma_f16 v53, v20, v55, v53 op_sel_hi:[1,0,1]
	v_pk_fma_f16 v20, v20, v55, v67 op_sel:[0,1,0]
	v_pk_fma_f16 v58, v21, v55, v58 op_sel_hi:[1,0,1]
	v_pk_fma_f16 v19, v21, v55, v19 op_sel:[0,1,0]
	;; [unrolled: 2-line block ×3, first 2 shown]
	v_pk_fma_f16 v20, v22, v57, v20 op_sel:[0,1,0]
	v_pk_fma_f16 v53, v22, v57, v53 op_sel_hi:[1,0,1]
	v_pk_fma_f16 v16, v23, v56, v16 op_sel_hi:[1,0,1]
	v_pk_fma_f16 v22, v23, v56, v54 op_sel:[0,1,0]
	v_pk_fma_f16 v54, v23, v57, v58 op_sel_hi:[1,0,1]
	v_pk_fma_f16 v19, v23, v57, v19 op_sel:[0,1,0]
	s_waitcnt lgkmcnt(0)
	v_pk_fma_f16 v21, v68, v24, v21 op_sel_hi:[1,0,1]
	v_pk_fma_f16 v23, v68, v24, v55 op_sel:[0,1,0]
	v_pk_fma_f16 v20, v68, v25, v20 op_sel:[0,1,0]
	v_pk_fma_f16 v16, v69, v24, v16 op_sel_hi:[1,0,1]
	v_pk_fma_f16 v24, v69, v24, v22 op_sel:[0,1,0]
	v_pk_fma_f16 v58, v69, v25, v54 op_sel_hi:[1,0,1]
	v_pk_fma_f16 v59, v70, v26, v21 op_sel_hi:[1,0,1]
	v_pk_fma_f16 v60, v70, v26, v23 op_sel:[0,1,0]
	v_pk_fma_f16 v67, v70, v27, v20 op_sel:[0,1,0]
	ds_read2_b64 v[20:23], v17 offset0:128 offset1:160
	ds_read_b128 v[54:57], v43 offset:416
	v_pk_fma_f16 v53, v68, v25, v53 op_sel_hi:[1,0,1]
	v_pk_fma_f16 v19, v69, v25, v19 op_sel:[0,1,0]
	v_pk_fma_f16 v16, v71, v26, v16 op_sel_hi:[1,0,1]
	v_pk_fma_f16 v68, v71, v26, v24 op_sel:[0,1,0]
	v_pk_fma_f16 v53, v70, v27, v53 op_sel_hi:[1,0,1]
	v_pk_fma_f16 v58, v71, v27, v58 op_sel_hi:[1,0,1]
	v_pk_fma_f16 v19, v71, v27, v19 op_sel:[0,1,0]
	ds_read_b128 v[24:27], v43 offset:432
	s_waitcnt lgkmcnt(1)
	v_pk_fma_f16 v59, v20, v54, v59 op_sel_hi:[1,0,1]
	v_pk_fma_f16 v60, v20, v54, v60 op_sel:[0,1,0]
	v_pk_fma_f16 v16, v21, v54, v16 op_sel_hi:[1,0,1]
	v_pk_fma_f16 v54, v21, v54, v68 op_sel:[0,1,0]
	ds_read2_b64 v[68:71], v17 offset0:192 offset1:224
	v_pk_fma_f16 v53, v20, v55, v53 op_sel_hi:[1,0,1]
	v_pk_fma_f16 v20, v20, v55, v67 op_sel:[0,1,0]
	v_pk_fma_f16 v58, v21, v55, v58 op_sel_hi:[1,0,1]
	v_pk_fma_f16 v19, v21, v55, v19 op_sel:[0,1,0]
	;; [unrolled: 2-line block ×3, first 2 shown]
	v_pk_fma_f16 v20, v22, v57, v20 op_sel:[0,1,0]
	v_pk_fma_f16 v53, v22, v57, v53 op_sel_hi:[1,0,1]
	v_pk_fma_f16 v16, v23, v56, v16 op_sel_hi:[1,0,1]
	v_pk_fma_f16 v17, v23, v56, v54 op_sel:[0,1,0]
	v_pk_fma_f16 v22, v23, v57, v58 op_sel_hi:[1,0,1]
	v_pk_fma_f16 v19, v23, v57, v19 op_sel:[0,1,0]
	s_waitcnt lgkmcnt(0)
	v_pk_fma_f16 v21, v68, v24, v21 op_sel_hi:[1,0,1]
	v_pk_fma_f16 v23, v68, v24, v55 op_sel:[0,1,0]
	v_pk_fma_f16 v20, v68, v25, v20 op_sel:[0,1,0]
	v_pk_fma_f16 v16, v69, v24, v16 op_sel_hi:[1,0,1]
	v_pk_fma_f16 v17, v69, v24, v17 op_sel:[0,1,0]
	v_pk_fma_f16 v24, v69, v25, v22 op_sel_hi:[1,0,1]
	v_pk_fma_f16 v58, v70, v26, v21 op_sel_hi:[1,0,1]
	v_pk_fma_f16 v59, v70, v26, v23 op_sel:[0,1,0]
	v_pk_fma_f16 v60, v70, v27, v20 op_sel:[0,1,0]
	ds_read2_b64 v[20:23], v18 offset1:32
	ds_read_b128 v[54:57], v43 offset:448
	v_pk_fma_f16 v53, v68, v25, v53 op_sel_hi:[1,0,1]
	v_pk_fma_f16 v19, v69, v25, v19 op_sel:[0,1,0]
	v_pk_fma_f16 v53, v70, v27, v53 op_sel_hi:[1,0,1]
	v_pk_fma_f16 v16, v71, v26, v16 op_sel_hi:[1,0,1]
	v_pk_fma_f16 v17, v71, v26, v17 op_sel:[0,1,0]
	v_pk_fma_f16 v67, v71, v27, v24 op_sel_hi:[1,0,1]
	v_pk_fma_f16 v19, v71, v27, v19 op_sel:[0,1,0]
	ds_read_b128 v[24:27], v43 offset:464
	ds_read2_b64 v[68:71], v18 offset0:64 offset1:96
	s_waitcnt lgkmcnt(2)
	v_pk_fma_f16 v58, v20, v54, v58 op_sel_hi:[1,0,1]
	v_pk_fma_f16 v59, v20, v54, v59 op_sel:[0,1,0]
	v_pk_fma_f16 v53, v20, v55, v53 op_sel_hi:[1,0,1]
	v_pk_fma_f16 v20, v20, v55, v60 op_sel:[0,1,0]
	;; [unrolled: 2-line block ×5, first 2 shown]
	v_pk_fma_f16 v20, v22, v57, v20 op_sel:[0,1,0]
	v_pk_fma_f16 v53, v22, v57, v53 op_sel_hi:[1,0,1]
	v_pk_fma_f16 v16, v23, v56, v16 op_sel_hi:[1,0,1]
	v_pk_fma_f16 v17, v23, v56, v17 op_sel:[0,1,0]
	v_pk_fma_f16 v22, v23, v57, v54 op_sel_hi:[1,0,1]
	v_pk_fma_f16 v19, v23, v57, v19 op_sel:[0,1,0]
	s_waitcnt lgkmcnt(0)
	v_pk_fma_f16 v21, v68, v24, v21 op_sel_hi:[1,0,1]
	v_pk_fma_f16 v23, v68, v24, v55 op_sel:[0,1,0]
	v_pk_fma_f16 v20, v68, v25, v20 op_sel:[0,1,0]
	v_pk_fma_f16 v16, v69, v24, v16 op_sel_hi:[1,0,1]
	v_pk_fma_f16 v17, v69, v24, v17 op_sel:[0,1,0]
	v_pk_fma_f16 v24, v69, v25, v22 op_sel_hi:[1,0,1]
	v_pk_fma_f16 v58, v70, v26, v21 op_sel_hi:[1,0,1]
	v_pk_fma_f16 v59, v70, v26, v23 op_sel:[0,1,0]
	v_pk_fma_f16 v60, v70, v27, v20 op_sel:[0,1,0]
	ds_read2_b64 v[20:23], v18 offset0:128 offset1:160
	ds_read_b128 v[54:57], v43 offset:480
	v_pk_fma_f16 v53, v68, v25, v53 op_sel_hi:[1,0,1]
	v_pk_fma_f16 v19, v69, v25, v19 op_sel:[0,1,0]
	v_pk_fma_f16 v53, v70, v27, v53 op_sel_hi:[1,0,1]
	v_pk_fma_f16 v16, v71, v26, v16 op_sel_hi:[1,0,1]
	v_pk_fma_f16 v17, v71, v26, v17 op_sel:[0,1,0]
	v_pk_fma_f16 v67, v71, v27, v24 op_sel_hi:[1,0,1]
	v_pk_fma_f16 v19, v71, v27, v19 op_sel:[0,1,0]
	ds_read_b128 v[24:27], v43 offset:496
	s_waitcnt lgkmcnt(1)
	v_pk_fma_f16 v58, v20, v54, v58 op_sel_hi:[1,0,1]
	v_pk_fma_f16 v59, v20, v54, v59 op_sel:[0,1,0]
	v_pk_fma_f16 v53, v20, v55, v53 op_sel_hi:[1,0,1]
	v_pk_fma_f16 v20, v20, v55, v60 op_sel:[0,1,0]
	v_pk_fma_f16 v60, v21, v54, v16 op_sel_hi:[1,0,1]
	v_pk_fma_f16 v54, v21, v54, v17 op_sel:[0,1,0]
	v_pk_fma_f16 v67, v21, v55, v67 op_sel_hi:[1,0,1]
	v_pk_fma_f16 v21, v21, v55, v19 op_sel:[0,1,0]
	ds_read2_b64 v[16:19], v18 offset0:192 offset1:224
	s_waitcnt lgkmcnt(0)
	s_barrier
	s_load_dword s10, s[0:1], 0x4
	v_pk_fma_f16 v55, v22, v56, v58 op_sel_hi:[1,0,1]
	v_pk_fma_f16 v58, v22, v56, v59 op_sel:[0,1,0]
	v_pk_fma_f16 v53, v22, v57, v53 op_sel_hi:[1,0,1]
	v_pk_fma_f16 v20, v22, v57, v20 op_sel:[0,1,0]
	;; [unrolled: 2-line block ×4, first 2 shown]
	s_waitcnt lgkmcnt(0)
	s_lshl_b32 s10, s10, 6
	v_pk_fma_f16 v23, v16, v24, v55 op_sel_hi:[1,0,1]
	v_pk_fma_f16 v55, v16, v24, v58 op_sel:[0,1,0]
	v_pk_fma_f16 v53, v16, v25, v53 op_sel_hi:[1,0,1]
	v_pk_fma_f16 v16, v16, v25, v20 op_sel:[0,1,0]
	;; [unrolled: 2-line block ×4, first 2 shown]
	s_add_i32 s6, s10, s6
	v_pk_fma_f16 v58, v18, v26, v23 op_sel_hi:[1,0,1]
	v_pk_fma_f16 v55, v18, v26, v55 op_sel:[0,1,0]
	v_pk_fma_f16 v53, v18, v27, v53 op_sel_hi:[1,0,1]
	v_pk_fma_f16 v57, v18, v27, v16 op_sel:[0,1,0]
	;; [unrolled: 2-line block ×3, first 2 shown]
	v_pk_fma_f16 v23, v19, v27, v24 op_sel_hi:[1,0,1]
	s_cmp_ge_i32 s6, s30
	v_pk_fma_f16 v54, v19, v27, v17 op_sel:[0,1,0]
	s_cbranch_scc1 .LBB81_43
; %bb.42:                               ;   in Loop: Header=BB81_9 Depth=1
	v_mov_b32_e32 v16, v0
	v_mov_b32_e32 v17, v1
	;; [unrolled: 1-line block ×4, first 2 shown]
	s_branch .LBB81_9
.LBB81_43:
	v_cmp_lt_i32_e32 vcc, v64, v61
	v_cndmask_b32_e32 v8, v36, v64, vcc
	v_cmp_lt_i32_e32 vcc, v65, v61
	v_lshlrev_b32_e32 v11, 2, v8
	v_cndmask_b32_e32 v8, v36, v65, vcc
	v_cmp_lt_i32_e32 vcc, v66, v61
	v_lshlrev_b32_e32 v12, 2, v8
	v_cndmask_b32_e32 v8, v36, v66, vcc
	v_lshlrev_b32_e32 v13, 2, v8
	ds_bpermute_b32 v8, v11, v6
	ds_bpermute_b32 v9, v11, v7
	;; [unrolled: 1-line block ×4, first 2 shown]
	v_cmp_lt_i32_e32 vcc, v63, v61
	v_cndmask_b32_e32 v14, v36, v63, vcc
	s_waitcnt lgkmcnt(2)
	v_pk_add_f32 v[6:7], v[6:7], v[8:9]
	ds_bpermute_b32 v8, v12, v6
	s_waitcnt lgkmcnt(1)
	v_pk_add_f32 v[4:5], v[4:5], v[10:11]
	ds_bpermute_b32 v9, v12, v7
	ds_bpermute_b32 v10, v12, v4
	;; [unrolled: 1-line block ×3, first 2 shown]
	v_lshlrev_b32_e32 v12, 2, v14
	v_cmp_lt_i32_e32 vcc, v62, v61
	s_waitcnt lgkmcnt(2)
	v_pk_add_f32 v[6:7], v[6:7], v[8:9]
	ds_bpermute_b32 v8, v13, v6
	s_waitcnt lgkmcnt(1)
	v_pk_add_f32 v[4:5], v[4:5], v[10:11]
	ds_bpermute_b32 v9, v13, v7
	ds_bpermute_b32 v10, v13, v4
	;; [unrolled: 1-line block ×3, first 2 shown]
	v_cndmask_b32_e32 v13, v36, v62, vcc
	s_cmp_lg_u64 s[16:17], 0
	s_waitcnt lgkmcnt(2)
	v_pk_add_f32 v[6:7], v[6:7], v[8:9]
	ds_bpermute_b32 v8, v12, v6
	s_waitcnt lgkmcnt(1)
	v_pk_add_f32 v[4:5], v[4:5], v[10:11]
	ds_bpermute_b32 v9, v12, v7
	ds_bpermute_b32 v10, v12, v4
	ds_bpermute_b32 v11, v12, v5
	v_lshlrev_b32_e32 v12, 2, v13
	s_cselect_b64 s[0:1], -1, 0
	s_waitcnt lgkmcnt(2)
	v_pk_add_f32 v[6:7], v[6:7], v[8:9]
	ds_bpermute_b32 v8, v12, v6
	s_waitcnt lgkmcnt(1)
	v_pk_add_f32 v[4:5], v[4:5], v[10:11]
	ds_bpermute_b32 v9, v12, v7
	ds_bpermute_b32 v10, v12, v4
	;; [unrolled: 1-line block ×3, first 2 shown]
	s_cmp_eq_u32 s7, 0
	s_cselect_b64 s[8:9], -1, 0
	s_and_b64 s[0:1], s[8:9], s[0:1]
	s_waitcnt lgkmcnt(2)
	v_pk_add_f32 v[6:7], v[6:7], v[8:9]
	s_waitcnt lgkmcnt(0)
	v_pk_add_f32 v[4:5], v[4:5], v[10:11]
	s_and_b64 vcc, exec, s[0:1]
	s_cbranch_vccz .LBB81_45
; %bb.44:
	s_ashr_i32 s29, s28, 31
	s_lshl_b64 s[0:1], s[28:29], 2
	s_add_u32 s0, s16, s0
	s_addc_u32 s1, s17, s1
	v_mov_b32_e32 v8, 0
	global_load_dwordx2 v[12:13], v8, s[0:1]
	v_max_f32_e32 v8, v1, v1
	v_max_f32_e32 v10, v0, v0
	;; [unrolled: 1-line block ×4, first 2 shown]
	s_mov_b32 s6, 0x3fb8aa3b
	s_mov_b32 s0, 0xc2ce8ed0
	;; [unrolled: 1-line block ×3, first 2 shown]
	v_mov_b32_e32 v14, 0x7f800000
	s_waitcnt vmcnt(0)
	v_max_f32_e32 v16, v13, v13
	v_max_f32_e32 v17, v12, v12
	;; [unrolled: 1-line block ×4, first 2 shown]
	v_pk_add_f32 v[0:1], v[0:1], v[8:9] neg_lo:[0,1] neg_hi:[0,1]
	v_max_f32_e32 v11, v11, v16
	v_max_f32_e32 v10, v15, v17
	v_mul_f32_e32 v17, 0x3fb8aa3b, v1
	v_pk_add_f32 v[2:3], v[2:3], v[10:11] neg_lo:[0,1] neg_hi:[0,1]
	v_mul_f32_e32 v18, 0x3fb8aa3b, v0
	v_fma_f32 v24, v1, s6, -v17
	v_rndne_f32_e32 v25, v17
	v_mul_f32_e32 v19, 0x3fb8aa3b, v3
	v_fma_f32 v26, v0, s6, -v18
	v_rndne_f32_e32 v27, v18
	v_fmac_f32_e32 v24, 0x32a5705f, v1
	v_sub_f32_e32 v17, v17, v25
	v_mul_f32_e32 v20, 0x3fb8aa3b, v2
	v_fma_f32 v36, v3, s6, -v19
	v_rndne_f32_e32 v37, v19
	v_fmac_f32_e32 v26, 0x32a5705f, v0
	v_sub_f32_e32 v18, v18, v27
	v_add_f32_e32 v17, v17, v24
	v_fma_f32 v38, v2, s6, -v20
	v_rndne_f32_e32 v39, v20
	v_cvt_i32_f32_e32 v25, v25
	v_fmac_f32_e32 v36, 0x32a5705f, v3
	v_sub_f32_e32 v19, v19, v37
	v_add_f32_e32 v18, v18, v26
	v_exp_f32_e32 v17, v17
	v_cvt_i32_f32_e32 v27, v27
	v_fmac_f32_e32 v38, 0x32a5705f, v2
	v_sub_f32_e32 v20, v20, v39
	v_add_f32_e32 v19, v19, v36
	v_exp_f32_e32 v18, v18
	v_cvt_i32_f32_e32 v37, v37
	v_add_f32_e32 v20, v20, v38
	v_exp_f32_e32 v19, v19
	v_cvt_i32_f32_e32 v39, v39
	v_exp_f32_e32 v20, v20
	v_ldexp_f32 v17, v17, v25
	v_cmp_ngt_f32_e32 vcc, s0, v1
	v_ldexp_f32 v18, v18, v27
	v_cndmask_b32_e32 v17, 0, v17, vcc
	v_cmp_ngt_f32_e32 vcc, s0, v0
	v_ldexp_f32 v19, v19, v37
	v_cndmask_b32_e32 v18, 0, v18, vcc
	;; [unrolled: 3-line block ×3, first 2 shown]
	v_cmp_ngt_f32_e32 vcc, s0, v2
	v_cndmask_b32_e32 v20, 0, v20, vcc
	v_cmp_nlt_f32_e32 vcc, s1, v1
	v_cndmask_b32_e32 v1, v14, v17, vcc
	v_cmp_nlt_f32_e32 vcc, s1, v0
	v_cndmask_b32_e32 v0, v14, v18, vcc
	v_sub_f32_e32 v15, v13, v11
	v_sub_f32_e32 v13, v13, v9
	v_cvt_f16_f32_e32 v17, v0
	v_sub_f32_e32 v16, v12, v10
	v_sub_f32_e32 v12, v12, v8
	v_mul_f32_e32 v21, 0x3fb8aa3b, v13
	v_mul_f32_e32 v22, 0x3fb8aa3b, v12
	v_fma_f32 v40, v13, s6, -v21
	v_rndne_f32_e32 v41, v21
	v_cvt_f16_f32_e32 v18, v1
	v_fma_f32 v42, v12, s6, -v22
	v_rndne_f32_e32 v43, v22
	v_fmac_f32_e32 v40, 0x32a5705f, v13
	v_sub_f32_e32 v21, v21, v41
	v_cmp_nlt_f32_e32 vcc, s1, v3
	v_fmac_f32_e32 v42, 0x32a5705f, v12
	v_add_f32_e32 v21, v21, v40
	v_cndmask_b32_e32 v3, v14, v19, vcc
	v_cmp_nlt_f32_e32 vcc, s1, v2
	v_pk_mul_f16 v58, v17, v58 op_sel_hi:[0,1]
	v_pk_mul_f16 v59, v17, v59 op_sel_hi:[0,1]
	v_sub_f32_e32 v17, v22, v43
	v_cvt_i32_f32_e32 v41, v41
	v_exp_f32_e32 v21, v21
	v_cndmask_b32_e32 v2, v14, v20, vcc
	v_add_f32_e32 v17, v17, v42
	v_cvt_f16_f32_e32 v19, v2
	v_pk_mul_f16 v55, v18, v55 op_sel_hi:[0,1]
	v_pk_mul_f16 v56, v18, v56 op_sel_hi:[0,1]
	v_exp_f32_e32 v17, v17
	v_cvt_i32_f32_e32 v18, v43
	v_cvt_f16_f32_e32 v20, v3
	v_ldexp_f32 v21, v21, v41
	v_cmp_ngt_f32_e32 vcc, s0, v13
	v_pk_mul_f16 v53, v19, v53 op_sel_hi:[0,1]
	v_pk_mul_f16 v23, v19, v23 op_sel_hi:[0,1]
	v_cndmask_b32_e32 v19, 0, v21, vcc
	v_cmp_nlt_f32_e32 vcc, s1, v13
	v_ldexp_f32 v17, v17, v18
	v_mul_f32_e32 v18, 0x3fb8aa3b, v15
	v_pk_mul_f16 v57, v20, v57 op_sel_hi:[0,1]
	v_pk_mul_f16 v54, v20, v54 op_sel_hi:[0,1]
	v_cndmask_b32_e32 v13, v14, v19, vcc
	v_fma_f32 v19, v15, s6, -v18
	v_rndne_f32_e32 v20, v18
	v_fmac_f32_e32 v19, 0x32a5705f, v15
	v_sub_f32_e32 v18, v18, v20
	v_add_f32_e32 v18, v18, v19
	v_exp_f32_e32 v18, v18
	v_cvt_i32_f32_e32 v19, v20
	v_cmp_ngt_f32_e32 vcc, s0, v12
	v_cndmask_b32_e32 v17, 0, v17, vcc
	v_cmp_nlt_f32_e32 vcc, s1, v12
	v_cndmask_b32_e32 v12, v14, v17, vcc
	v_ldexp_f32 v17, v18, v19
	v_mul_f32_e32 v18, 0x3fb8aa3b, v16
	v_fma_f32 v19, v16, s6, -v18
	v_rndne_f32_e32 v20, v18
	v_fmac_f32_e32 v19, 0x32a5705f, v16
	v_sub_f32_e32 v18, v18, v20
	v_add_f32_e32 v18, v18, v19
	v_exp_f32_e32 v18, v18
	v_cvt_i32_f32_e32 v19, v20
	v_cmp_ngt_f32_e32 vcc, s0, v15
	v_cndmask_b32_e32 v17, 0, v17, vcc
	v_cmp_nlt_f32_e32 vcc, s1, v15
	v_cndmask_b32_e32 v15, v14, v17, vcc
	v_ldexp_f32 v17, v18, v19
	v_cmp_ngt_f32_e32 vcc, s0, v16
	v_cndmask_b32_e32 v17, 0, v17, vcc
	v_cmp_nlt_f32_e32 vcc, s1, v16
	v_cndmask_b32_e32 v14, v14, v17, vcc
	v_pk_fma_f32 v[4:5], v[4:5], v[2:3], v[14:15]
	v_pk_fma_f32 v[6:7], v[6:7], v[0:1], v[12:13]
	v_pk_mov_b32 v[0:1], v[8:9], v[8:9] op_sel:[0,1]
	v_pk_mov_b32 v[2:3], v[10:11], v[10:11] op_sel:[0,1]
.LBB81_45:
	v_cmp_gt_i32_e32 vcc, s2, v35
	s_and_saveexec_b64 s[0:1], vcc
	s_cbranch_execz .LBB81_64
; %bb.46:
	s_load_dword s6, s[4:5], 0xd4
	v_mov_b32_e32 v8, 1.0
	s_waitcnt lgkmcnt(0)
	s_cmp_lg_u32 s6, 1
	s_cselect_b64 s[4:5], -1, 0
	s_cmp_eq_u32 s6, 1
	s_cselect_b64 s[8:9], -1, 0
	s_and_b64 vcc, exec, s[4:5]
	s_cbranch_vccnz .LBB81_48
; %bb.47:
	v_div_scale_f32 v8, s[0:1], v6, v6, 1.0
	v_rcp_f32_e32 v9, v8
	v_div_scale_f32 v10, vcc, 1.0, v6, 1.0
	v_fma_f32 v11, -v8, v9, 1.0
	v_fmac_f32_e32 v9, v11, v9
	v_mul_f32_e32 v11, v10, v9
	v_fma_f32 v12, -v8, v11, v10
	v_fmac_f32_e32 v11, v12, v9
	v_fma_f32 v8, -v8, v11, v10
	v_div_fmas_f32 v8, v8, v9, v11
	v_div_fixup_f32 v8, v8, v6, 1.0
.LBB81_48:
	s_mul_i32 s10, s33, s2
	s_add_i32 s10, s10, s14
	v_add_u32_e32 v9, s10, v33
	v_mul_lo_u32 v9, v9, s3
	v_add_u32_e32 v10, s28, v9
	v_mul_lo_u32 v10, s6, v10
	v_add_u32_e32 v10, s7, v10
	v_cvt_f32_f16_sdwa v15, v58 dst_sel:DWORD dst_unused:UNUSED_PAD src0_sel:WORD_1
	v_cvt_f32_f16_e32 v14, v58
	v_cvt_f32_f16_sdwa v17, v59 dst_sel:DWORD dst_unused:UNUSED_PAD src0_sel:WORD_1
	v_cvt_f32_f16_e32 v16, v59
	v_lshl_add_u32 v12, v10, 7, v32
	v_mov_b32_e32 v13, 0
	v_lshlrev_b64 v[12:13], 2, v[12:13]
	v_cmp_eq_u32_e32 vcc, 0, v34
	v_mov_b32_e32 v11, s21
	v_add_co_u32_e64 v18, s[0:1], s20, v12
	v_addc_co_u32_e64 v19, s[0:1], v11, v13, s[0:1]
	v_pk_mul_f32 v[12:13], v[8:9], v[14:15] op_sel_hi:[0,1]
	v_pk_mul_f32 v[14:15], v[8:9], v[16:17] op_sel_hi:[0,1]
	s_and_b64 s[4:5], vcc, s[4:5]
	global_store_dwordx4 v[18:19], v[12:15], off
	s_and_saveexec_b64 s[0:1], s[4:5]
	s_cbranch_execz .LBB81_50
; %bb.49:
	v_ashrrev_i32_e32 v11, 31, v10
	v_lshlrev_b64 v[10:11], 3, v[10:11]
	v_mov_b32_e32 v8, s23
	v_add_co_u32_e32 v10, vcc, s22, v10
	v_addc_co_u32_e32 v11, vcc, v8, v11, vcc
	v_mov_b32_e32 v12, v0
	v_mov_b32_e32 v13, v6
	global_store_dwordx2 v[10:11], v[12:13], off
.LBB81_50:
	s_or_b64 exec, exec, s[0:1]
	v_cndmask_b32_e64 v0, 0, 1, s[8:9]
	v_cmp_ne_u32_e64 s[0:1], 1, v0
	s_andn2_b64 vcc, exec, s[8:9]
	v_mov_b32_e32 v0, 1.0
	s_cbranch_vccnz .LBB81_52
; %bb.51:
	v_div_scale_f32 v0, s[8:9], v7, v7, 1.0
	v_rcp_f32_e32 v6, v0
	v_div_scale_f32 v8, vcc, 1.0, v7, 1.0
	v_fma_f32 v10, -v0, v6, 1.0
	v_fmac_f32_e32 v6, v10, v6
	v_mul_f32_e32 v10, v8, v6
	v_fma_f32 v11, -v0, v10, v8
	v_fmac_f32_e32 v10, v11, v6
	v_fma_f32 v0, -v0, v10, v8
	v_div_fmas_f32 v0, v0, v6, v10
	v_div_fixup_f32 v0, v0, v7, 1.0
.LBB81_52:
	s_add_i32 s11, s28, 1
	v_add_u32_e32 v6, s11, v9
	v_mul_lo_u32 v6, s6, v6
	v_add_u32_e32 v8, s7, v6
	v_cvt_f32_f16_sdwa v13, v55 dst_sel:DWORD dst_unused:UNUSED_PAD src0_sel:WORD_1
	v_cvt_f32_f16_e32 v12, v55
	v_cvt_f32_f16_sdwa v15, v56 dst_sel:DWORD dst_unused:UNUSED_PAD src0_sel:WORD_1
	v_cvt_f32_f16_e32 v14, v56
	v_lshl_add_u32 v10, v8, 7, v32
	v_mov_b32_e32 v11, 0
	v_lshlrev_b64 v[10:11], 2, v[10:11]
	v_mov_b32_e32 v6, s21
	v_add_co_u32_e32 v16, vcc, s20, v10
	v_addc_co_u32_e32 v17, vcc, v6, v11, vcc
	v_pk_mul_f32 v[10:11], v[0:1], v[12:13] op_sel_hi:[0,1]
	v_pk_mul_f32 v[12:13], v[0:1], v[14:15] op_sel_hi:[0,1]
	global_store_dwordx4 v[16:17], v[10:13], off
	s_and_saveexec_b64 s[8:9], s[4:5]
	s_cbranch_execz .LBB81_54
; %bb.53:
	v_ashrrev_i32_e32 v9, 31, v8
	v_lshlrev_b64 v[8:9], 3, v[8:9]
	v_mov_b32_e32 v0, s23
	v_add_co_u32_e32 v8, vcc, s22, v8
	v_addc_co_u32_e32 v9, vcc, v0, v9, vcc
	v_mov_b32_e32 v6, v1
	global_store_dwordx2 v[8:9], v[6:7], off
.LBB81_54:
	s_or_b64 exec, exec, s[8:9]
	v_cmp_gt_i32_e32 vcc, s2, v31
	s_and_b64 exec, exec, vcc
	s_cbranch_execz .LBB81_64
; %bb.55:
	s_and_b64 vcc, exec, s[0:1]
	v_mov_b32_e32 v6, 1.0
	s_cbranch_vccnz .LBB81_57
; %bb.56:
	v_div_scale_f32 v0, s[8:9], v4, v4, 1.0
	v_rcp_f32_e32 v1, v0
	v_div_scale_f32 v6, vcc, 1.0, v4, 1.0
	v_fma_f32 v7, -v0, v1, 1.0
	v_fmac_f32_e32 v1, v7, v1
	v_mul_f32_e32 v7, v6, v1
	v_fma_f32 v8, -v0, v7, v6
	v_fmac_f32_e32 v7, v8, v1
	v_fma_f32 v0, -v0, v7, v6
	v_div_fmas_f32 v0, v0, v1, v7
	v_div_fixup_f32 v6, v0, v4, 1.0
.LBB81_57:
	v_add_u32_e32 v0, s10, v30
	v_mul_lo_u32 v0, v0, s3
	v_add_u32_e32 v0, s28, v0
	v_mul_lo_u32 v0, s6, v0
	v_add_u32_e32 v0, s7, v0
	v_cvt_f32_f16_sdwa v11, v53 dst_sel:DWORD dst_unused:UNUSED_PAD src0_sel:WORD_1
	v_cvt_f32_f16_e32 v10, v53
	v_cvt_f32_f16_sdwa v13, v23 dst_sel:DWORD dst_unused:UNUSED_PAD src0_sel:WORD_1
	v_cvt_f32_f16_e32 v12, v23
	v_lshl_add_u32 v8, v0, 7, v32
	v_mov_b32_e32 v9, 0
	v_lshlrev_b64 v[8:9], 2, v[8:9]
	v_mov_b32_e32 v1, s21
	v_add_co_u32_e32 v14, vcc, s20, v8
	v_addc_co_u32_e32 v15, vcc, v1, v9, vcc
	v_pk_mul_f32 v[8:9], v[6:7], v[10:11] op_sel_hi:[0,1]
	v_pk_mul_f32 v[10:11], v[6:7], v[12:13] op_sel_hi:[0,1]
	global_store_dwordx4 v[14:15], v[8:11], off
	s_and_saveexec_b64 s[8:9], s[4:5]
	s_cbranch_execz .LBB81_59
; %bb.58:
	v_ashrrev_i32_e32 v1, 31, v0
	v_lshlrev_b64 v[0:1], 3, v[0:1]
	v_mov_b32_e32 v6, s23
	v_add_co_u32_e32 v0, vcc, s22, v0
	v_addc_co_u32_e32 v1, vcc, v6, v1, vcc
	v_mov_b32_e32 v6, v2
	v_mov_b32_e32 v7, v4
	global_store_dwordx2 v[0:1], v[6:7], off
.LBB81_59:
	s_or_b64 exec, exec, s[8:9]
	v_cmp_gt_i32_e32 vcc, s2, v29
	s_and_b64 exec, exec, vcc
	s_cbranch_execz .LBB81_64
; %bb.60:
	s_and_b64 vcc, exec, s[0:1]
	v_mov_b32_e32 v2, 1.0
	s_cbranch_vccnz .LBB81_62
; %bb.61:
	v_div_scale_f32 v0, s[0:1], v5, v5, 1.0
	v_rcp_f32_e32 v1, v0
	v_div_scale_f32 v2, vcc, 1.0, v5, 1.0
	v_fma_f32 v4, -v0, v1, 1.0
	v_fmac_f32_e32 v1, v4, v1
	v_mul_f32_e32 v4, v2, v1
	v_fma_f32 v6, -v0, v4, v2
	v_fmac_f32_e32 v4, v6, v1
	v_fma_f32 v0, -v0, v4, v2
	v_div_fmas_f32 v0, v0, v1, v4
	v_div_fixup_f32 v2, v0, v5, 1.0
.LBB81_62:
	v_add_u32_e32 v0, s10, v28
	v_mul_lo_u32 v0, v0, s3
	v_add_u32_e32 v0, s11, v0
	v_mul_lo_u32 v0, s6, v0
	v_add_u32_e32 v0, s7, v0
	v_cvt_f32_f16_sdwa v9, v57 dst_sel:DWORD dst_unused:UNUSED_PAD src0_sel:WORD_1
	v_cvt_f32_f16_e32 v8, v57
	v_cvt_f32_f16_sdwa v11, v54 dst_sel:DWORD dst_unused:UNUSED_PAD src0_sel:WORD_1
	v_cvt_f32_f16_e32 v10, v54
	v_lshl_add_u32 v6, v0, 7, v32
	v_mov_b32_e32 v7, 0
	v_lshlrev_b64 v[6:7], 2, v[6:7]
	v_mov_b32_e32 v1, s21
	v_add_co_u32_e32 v12, vcc, s20, v6
	v_addc_co_u32_e32 v13, vcc, v1, v7, vcc
	v_pk_mul_f32 v[6:7], v[2:3], v[8:9] op_sel_hi:[0,1]
	v_pk_mul_f32 v[8:9], v[2:3], v[10:11] op_sel_hi:[0,1]
	global_store_dwordx4 v[12:13], v[6:9], off
	s_and_b64 exec, exec, s[4:5]
	s_cbranch_execz .LBB81_64
; %bb.63:
	v_ashrrev_i32_e32 v1, 31, v0
	v_lshlrev_b64 v[0:1], 3, v[0:1]
	v_mov_b32_e32 v2, s23
	v_add_co_u32_e32 v0, vcc, s22, v0
	v_addc_co_u32_e32 v1, vcc, v2, v1, vcc
	v_mov_b32_e32 v4, v3
	global_store_dwordx2 v[0:1], v[4:5], off
.LBB81_64:
	s_endpgm
	.section	.rodata,"a",@progbits
	.p2align	6, 0x0
	.amdhsa_kernel _ZL15flash_attn_tileILi128ELi128ELi16ELi2ELb1EEvPKcS1_S1_S1_S1_PKiPfP15HIP_vector_typeIfLj2EEffffjfiS5_IjLj3EEiiiiiiiiiiiliiliiiiil
		.amdhsa_group_segment_fixed_size 21504
		.amdhsa_private_segment_fixed_size 0
		.amdhsa_kernarg_size 464
		.amdhsa_user_sgpr_count 6
		.amdhsa_user_sgpr_private_segment_buffer 1
		.amdhsa_user_sgpr_dispatch_ptr 0
		.amdhsa_user_sgpr_queue_ptr 0
		.amdhsa_user_sgpr_kernarg_segment_ptr 1
		.amdhsa_user_sgpr_dispatch_id 0
		.amdhsa_user_sgpr_flat_scratch_init 0
		.amdhsa_user_sgpr_kernarg_preload_length 0
		.amdhsa_user_sgpr_kernarg_preload_offset 0
		.amdhsa_user_sgpr_private_segment_size 0
		.amdhsa_uses_dynamic_stack 0
		.amdhsa_system_sgpr_private_segment_wavefront_offset 0
		.amdhsa_system_sgpr_workgroup_id_x 1
		.amdhsa_system_sgpr_workgroup_id_y 1
		.amdhsa_system_sgpr_workgroup_id_z 1
		.amdhsa_system_sgpr_workgroup_info 0
		.amdhsa_system_vgpr_workitem_id 1
		.amdhsa_next_free_vgpr 110
		.amdhsa_next_free_sgpr 42
		.amdhsa_accum_offset 112
		.amdhsa_reserve_vcc 1
		.amdhsa_reserve_flat_scratch 0
		.amdhsa_float_round_mode_32 0
		.amdhsa_float_round_mode_16_64 0
		.amdhsa_float_denorm_mode_32 3
		.amdhsa_float_denorm_mode_16_64 3
		.amdhsa_dx10_clamp 1
		.amdhsa_ieee_mode 1
		.amdhsa_fp16_overflow 0
		.amdhsa_tg_split 0
		.amdhsa_exception_fp_ieee_invalid_op 0
		.amdhsa_exception_fp_denorm_src 0
		.amdhsa_exception_fp_ieee_div_zero 0
		.amdhsa_exception_fp_ieee_overflow 0
		.amdhsa_exception_fp_ieee_underflow 0
		.amdhsa_exception_fp_ieee_inexact 0
		.amdhsa_exception_int_div_zero 0
	.end_amdhsa_kernel
	.section	.text._ZL15flash_attn_tileILi128ELi128ELi16ELi2ELb1EEvPKcS1_S1_S1_S1_PKiPfP15HIP_vector_typeIfLj2EEffffjfiS5_IjLj3EEiiiiiiiiiiiliiliiiiil,"axG",@progbits,_ZL15flash_attn_tileILi128ELi128ELi16ELi2ELb1EEvPKcS1_S1_S1_S1_PKiPfP15HIP_vector_typeIfLj2EEffffjfiS5_IjLj3EEiiiiiiiiiiiliiliiiiil,comdat
.Lfunc_end81:
	.size	_ZL15flash_attn_tileILi128ELi128ELi16ELi2ELb1EEvPKcS1_S1_S1_S1_PKiPfP15HIP_vector_typeIfLj2EEffffjfiS5_IjLj3EEiiiiiiiiiiiliiliiiiil, .Lfunc_end81-_ZL15flash_attn_tileILi128ELi128ELi16ELi2ELb1EEvPKcS1_S1_S1_S1_PKiPfP15HIP_vector_typeIfLj2EEffffjfiS5_IjLj3EEiiiiiiiiiiiliiliiiiil
                                        ; -- End function
	.section	.AMDGPU.csdata,"",@progbits
; Kernel info:
; codeLenInByte = 17908
; NumSgprs: 46
; NumVgprs: 110
; NumAgprs: 0
; TotalNumVgprs: 110
; ScratchSize: 0
; MemoryBound: 0
; FloatMode: 240
; IeeeMode: 1
; LDSByteSize: 21504 bytes/workgroup (compile time only)
; SGPRBlocks: 5
; VGPRBlocks: 13
; NumSGPRsForWavesPerEU: 46
; NumVGPRsForWavesPerEU: 110
; AccumOffset: 112
; Occupancy: 3
; WaveLimiterHint : 1
; COMPUTE_PGM_RSRC2:SCRATCH_EN: 0
; COMPUTE_PGM_RSRC2:USER_SGPR: 6
; COMPUTE_PGM_RSRC2:TRAP_HANDLER: 0
; COMPUTE_PGM_RSRC2:TGID_X_EN: 1
; COMPUTE_PGM_RSRC2:TGID_Y_EN: 1
; COMPUTE_PGM_RSRC2:TGID_Z_EN: 1
; COMPUTE_PGM_RSRC2:TIDIG_COMP_CNT: 1
; COMPUTE_PGM_RSRC3_GFX90A:ACCUM_OFFSET: 27
; COMPUTE_PGM_RSRC3_GFX90A:TG_SPLIT: 0
	.section	.text._ZL15flash_attn_tileILi128ELi128ELi8ELi2ELb1EEvPKcS1_S1_S1_S1_PKiPfP15HIP_vector_typeIfLj2EEffffjfiS5_IjLj3EEiiiiiiiiiiiliiliiiiil,"axG",@progbits,_ZL15flash_attn_tileILi128ELi128ELi8ELi2ELb1EEvPKcS1_S1_S1_S1_PKiPfP15HIP_vector_typeIfLj2EEffffjfiS5_IjLj3EEiiiiiiiiiiiliiliiiiil,comdat
	.globl	_ZL15flash_attn_tileILi128ELi128ELi8ELi2ELb1EEvPKcS1_S1_S1_S1_PKiPfP15HIP_vector_typeIfLj2EEffffjfiS5_IjLj3EEiiiiiiiiiiiliiliiiiil ; -- Begin function _ZL15flash_attn_tileILi128ELi128ELi8ELi2ELb1EEvPKcS1_S1_S1_S1_PKiPfP15HIP_vector_typeIfLj2EEffffjfiS5_IjLj3EEiiiiiiiiiiiliiliiiiil
	.p2align	8
	.type	_ZL15flash_attn_tileILi128ELi128ELi8ELi2ELb1EEvPKcS1_S1_S1_S1_PKiPfP15HIP_vector_typeIfLj2EEffffjfiS5_IjLj3EEiiiiiiiiiiiliiliiiiil,@function
_ZL15flash_attn_tileILi128ELi128ELi8ELi2ELb1EEvPKcS1_S1_S1_S1_PKiPfP15HIP_vector_typeIfLj2EEffffjfiS5_IjLj3EEiiiiiiiiiiiliiliiiiil: ; @_ZL15flash_attn_tileILi128ELi128ELi8ELi2ELb1EEvPKcS1_S1_S1_S1_PKiPfP15HIP_vector_typeIfLj2EEffffjfiS5_IjLj3EEiiiiiiiiiiiliiliiiiil
; %bb.0:
	s_load_dwordx4 s[0:3], s[4:5], 0x5c
	s_load_dwordx2 s[30:31], s[4:5], 0x80
	s_load_dwordx2 s[36:37], s[4:5], 0xb8
	s_mov_b64 s[34:35], 0
	s_waitcnt lgkmcnt(0)
	s_lshr_b32 s9, s3, 31
	s_add_i32 s9, s3, s9
	s_ashr_i32 s9, s9, 1
	v_cvt_f32_u32_e32 v1, s9
	s_sub_i32 s10, 0, s9
	v_rcp_iflag_f32_e32 v1, v1
	v_mul_f32_e32 v1, 0x4f7ffffe, v1
	v_cvt_u32_f32_e32 v1, v1
	v_readfirstlane_b32 s11, v1
	s_mul_i32 s10, s10, s11
	s_mul_hi_u32 s10, s11, s10
	s_add_i32 s11, s11, s10
	s_mul_hi_u32 s10, s8, s11
	s_mul_i32 s11, s10, s9
	s_sub_i32 s11, s8, s11
	s_add_i32 s12, s10, 1
	s_sub_i32 s13, s11, s9
	s_cmp_ge_u32 s11, s9
	s_cselect_b32 s10, s12, s10
	s_cselect_b32 s11, s13, s11
	s_add_i32 s12, s10, 1
	s_cmp_ge_u32 s11, s9
	s_cselect_b32 s33, s12, s10
	s_abs_i32 s9, s31
	v_cvt_f32_u32_e32 v1, s9
	s_lshl_b32 s8, s8, 1
	s_mul_i32 s12, s33, s3
	s_sub_i32 s13, 0, s9
	v_rcp_iflag_f32_e32 v1, v1
	s_sub_i32 s28, s8, s12
	s_abs_i32 s11, s3
	s_xor_b32 s10, s3, s31
	v_mul_f32_e32 v1, 0x4f7ffffe, v1
	v_cvt_u32_f32_e32 v1, v1
	s_ashr_i32 s10, s10, 31
	v_readfirstlane_b32 s8, v1
	s_mul_i32 s13, s13, s8
	s_mul_hi_u32 s12, s8, s13
	s_add_i32 s8, s8, s12
	s_mul_hi_u32 s8, s11, s8
	s_mul_i32 s12, s8, s9
	s_sub_i32 s11, s11, s12
	s_add_i32 s13, s8, 1
	s_sub_i32 s12, s11, s9
	s_cmp_ge_u32 s11, s9
	s_cselect_b32 s8, s13, s8
	s_cselect_b32 s11, s12, s11
	s_add_i32 s12, s8, 1
	s_cmp_ge_u32 s11, s9
	s_cselect_b32 s8, s12, s8
	s_xor_b32 s8, s8, s10
	s_sub_i32 s31, s8, s10
	s_abs_i32 s29, s31
	v_cvt_f32_u32_e32 v1, s29
	s_load_dwordx16 s[8:23], s[4:5], 0x0
	v_rcp_iflag_f32_e32 v1, v1
	s_waitcnt lgkmcnt(0)
	s_cmp_eq_u64 s[14:15], 0
	v_mul_f32_e32 v1, 0x4f7ffffe, v1
	v_cvt_u32_f32_e32 v1, v1
	v_readfirstlane_b32 s38, v1
	s_cbranch_scc1 .LBB82_2
; %bb.1:
	s_abs_i32 s26, s36
	v_cvt_f32_u32_e32 v1, s26
	s_sub_i32 s35, 0, s26
	s_abs_i32 s34, s33
	s_ashr_i32 s27, s33, 31
	v_rcp_iflag_f32_e32 v1, v1
	s_load_dwordx2 s[24:25], s[4:5], 0xc8
	v_mul_f32_e32 v1, 0x4f7ffffe, v1
	v_cvt_u32_f32_e32 v1, v1
	v_readfirstlane_b32 s36, v1
	s_mul_i32 s35, s35, s36
	s_mul_hi_u32 s35, s36, s35
	s_add_i32 s36, s36, s35
	s_mul_hi_u32 s35, s34, s36
	s_mul_i32 s35, s35, s26
	s_sub_i32 s34, s34, s35
	s_sub_i32 s35, s34, s26
	s_cmp_ge_u32 s34, s26
	s_cselect_b32 s34, s35, s34
	s_sub_i32 s35, s34, s26
	s_cmp_ge_u32 s34, s26
	s_cselect_b32 s26, s35, s34
	s_xor_b32 s26, s26, s27
	s_sub_i32 s26, s26, s27
	s_ashr_i32 s27, s26, 31
	s_waitcnt lgkmcnt(0)
	s_mul_i32 s25, s26, s25
	s_mul_hi_u32 s34, s26, s24
	s_add_i32 s25, s34, s25
	s_mul_i32 s27, s27, s24
	s_add_i32 s25, s25, s27
	s_mul_i32 s26, s26, s24
	s_add_u32 s34, s14, s26
	s_addc_u32 s35, s15, s25
.LBB82_2:
	s_load_dwordx4 s[24:27], s[4:5], 0x70
	v_bfe_u32 v8, v0, 10, 10
	v_lshl_add_u32 v1, s6, 3, v8
	v_mul_hi_u32 v2, s0, v1
	v_add_u32_e32 v2, v1, v2
	s_waitcnt lgkmcnt(0)
	s_mul_i32 s14, s33, s26
	s_ashr_i32 s26, s14, 31
	s_mul_i32 s15, s28, s25
	s_add_u32 s8, s8, s14
	s_addc_u32 s9, s9, s26
	s_ashr_i32 s14, s15, 31
	v_lshrrev_b32_e32 v2, s1, v2
	s_add_u32 s8, s8, s15
	v_mul_lo_u32 v2, v2, s2
	s_addc_u32 s9, s9, s14
	v_sub_u32_e32 v6, v1, v2
	s_ashr_i32 s15, s24, 31
	v_mov_b32_e32 v2, s24
	v_alignbit_b32 v2, s15, v2, 2
	v_mad_u64_u32 v[2:3], s[0:1], v2, v6, 0
	v_mov_b32_e32 v4, v3
	s_lshr_b32 s0, s15, 2
	v_mad_u64_u32 v[4:5], s[0:1], s0, v6, v[4:5]
	v_mov_b32_e32 v3, v4
	v_lshlrev_b64 v[2:3], 2, v[2:3]
	v_and_b32_e32 v0, 0x3ff, v0
	v_mov_b32_e32 v4, s9
	v_add_co_u32_e32 v2, vcc, s8, v2
	v_addc_co_u32_e32 v3, vcc, v4, v3, vcc
	v_lshlrev_b32_e32 v4, 4, v0
	v_add_co_u32_e32 v10, vcc, v2, v4
	s_ashr_i32 s14, s25, 31
	v_addc_co_u32_e32 v11, vcc, 0, v3, vcc
	s_and_b32 s0, s25, -4
	global_load_dwordx4 v[2:5], v[10:11], off
	v_mov_b32_e32 v7, s14
	v_add_co_u32_e32 v10, vcc, s0, v10
	v_addc_co_u32_e32 v11, vcc, v11, v7, vcc
	global_load_dwordx4 v[10:13], v[10:11], off
	s_load_dword s0, s[4:5], 0x40
	v_lshlrev_b32_e32 v7, 7, v8
	v_lshlrev_b32_e32 v9, 1, v0
	v_add_lshl_u32 v7, v9, v7, 2
	v_add_u32_e32 v7, 0x4000, v7
	s_cmp_eq_u64 s[18:19], 0
	s_waitcnt vmcnt(1) lgkmcnt(0)
	v_pk_mul_f32 v[2:3], v[2:3], s[0:1] op_sel_hi:[1,0]
	v_pk_mul_f32 v[4:5], v[4:5], s[0:1] op_sel_hi:[1,0]
	v_cvt_f16_f32_e32 v9, v3
	v_cvt_f16_f32_e32 v14, v2
	;; [unrolled: 1-line block ×4, first 2 shown]
	s_waitcnt vmcnt(0)
	v_pk_mul_f32 v[2:3], v[10:11], s[0:1] op_sel_hi:[1,0]
	v_pk_mul_f32 v[4:5], v[12:13], s[0:1] op_sel_hi:[1,0]
	v_cvt_f16_f32_e32 v10, v3
	v_cvt_f16_f32_e32 v5, v5
	;; [unrolled: 1-line block ×4, first 2 shown]
	v_pack_b32_f16 v3, v16, v15
	v_pack_b32_f16 v2, v14, v9
	;; [unrolled: 1-line block ×4, first 2 shown]
	ds_write2_b64 v7, v[2:3], v[4:5] offset0:128 offset1:160
	s_waitcnt lgkmcnt(0)
	s_barrier
	s_cbranch_scc1 .LBB82_4
; %bb.3:
	s_load_dword s0, s[4:5], 0xd0
	s_mov_b32 s1, 0
	s_waitcnt lgkmcnt(0)
	s_mul_i32 s0, s0, s33
	s_add_i32 s0, s0, s6
	s_lshl_b64 s[0:1], s[0:1], 2
	s_add_u32 s0, s18, s0
	s_addc_u32 s1, s19, s1
	s_load_dword s30, s[0:1], 0x0
.LBB82_4:
	s_lshl_b32 s6, s7, 6
	s_waitcnt lgkmcnt(0)
	s_cmp_lt_i32 s6, s30
	v_mbcnt_lo_u32_b32 v16, -1, 0
	s_cbranch_scc1 .LBB82_6
; %bb.5:
	v_mbcnt_hi_u32_b32 v7, -1, v16
	v_and_b32_e32 v2, 0x60, v7
	s_mov_b32 s0, 0xfeffffff
	s_mov_b32 s14, 0
	v_add_u32_e32 v50, 32, v2
	v_xor_b32_e32 v55, 16, v7
	v_xor_b32_e32 v51, 8, v7
	;; [unrolled: 1-line block ×5, first 2 shown]
	s_mov_b32 s1, s0
	s_mov_b64 s[8:9], 0
	s_branch .LBB82_7
.LBB82_6:
	s_mov_b64 s[8:9], -1
                                        ; implicit-def: $sgpr14
                                        ; implicit-def: $sgpr0_sgpr1
                                        ; implicit-def: $vgpr7
                                        ; implicit-def: $vgpr50
                                        ; implicit-def: $vgpr55
                                        ; implicit-def: $vgpr51
                                        ; implicit-def: $vgpr52
                                        ; implicit-def: $vgpr53
                                        ; implicit-def: $vgpr54
.LBB82_7:
	v_lshlrev_b32_e32 v25, 2, v0
	s_andn2_b64 vcc, exec, s[8:9]
	v_mov_b32_e32 v5, s14
	v_mov_b32_e32 v46, s14
	v_pk_mov_b32 v[2:3], s[0:1], s[0:1] op_sel:[0,1]
	v_mov_b32_e32 v47, s14
	v_mov_b32_e32 v4, s14
	;; [unrolled: 1-line block ×4, first 2 shown]
	s_cbranch_vccnz .LBB82_26
; %bb.8:
	s_sub_i32 s0, 0, s29
	s_mul_i32 s0, s0, s38
	s_mul_hi_u32 s0, s38, s0
	s_add_i32 s38, s38, s0
	s_load_dwordx4 s[24:27], s[4:5], 0x98
	s_load_dword s0, s[4:5], 0x54
	s_load_dwordx2 s[8:9], s[4:5], 0x8c
	s_abs_i32 s1, s28
	s_mul_hi_u32 s18, s1, s38
	s_waitcnt lgkmcnt(0)
	s_mul_i32 s25, s33, s25
	s_mul_hi_u32 s36, s33, s24
	s_ashr_i32 s15, s8, 2
	s_ashr_i32 s8, s33, 31
	s_add_i32 s25, s36, s25
	s_mul_i32 s36, s8, s24
	s_ashr_i32 s19, s28, 31
	s_ashr_i32 s31, s31, 31
	s_ashr_i32 s14, s26, 2
	s_ashr_i32 s26, s37, 1
	s_add_i32 s25, s25, s36
	s_mul_i32 s24, s33, s24
	s_add_u32 s10, s10, s24
	s_mul_i32 s24, s18, s29
	s_addc_u32 s11, s11, s25
	s_sub_i32 s1, s1, s24
	s_xor_b32 s19, s19, s31
	s_add_i32 s24, s18, 1
	s_sub_i32 s25, s1, s29
	s_cmp_ge_u32 s1, s29
	s_cselect_b32 s18, s24, s18
	s_cselect_b32 s1, s25, s1
	s_add_i32 s24, s18, 1
	s_cmp_ge_u32 s1, s29
	s_load_dwordx2 s[38:39], s[4:5], 0xa8
	s_cselect_b32 s1, s24, s18
	s_xor_b32 s1, s1, s19
	s_sub_i32 s1, s1, s19
	s_mul_i32 s9, s1, s9
	s_ashr_i32 s19, s9, 31
	s_add_u32 s18, s10, s9
	s_waitcnt lgkmcnt(0)
	s_mul_i32 s9, s33, s39
	s_mul_hi_u32 s10, s33, s38
	s_addc_u32 s19, s11, s19
	s_add_i32 s9, s10, s9
	s_mul_i32 s8, s8, s38
	s_add_i32 s9, s9, s8
	s_mul_i32 s8, s33, s38
	s_add_u32 s8, s12, s8
	s_mul_i32 s1, s1, s27
	s_addc_u32 s9, s13, s9
	s_ashr_i32 s10, s1, 31
	v_lshrrev_b32_e32 v2, 4, v0
	v_and_b32_e32 v4, 60, v25
	s_add_u32 s12, s8, s1
	v_lshl_add_u32 v2, v8, 1, v2
	v_lshlrev_b32_e32 v3, 2, v4
	s_movk_i32 s1, 0x110
	s_addc_u32 s13, s9, s10
	v_mad_u32_u24 v28, v2, s1, v3
	v_mul_lo_u32 v10, s15, v2
	s_lshl_b32 s1, s15, 4
	v_add_u32_e32 v12, s1, v10
	v_add_u32_e32 v14, s1, v12
	;; [unrolled: 1-line block ×3, first 2 shown]
	v_mul_lo_u32 v20, s14, v2
	s_lshl_b32 s1, s14, 4
	v_add_u32_e32 v22, s1, v20
	v_add_u32_e32 v26, s1, v22
	v_mov_b32_e32 v5, 0x4400
	v_mad_u64_u32 v[6:7], s[8:9], v6, s26, v[0:1]
	v_add_u32_e32 v46, s1, v26
	v_mov_b32_e32 v45, 0
	v_ashrrev_i32_e32 v11, 31, v10
	v_ashrrev_i32_e32 v13, 31, v12
	;; [unrolled: 1-line block ×4, first 2 shown]
	v_lshl_add_u32 v33, v8, 9, v5
	v_mov_b32_e32 v5, 0x5400
	v_lshl_or_b32 v35, v2, 8, v3
	v_ashrrev_i32_e32 v21, 31, v20
	v_ashrrev_i32_e32 v23, 31, v22
	;; [unrolled: 1-line block ×4, first 2 shown]
	s_add_u32 s8, s4, 0xd0
	v_mov_b32_e32 v2, 0xfeffffff
	v_add_u32_e32 v29, 0x1100, v28
	v_add_u32_e32 v30, 0x2200, v28
	;; [unrolled: 1-line block ×3, first 2 shown]
	v_mul_u32_u24_e32 v32, 0x110, v0
	v_lshl_add_u32 v34, v8, 8, v5
	v_add_u32_e32 v36, 0x1000, v35
	v_add_u32_e32 v37, 0x2000, v35
	v_add_u32_e32 v38, 0x3000, v35
	v_lshlrev_b32_e32 v39, 3, v0
	s_addc_u32 s9, s5, 0
	s_mov_b32 s1, s0
	v_lshlrev_b64 v[8:9], 2, v[10:11]
	v_lshlrev_b32_e32 v40, 2, v4
	v_lshlrev_b64 v[10:11], 2, v[12:13]
	v_lshlrev_b64 v[12:13], 2, v[14:15]
	;; [unrolled: 1-line block ×3, first 2 shown]
	s_mov_b32 s24, 0x3f200000
	s_mov_b32 s25, 0x3fb8aa3b
	;; [unrolled: 1-line block ×4, first 2 shown]
	v_mov_b32_e32 v41, 0xbd5c1c4e
	v_mov_b32_e32 v42, 0x3e088382
	;; [unrolled: 1-line block ×3, first 2 shown]
	s_brev_b32 s29, -2
	v_mbcnt_hi_u32_b32 v7, -1, v16
	v_lshlrev_b64 v[16:17], 2, v[20:21]
	v_lshlrev_b64 v[18:19], 2, v[22:23]
	;; [unrolled: 1-line block ×4, first 2 shown]
	v_mov_b32_e32 v44, 0x7f800000
	v_mov_b32_e32 v47, 0
	;; [unrolled: 1-line block ×7, first 2 shown]
	s_branch .LBB82_10
.LBB82_9:                               ;   in Loop: Header=BB82_10 Depth=1
	s_or_b64 exec, exec, s[10:11]
	v_cvt_f32_f16_e32 v68, v56
	v_cvt_f32_f16_e32 v69, v63
	v_bfi_b32 v49, s29, v66, v49
	v_bfi_b32 v48, s29, v65, v48
	v_mov_b32_e32 v72, v2
	v_pk_fma_f32 v[48:49], v[48:49], s[0:1], v[68:69]
	v_add_f32_e32 v56, 0x40051340, v48
	v_add_f32_e32 v63, 0x40051340, v49
	v_max3_f32 v56, v3, v56, v63
	ds_bpermute_b32 v57, v57, v56
	v_mov_b32_e32 v73, v3
	s_mul_hi_i32 s11, s6, s14
	s_mul_i32 s10, s6, s14
	s_lshl_b64 s[10:11], s[10:11], 2
	s_waitcnt lgkmcnt(0)
	v_max_f32_e32 v57, v57, v57
	v_max_f32_e32 v56, v56, v57
	ds_bpermute_b32 v57, v58, v56
	s_add_u32 s10, s12, s10
	s_addc_u32 s11, s13, s11
	s_waitcnt lgkmcnt(0)
	s_barrier
	v_max_f32_e32 v57, v57, v57
	v_max_f32_e32 v56, v56, v57
	ds_bpermute_b32 v57, v60, v56
	s_waitcnt lgkmcnt(0)
	v_max_f32_e32 v2, v57, v57
	v_max_f32_e32 v2, v56, v2
	ds_bpermute_b32 v3, v61, v2
	v_max_f32_e32 v56, v64, v64
	v_max_f32_e32 v57, v62, v62
	s_waitcnt lgkmcnt(0)
	v_max_f32_e32 v3, v3, v3
	v_max_f32_e32 v3, v2, v3
	ds_bpermute_b32 v58, v59, v3
	v_max_f32_e32 v2, v57, v56
	s_waitcnt lgkmcnt(0)
	v_max_f32_e32 v56, v58, v58
	v_max_f32_e32 v3, v3, v56
	v_pk_add_f32 v[26:27], v[26:27], v[2:3] op_sel_hi:[1,0] neg_lo:[0,1] neg_hi:[0,1]
	v_mul_f32_e32 v56, 0x3fb8aa3b, v27
	v_fma_f32 v58, v27, s25, -v56
	v_rndne_f32_e32 v59, v56
	v_fmac_f32_e32 v58, 0x32a5705f, v27
	v_sub_f32_e32 v56, v56, v59
	v_add_f32_e32 v56, v56, v58
	v_mul_f32_e32 v57, 0x3fb8aa3b, v26
	v_cvt_i32_f32_e32 v59, v59
	v_exp_f32_e32 v56, v56
	v_fma_f32 v60, v26, s25, -v57
	v_rndne_f32_e32 v61, v57
	v_fmac_f32_e32 v60, 0x32a5705f, v26
	v_sub_f32_e32 v57, v57, v61
	v_add_f32_e32 v57, v57, v60
	v_exp_f32_e32 v79, v57
	v_ldexp_f32 v80, v56, v59
	v_mov_b32_e32 v56, s11
	v_add_co_u32_e32 v57, vcc, s10, v16
	v_addc_co_u32_e32 v56, vcc, v56, v17, vcc
	v_add_co_u32_e32 v64, vcc, v57, v40
	v_addc_co_u32_e32 v65, vcc, 0, v56, vcc
	v_mov_b32_e32 v56, s11
	v_add_co_u32_e32 v57, vcc, s10, v18
	v_addc_co_u32_e32 v56, vcc, v56, v19, vcc
	v_add_co_u32_e32 v66, vcc, v57, v40
	v_addc_co_u32_e32 v67, vcc, 0, v56, vcc
	v_cvt_i32_f32_e32 v78, v61
	global_load_dwordx4 v[56:59], v[64:65], off
	global_load_dwordx4 v[60:63], v[66:67], off
	v_mov_b32_e32 v64, s11
	v_add_co_u32_e32 v65, vcc, s10, v20
	v_addc_co_u32_e32 v64, vcc, v64, v21, vcc
	v_add_co_u32_e32 v74, vcc, v65, v40
	v_addc_co_u32_e32 v75, vcc, 0, v64, vcc
	v_mov_b32_e32 v64, s11
	v_add_co_u32_e32 v65, vcc, s10, v22
	v_addc_co_u32_e32 v64, vcc, v64, v23, vcc
	v_add_co_u32_e32 v76, vcc, v65, v40
	v_addc_co_u32_e32 v77, vcc, 0, v64, vcc
	global_load_dwordx4 v[64:67], v[74:75], off
	global_load_dwordx4 v[68:71], v[76:77], off
	v_cmp_ngt_f32_e32 vcc, s26, v27
	v_cndmask_b32_e32 v74, 0, v80, vcc
	v_cmp_nlt_f32_e32 vcc, s27, v27
	v_cndmask_b32_e32 v74, v44, v74, vcc
	v_ldexp_f32 v27, v79, v78
	v_cmp_ngt_f32_e32 vcc, s26, v26
	v_mov_b32_e32 v76, v3
	v_cndmask_b32_e32 v27, 0, v27, vcc
	v_cmp_nlt_f32_e32 vcc, s27, v26
	v_pk_add_f32 v[48:49], v[48:49], v[76:77] op_sel_hi:[1,0] neg_lo:[0,1] neg_hi:[0,1]
	v_cndmask_b32_e32 v26, v44, v27, vcc
	v_mul_f32_e32 v27, 0x3fb8aa3b, v49
	v_fma_f32 v75, v49, s25, -v27
	v_rndne_f32_e32 v76, v27
	v_fmac_f32_e32 v75, 0x32a5705f, v49
	v_sub_f32_e32 v27, v27, v76
	v_add_f32_e32 v27, v27, v75
	v_exp_f32_e32 v27, v27
	v_cvt_i32_f32_e32 v75, v76
	v_pk_add_f32 v[72:73], v[72:73], v[2:3] neg_lo:[0,1] neg_hi:[0,1]
	v_cmp_ngt_f32_e32 vcc, s26, v49
	v_cvt_f16_f32_e32 v77, v74
	v_ldexp_f32 v27, v27, v75
	v_mul_f32_e32 v75, 0x3fb8aa3b, v48
	v_fma_f32 v78, v48, s25, -v75
	v_rndne_f32_e32 v79, v75
	v_fmac_f32_e32 v78, 0x32a5705f, v48
	v_sub_f32_e32 v75, v75, v79
	v_add_f32_e32 v75, v75, v78
	v_exp_f32_e32 v78, v75
	v_cvt_i32_f32_e32 v79, v79
	v_cndmask_b32_e32 v27, 0, v27, vcc
	v_cmp_nlt_f32_e32 vcc, s27, v49
	v_mul_f32_e32 v49, 0x3fb8aa3b, v73
	v_cndmask_b32_e32 v75, v44, v27, vcc
	v_ldexp_f32 v27, v78, v79
	v_fma_f32 v78, v73, s25, -v49
	v_rndne_f32_e32 v79, v49
	v_fmac_f32_e32 v78, 0x32a5705f, v73
	v_sub_f32_e32 v49, v49, v79
	v_add_f32_e32 v49, v49, v78
	v_cmp_ngt_f32_e32 vcc, s26, v48
	v_exp_f32_e32 v78, v49
	v_cvt_i32_f32_e32 v79, v79
	v_cndmask_b32_e32 v27, 0, v27, vcc
	v_cmp_nlt_f32_e32 vcc, s27, v48
	v_cndmask_b32_e32 v27, v44, v27, vcc
	v_pk_add_f32 v[48:49], v[26:27], v[74:75]
	v_mul_f32_e32 v74, 0x3fb8aa3b, v72
	v_cvt_f16_f32_e32 v76, v26
	v_ldexp_f32 v26, v78, v79
	v_fma_f32 v78, v72, s25, -v74
	v_rndne_f32_e32 v79, v74
	v_fmac_f32_e32 v78, 0x32a5705f, v72
	v_sub_f32_e32 v74, v74, v79
	v_add_f32_e32 v74, v74, v78
	v_exp_f32_e32 v74, v74
	v_cvt_i32_f32_e32 v78, v79
	v_cmp_ngt_f32_e32 vcc, s26, v73
	v_cndmask_b32_e32 v26, 0, v26, vcc
	v_cmp_nlt_f32_e32 vcc, s27, v73
	v_cndmask_b32_e32 v73, v44, v26, vcc
	v_ldexp_f32 v26, v74, v78
	v_cmp_ngt_f32_e32 vcc, s26, v72
	v_cndmask_b32_e32 v26, 0, v26, vcc
	v_cmp_nlt_f32_e32 vcc, s27, v72
	v_cndmask_b32_e32 v72, v44, v26, vcc
	v_pk_fma_f32 v[4:5], v[4:5], v[72:73], v[48:49]
	v_cvt_f16_f32_e32 v27, v27
	v_cvt_f16_f32_e32 v48, v75
	v_cvt_f16_f32_e32 v26, v72
	v_add_u32_e32 v72, v34, v25
	v_pack_b32_f16 v27, v76, v27
	v_pack_b32_f16 v48, v77, v48
	ds_write2_b32 v72, v27, v48 offset1:32
	s_waitcnt vmcnt(3)
	ds_write_b128 v35, v[56:59]
	s_waitcnt vmcnt(2)
	ds_write_b128 v36, v[60:63]
	;; [unrolled: 2-line block ×4, first 2 shown]
	s_waitcnt lgkmcnt(0)
	s_barrier
	ds_read2_b64 v[56:59], v39 offset1:32
	ds_read_b128 v[60:63], v34
	v_cvt_f16_f32_e32 v49, v73
	ds_read_b128 v[64:67], v34 offset:16
	ds_read_b128 v[68:71], v34 offset:32
	ds_read_b128 v[72:75], v34 offset:48
	v_pk_mul_f16 v27, v49, v45 op_sel_hi:[0,1]
	s_waitcnt lgkmcnt(3)
	v_pk_mul_f16 v45, v56, v60 op_sel_hi:[1,0]
	v_pk_fma_f16 v45, v26, v47, v45 op_sel_hi:[0,1,1]
	v_pk_mul_f16 v47, v56, v60 op_sel:[0,1]
	v_pk_fma_f16 v56, v49, v46, v47 op_sel_hi:[0,1,1]
	v_pk_mul_f16 v46, v57, v60 op_sel_hi:[1,0]
	v_pk_fma_f16 v24, v26, v24, v46 op_sel_hi:[0,1,1]
	ds_read2_b64 v[46:49], v39 offset0:64 offset1:96
	v_pk_fma_f16 v26, v57, v60, v27 op_sel:[0,1,0]
	v_pk_fma_f16 v27, v58, v61, v45 op_sel_hi:[1,0,1]
	v_pk_fma_f16 v45, v58, v61, v56 op_sel:[0,1,0]
	v_pk_fma_f16 v24, v59, v61, v24 op_sel_hi:[1,0,1]
	v_pk_fma_f16 v26, v59, v61, v26 op_sel:[0,1,0]
	ds_read2_b64 v[56:59], v39 offset0:128 offset1:160
	s_waitcnt lgkmcnt(1)
	v_pk_fma_f16 v27, v46, v62, v27 op_sel_hi:[1,0,1]
	v_pk_fma_f16 v45, v46, v62, v45 op_sel:[0,1,0]
	v_pk_fma_f16 v24, v47, v62, v24 op_sel_hi:[1,0,1]
	v_pk_fma_f16 v26, v47, v62, v26 op_sel:[0,1,0]
	;; [unrolled: 2-line block ×4, first 2 shown]
	ds_read2_b64 v[46:49], v39 offset0:192 offset1:224
	s_waitcnt lgkmcnt(1)
	v_pk_fma_f16 v27, v56, v64, v27 op_sel_hi:[1,0,1]
	v_pk_fma_f16 v45, v56, v64, v45 op_sel:[0,1,0]
	v_pk_fma_f16 v24, v57, v64, v24 op_sel_hi:[1,0,1]
	v_pk_fma_f16 v26, v57, v64, v26 op_sel:[0,1,0]
	v_add_u32_e32 v60, 0x800, v39
	v_pk_fma_f16 v27, v58, v65, v27 op_sel_hi:[1,0,1]
	v_pk_fma_f16 v45, v58, v65, v45 op_sel:[0,1,0]
	v_pk_fma_f16 v24, v59, v65, v24 op_sel_hi:[1,0,1]
	v_pk_fma_f16 v26, v59, v65, v26 op_sel:[0,1,0]
	ds_read2_b64 v[56:59], v60 offset1:32
	s_waitcnt lgkmcnt(1)
	v_pk_fma_f16 v27, v46, v66, v27 op_sel_hi:[1,0,1]
	v_pk_fma_f16 v45, v46, v66, v45 op_sel:[0,1,0]
	v_pk_fma_f16 v24, v47, v66, v24 op_sel_hi:[1,0,1]
	v_pk_fma_f16 v26, v47, v66, v26 op_sel:[0,1,0]
	v_pk_fma_f16 v27, v48, v67, v27 op_sel_hi:[1,0,1]
	v_pk_fma_f16 v45, v48, v67, v45 op_sel:[0,1,0]
	v_pk_fma_f16 v24, v49, v67, v24 op_sel_hi:[1,0,1]
	v_pk_fma_f16 v26, v49, v67, v26 op_sel:[0,1,0]
	ds_read2_b64 v[46:49], v60 offset0:64 offset1:96
	s_waitcnt lgkmcnt(1)
	v_pk_fma_f16 v27, v56, v68, v27 op_sel_hi:[1,0,1]
	v_pk_fma_f16 v45, v56, v68, v45 op_sel:[0,1,0]
	v_pk_fma_f16 v24, v57, v68, v24 op_sel_hi:[1,0,1]
	v_pk_fma_f16 v26, v57, v68, v26 op_sel:[0,1,0]
	v_pk_fma_f16 v27, v58, v69, v27 op_sel_hi:[1,0,1]
	v_pk_fma_f16 v45, v58, v69, v45 op_sel:[0,1,0]
	v_pk_fma_f16 v24, v59, v69, v24 op_sel_hi:[1,0,1]
	v_pk_fma_f16 v26, v59, v69, v26 op_sel:[0,1,0]
	ds_read2_b64 v[56:59], v60 offset0:128 offset1:160
	;; [unrolled: 10-line block ×3, first 2 shown]
	s_waitcnt lgkmcnt(1)
	v_pk_fma_f16 v27, v56, v72, v27 op_sel_hi:[1,0,1]
	v_pk_fma_f16 v45, v56, v72, v45 op_sel:[0,1,0]
	v_pk_fma_f16 v24, v57, v72, v24 op_sel_hi:[1,0,1]
	v_pk_fma_f16 v26, v57, v72, v26 op_sel:[0,1,0]
	v_add_u32_e32 v68, 0x1000, v39
	v_pk_fma_f16 v27, v58, v73, v27 op_sel_hi:[1,0,1]
	v_pk_fma_f16 v45, v58, v73, v45 op_sel:[0,1,0]
	v_pk_fma_f16 v24, v59, v73, v24 op_sel_hi:[1,0,1]
	v_pk_fma_f16 v26, v59, v73, v26 op_sel:[0,1,0]
	ds_read2_b64 v[56:59], v68 offset1:32
	ds_read_b128 v[60:63], v34 offset:64
	ds_read2_b64 v[64:67], v68 offset0:64 offset1:96
	s_waitcnt lgkmcnt(3)
	v_pk_fma_f16 v27, v46, v74, v27 op_sel_hi:[1,0,1]
	v_pk_fma_f16 v45, v46, v74, v45 op_sel:[0,1,0]
	v_pk_fma_f16 v24, v47, v74, v24 op_sel_hi:[1,0,1]
	v_pk_fma_f16 v26, v47, v74, v26 op_sel:[0,1,0]
	;; [unrolled: 2-line block ×4, first 2 shown]
	s_waitcnt lgkmcnt(1)
	v_pk_fma_f16 v27, v56, v60, v27 op_sel_hi:[1,0,1]
	v_pk_fma_f16 v45, v56, v60, v45 op_sel:[0,1,0]
	v_pk_fma_f16 v24, v57, v60, v24 op_sel_hi:[1,0,1]
	v_pk_fma_f16 v26, v57, v60, v26 op_sel:[0,1,0]
	ds_read_b128 v[46:49], v34 offset:80
	v_pk_fma_f16 v27, v58, v61, v27 op_sel_hi:[1,0,1]
	v_pk_fma_f16 v45, v58, v61, v45 op_sel:[0,1,0]
	v_pk_fma_f16 v24, v59, v61, v24 op_sel_hi:[1,0,1]
	v_pk_fma_f16 v26, v59, v61, v26 op_sel:[0,1,0]
	ds_read2_b64 v[56:59], v68 offset0:128 offset1:160
	s_waitcnt lgkmcnt(2)
	v_pk_fma_f16 v27, v64, v62, v27 op_sel_hi:[1,0,1]
	v_pk_fma_f16 v45, v64, v62, v45 op_sel:[0,1,0]
	v_pk_fma_f16 v24, v65, v62, v24 op_sel_hi:[1,0,1]
	v_pk_fma_f16 v26, v65, v62, v26 op_sel:[0,1,0]
	v_pk_fma_f16 v27, v66, v63, v27 op_sel_hi:[1,0,1]
	v_pk_fma_f16 v45, v66, v63, v45 op_sel:[0,1,0]
	v_pk_fma_f16 v24, v67, v63, v24 op_sel_hi:[1,0,1]
	v_pk_fma_f16 v26, v67, v63, v26 op_sel:[0,1,0]
	ds_read2_b64 v[60:63], v68 offset0:192 offset1:224
	s_waitcnt lgkmcnt(1)
	v_pk_fma_f16 v27, v56, v46, v27 op_sel_hi:[1,0,1]
	v_pk_fma_f16 v45, v56, v46, v45 op_sel:[0,1,0]
	v_pk_fma_f16 v24, v57, v46, v24 op_sel_hi:[1,0,1]
	v_pk_fma_f16 v26, v57, v46, v26 op_sel:[0,1,0]
	v_add_u32_e32 v68, 0x1800, v39
	v_pk_fma_f16 v27, v58, v47, v27 op_sel_hi:[1,0,1]
	v_pk_fma_f16 v45, v58, v47, v45 op_sel:[0,1,0]
	v_pk_fma_f16 v24, v59, v47, v24 op_sel_hi:[1,0,1]
	v_pk_fma_f16 v26, v59, v47, v26 op_sel:[0,1,0]
	ds_read2_b64 v[56:59], v68 offset1:32
	ds_read_b128 v[64:67], v34 offset:96
	s_waitcnt lgkmcnt(2)
	v_pk_fma_f16 v27, v60, v48, v27 op_sel_hi:[1,0,1]
	v_pk_fma_f16 v45, v60, v48, v45 op_sel:[0,1,0]
	v_pk_fma_f16 v24, v61, v48, v24 op_sel_hi:[1,0,1]
	v_pk_fma_f16 v26, v61, v48, v26 op_sel:[0,1,0]
	v_pk_fma_f16 v27, v62, v49, v27 op_sel_hi:[1,0,1]
	v_pk_fma_f16 v45, v62, v49, v45 op_sel:[0,1,0]
	v_pk_fma_f16 v24, v63, v49, v24 op_sel_hi:[1,0,1]
	v_pk_fma_f16 v26, v63, v49, v26 op_sel:[0,1,0]
	ds_read2_b64 v[60:63], v68 offset0:64 offset1:96
	s_waitcnt lgkmcnt(1)
	v_pk_fma_f16 v27, v56, v64, v27 op_sel_hi:[1,0,1]
	v_pk_fma_f16 v45, v56, v64, v45 op_sel:[0,1,0]
	v_pk_fma_f16 v24, v57, v64, v24 op_sel_hi:[1,0,1]
	v_pk_fma_f16 v26, v57, v64, v26 op_sel:[0,1,0]
	ds_read_b128 v[46:49], v34 offset:112
	v_pk_fma_f16 v27, v58, v65, v27 op_sel_hi:[1,0,1]
	v_pk_fma_f16 v45, v58, v65, v45 op_sel:[0,1,0]
	v_pk_fma_f16 v24, v59, v65, v24 op_sel_hi:[1,0,1]
	v_pk_fma_f16 v26, v59, v65, v26 op_sel:[0,1,0]
	ds_read2_b64 v[56:59], v68 offset0:128 offset1:160
	s_waitcnt lgkmcnt(2)
	v_pk_fma_f16 v27, v60, v66, v27 op_sel_hi:[1,0,1]
	v_pk_fma_f16 v45, v60, v66, v45 op_sel:[0,1,0]
	v_pk_fma_f16 v24, v61, v66, v24 op_sel_hi:[1,0,1]
	v_pk_fma_f16 v26, v61, v66, v26 op_sel:[0,1,0]
	v_pk_fma_f16 v27, v62, v67, v27 op_sel_hi:[1,0,1]
	v_pk_fma_f16 v45, v62, v67, v45 op_sel:[0,1,0]
	v_pk_fma_f16 v24, v63, v67, v24 op_sel_hi:[1,0,1]
	v_pk_fma_f16 v26, v63, v67, v26 op_sel:[0,1,0]
	ds_read2_b64 v[60:63], v68 offset0:192 offset1:224
	s_waitcnt lgkmcnt(1)
	v_pk_fma_f16 v27, v56, v46, v27 op_sel_hi:[1,0,1]
	v_pk_fma_f16 v45, v56, v46, v45 op_sel:[0,1,0]
	v_pk_fma_f16 v24, v57, v46, v24 op_sel_hi:[1,0,1]
	v_pk_fma_f16 v26, v57, v46, v26 op_sel:[0,1,0]
	v_add_u32_e32 v68, 0x2000, v39
	v_pk_fma_f16 v27, v58, v47, v27 op_sel_hi:[1,0,1]
	v_pk_fma_f16 v45, v58, v47, v45 op_sel:[0,1,0]
	v_pk_fma_f16 v24, v59, v47, v24 op_sel_hi:[1,0,1]
	v_pk_fma_f16 v26, v59, v47, v26 op_sel:[0,1,0]
	ds_read2_b64 v[56:59], v68 offset1:32
	ds_read_b128 v[64:67], v34 offset:128
	s_waitcnt lgkmcnt(2)
	v_pk_fma_f16 v27, v60, v48, v27 op_sel_hi:[1,0,1]
	v_pk_fma_f16 v45, v60, v48, v45 op_sel:[0,1,0]
	v_pk_fma_f16 v24, v61, v48, v24 op_sel_hi:[1,0,1]
	v_pk_fma_f16 v26, v61, v48, v26 op_sel:[0,1,0]
	v_pk_fma_f16 v27, v62, v49, v27 op_sel_hi:[1,0,1]
	v_pk_fma_f16 v45, v62, v49, v45 op_sel:[0,1,0]
	v_pk_fma_f16 v24, v63, v49, v24 op_sel_hi:[1,0,1]
	v_pk_fma_f16 v26, v63, v49, v26 op_sel:[0,1,0]
	ds_read2_b64 v[60:63], v68 offset0:64 offset1:96
	;; [unrolled: 43-line block ×5, first 2 shown]
	s_waitcnt lgkmcnt(1)
	v_pk_fma_f16 v27, v56, v64, v27 op_sel_hi:[1,0,1]
	v_pk_fma_f16 v45, v56, v64, v45 op_sel:[0,1,0]
	v_pk_fma_f16 v24, v57, v64, v24 op_sel_hi:[1,0,1]
	v_pk_fma_f16 v26, v57, v64, v26 op_sel:[0,1,0]
	;; [unrolled: 2-line block ×4, first 2 shown]
	ds_read_b128 v[46:49], v34 offset:240
	s_waitcnt lgkmcnt(1)
	v_pk_fma_f16 v27, v60, v66, v27 op_sel_hi:[1,0,1]
	v_pk_fma_f16 v45, v60, v66, v45 op_sel:[0,1,0]
	v_pk_fma_f16 v24, v61, v66, v24 op_sel_hi:[1,0,1]
	v_pk_fma_f16 v26, v61, v66, v26 op_sel:[0,1,0]
	ds_read2_b64 v[56:59], v68 offset0:128 offset1:160
	v_pk_fma_f16 v27, v62, v67, v27 op_sel_hi:[1,0,1]
	v_pk_fma_f16 v45, v62, v67, v45 op_sel:[0,1,0]
	v_pk_fma_f16 v24, v63, v67, v24 op_sel_hi:[1,0,1]
	v_pk_fma_f16 v26, v63, v67, v26 op_sel:[0,1,0]
	ds_read2_b64 v[60:63], v68 offset0:192 offset1:224
	s_waitcnt lgkmcnt(0)
	s_barrier
	s_load_dword s10, s[8:9], 0x4
	v_pk_fma_f16 v27, v56, v46, v27 op_sel_hi:[1,0,1]
	v_pk_fma_f16 v45, v56, v46, v45 op_sel:[0,1,0]
	v_pk_fma_f16 v24, v57, v46, v24 op_sel_hi:[1,0,1]
	v_pk_fma_f16 v26, v57, v46, v26 op_sel:[0,1,0]
	;; [unrolled: 2-line block ×4, first 2 shown]
	s_waitcnt lgkmcnt(0)
	s_lshl_b32 s10, s10, 6
	v_pk_fma_f16 v27, v60, v48, v27 op_sel_hi:[1,0,1]
	v_pk_fma_f16 v45, v60, v48, v45 op_sel:[0,1,0]
	v_pk_fma_f16 v24, v61, v48, v24 op_sel_hi:[1,0,1]
	v_pk_fma_f16 v26, v61, v48, v26 op_sel:[0,1,0]
	s_add_i32 s6, s10, s6
	v_pk_fma_f16 v47, v62, v49, v27 op_sel_hi:[1,0,1]
	v_pk_fma_f16 v46, v62, v49, v45 op_sel:[0,1,0]
	v_pk_fma_f16 v24, v63, v49, v24 op_sel_hi:[1,0,1]
	s_cmp_ge_i32 s6, s30
	v_pk_fma_f16 v45, v63, v49, v26 op_sel:[0,1,0]
	s_cbranch_scc1 .LBB82_26
.LBB82_10:                              ; =>This Inner Loop Header: Depth=1
	s_mul_hi_i32 s11, s6, s15
	s_mul_i32 s10, s6, s15
	s_lshl_b64 s[10:11], s[10:11], 2
	s_add_u32 s10, s18, s10
	s_addc_u32 s11, s19, s11
	v_mov_b32_e32 v26, s11
	v_add_co_u32_e32 v27, vcc, s10, v8
	v_addc_co_u32_e32 v48, vcc, v26, v9, vcc
	v_add_co_u32_e32 v26, vcc, v27, v40
	v_addc_co_u32_e32 v27, vcc, 0, v48, vcc
	v_mov_b32_e32 v48, s11
	v_add_co_u32_e32 v49, vcc, s10, v10
	v_addc_co_u32_e32 v50, vcc, v48, v11, vcc
	v_add_co_u32_e32 v48, vcc, v49, v40
	v_addc_co_u32_e32 v49, vcc, 0, v50, vcc
	global_load_dwordx4 v[52:55], v[26:27], off
	global_load_dwordx4 v[56:59], v[48:49], off
	v_mov_b32_e32 v26, s11
	v_add_co_u32_e32 v27, vcc, s10, v12
	v_addc_co_u32_e32 v48, vcc, v26, v13, vcc
	v_add_co_u32_e32 v26, vcc, v27, v40
	v_addc_co_u32_e32 v27, vcc, 0, v48, vcc
	v_mov_b32_e32 v48, s11
	v_add_co_u32_e32 v49, vcc, s10, v14
	v_addc_co_u32_e32 v50, vcc, v48, v15, vcc
	v_add_co_u32_e32 v48, vcc, v49, v40
	v_addc_co_u32_e32 v49, vcc, 0, v50, vcc
	global_load_dwordx4 v[60:63], v[26:27], off
	global_load_dwordx4 v[64:67], v[48:49], off
	v_mov_b32_e32 v50, 0
	v_mov_b32_e32 v48, 0
	;; [unrolled: 1-line block ×4, first 2 shown]
	s_waitcnt vmcnt(3)
	ds_write_b128 v28, v[52:55]
	s_waitcnt vmcnt(2)
	ds_write_b128 v29, v[56:59]
	;; [unrolled: 2-line block ×4, first 2 shown]
	s_waitcnt lgkmcnt(0)
	s_barrier
	ds_read_b128 v[52:55], v33
	ds_read_b128 v[56:59], v32
	ds_read_b128 v[60:63], v32 offset:8704
	ds_read_b128 v[64:67], v33 offset:256
	s_waitcnt lgkmcnt(2)
	;;#ASMSTART
	v_dot2_f32_f16 v50, v56, v52, v50
	;;#ASMEND
	;;#ASMSTART
	v_dot2_f32_f16 v50, v57, v53, v50
	;;#ASMEND
	;;#ASMSTART
	v_dot2_f32_f16 v50, v58, v54, v50
	;;#ASMEND
	;;#ASMSTART
	v_dot2_f32_f16 v50, v59, v55, v50
	;;#ASMEND
	s_waitcnt lgkmcnt(0)
	;;#ASMSTART
	v_dot2_f32_f16 v48, v56, v64, v48
	;;#ASMEND
	;;#ASMSTART
	v_dot2_f32_f16 v48, v57, v65, v48
	;;#ASMEND
	;;#ASMSTART
	v_dot2_f32_f16 v48, v58, v66, v48
	;;#ASMEND
	;;#ASMSTART
	v_dot2_f32_f16 v48, v59, v67, v48
	;;#ASMEND
	;;#ASMSTART
	v_dot2_f32_f16 v51, v60, v52, v51
	;;#ASMEND
	;;#ASMSTART
	v_dot2_f32_f16 v51, v61, v53, v51
	;;#ASMEND
	;;#ASMSTART
	v_dot2_f32_f16 v51, v62, v54, v51
	;;#ASMEND
	;;#ASMSTART
	v_dot2_f32_f16 v51, v63, v55, v51
	;;#ASMEND
	;;#ASMSTART
	v_dot2_f32_f16 v49, v60, v64, v49
	;;#ASMEND
	;;#ASMSTART
	v_dot2_f32_f16 v49, v61, v65, v49
	;;#ASMEND
	;;#ASMSTART
	v_dot2_f32_f16 v49, v62, v66, v49
	;;#ASMEND
	;;#ASMSTART
	v_dot2_f32_f16 v49, v63, v67, v49
	;;#ASMEND
	ds_read_b128 v[52:55], v33 offset:16
	ds_read_b128 v[56:59], v32 offset:16
	ds_read_b128 v[60:63], v32 offset:8720
	ds_read_b128 v[64:67], v33 offset:272
	s_waitcnt lgkmcnt(2)
	;;#ASMSTART
	v_dot2_f32_f16 v50, v56, v52, v50
	;;#ASMEND
	;;#ASMSTART
	v_dot2_f32_f16 v50, v57, v53, v50
	;;#ASMEND
	;;#ASMSTART
	v_dot2_f32_f16 v50, v58, v54, v50
	;;#ASMEND
	;;#ASMSTART
	v_dot2_f32_f16 v50, v59, v55, v50
	;;#ASMEND
	s_waitcnt lgkmcnt(0)
	;;#ASMSTART
	v_dot2_f32_f16 v48, v56, v64, v48
	;;#ASMEND
	;;#ASMSTART
	v_dot2_f32_f16 v48, v57, v65, v48
	;;#ASMEND
	;;#ASMSTART
	v_dot2_f32_f16 v48, v58, v66, v48
	;;#ASMEND
	;;#ASMSTART
	v_dot2_f32_f16 v48, v59, v67, v48
	;;#ASMEND
	;;#ASMSTART
	v_dot2_f32_f16 v51, v60, v52, v51
	;;#ASMEND
	;;#ASMSTART
	v_dot2_f32_f16 v51, v61, v53, v51
	;;#ASMEND
	;;#ASMSTART
	v_dot2_f32_f16 v51, v62, v54, v51
	;;#ASMEND
	;;#ASMSTART
	v_dot2_f32_f16 v51, v63, v55, v51
	;;#ASMEND
	;;#ASMSTART
	v_dot2_f32_f16 v49, v60, v64, v49
	;;#ASMEND
	;;#ASMSTART
	v_dot2_f32_f16 v49, v61, v65, v49
	;;#ASMEND
	;;#ASMSTART
	v_dot2_f32_f16 v49, v62, v66, v49
	;;#ASMEND
	;;#ASMSTART
	v_dot2_f32_f16 v49, v63, v67, v49
	;;#ASMEND
	ds_read_b128 v[52:55], v33 offset:32
	ds_read_b128 v[56:59], v32 offset:32
	;; [unrolled: 54-line block ×15, first 2 shown]
	ds_read_b128 v[60:63], v32 offset:8944
	ds_read_b128 v[64:67], v33 offset:496
	s_waitcnt lgkmcnt(2)
	;;#ASMSTART
	v_dot2_f32_f16 v50, v56, v52, v50
	;;#ASMEND
	;;#ASMSTART
	v_dot2_f32_f16 v50, v57, v53, v50
	;;#ASMEND
	;; [unrolled: 3-line block ×4, first 2 shown]
	s_waitcnt lgkmcnt(0)
	;;#ASMSTART
	v_dot2_f32_f16 v48, v56, v64, v48
	;;#ASMEND
	;;#ASMSTART
	v_dot2_f32_f16 v48, v57, v65, v48
	;;#ASMEND
	;;#ASMSTART
	v_dot2_f32_f16 v48, v58, v66, v48
	;;#ASMEND
	;;#ASMSTART
	v_dot2_f32_f16 v48, v59, v67, v48
	;;#ASMEND
	;;#ASMSTART
	v_dot2_f32_f16 v51, v60, v52, v51
	;;#ASMEND
	;;#ASMSTART
	v_dot2_f32_f16 v51, v61, v53, v51
	;;#ASMEND
	;;#ASMSTART
	v_dot2_f32_f16 v51, v62, v54, v51
	;;#ASMEND
	;;#ASMSTART
	v_dot2_f32_f16 v51, v63, v55, v51
	;;#ASMEND
	;;#ASMSTART
	v_dot2_f32_f16 v49, v60, v64, v49
	;;#ASMEND
	;;#ASMSTART
	v_dot2_f32_f16 v49, v61, v65, v49
	;;#ASMEND
	;;#ASMSTART
	v_dot2_f32_f16 v49, v62, v66, v49
	;;#ASMEND
	v_cmp_nlt_f32_e64 s[10:11], |v50|, s24
	;;#ASMSTART
	v_dot2_f32_f16 v49, v63, v67, v49
	;;#ASMEND
                                        ; implicit-def: $vgpr52
	s_and_saveexec_b64 s[36:37], s[10:11]
	s_xor_b64 s[10:11], exec, s[36:37]
	s_cbranch_execz .LBB82_12
; %bb.11:                               ;   in Loop: Header=BB82_10 Depth=1
	v_add_f32_e64 v26, |v50|, |v50|
	v_mul_f32_e32 v27, 0x3fb8aa3b, v26
	v_rndne_f32_e32 v52, v27
	v_sub_f32_e32 v53, v27, v52
	v_fma_f32 v27, v26, s25, -v27
	v_fmac_f32_e32 v27, 0x32a5705f, v26
	v_add_f32_e32 v27, v53, v27
	v_cvt_i32_f32_e32 v52, v52
	v_exp_f32_e32 v27, v27
	v_cmp_ngt_f32_e32 vcc, s26, v26
	v_ldexp_f32 v27, v27, v52
	v_cndmask_b32_e32 v27, 0, v27, vcc
	v_cmp_nlt_f32_e32 vcc, s27, v26
	v_cndmask_b32_e32 v26, v44, v27, vcc
	v_add_f32_e32 v26, 1.0, v26
	v_rcp_f32_e32 v26, v26
	v_fma_f32 v52, v26, -2.0, 1.0
.LBB82_12:                              ;   in Loop: Header=BB82_10 Depth=1
	s_andn2_saveexec_b64 s[10:11], s[10:11]
; %bb.13:                               ;   in Loop: Header=BB82_10 Depth=1
	v_mul_f32_e32 v26, v50, v50
	v_mov_b32_e32 v27, 0x3ca908c9
	v_fmac_f32_e32 v27, 0xbbbac73d, v26
	v_fma_f32 v27, v26, v27, v41
	v_fma_f32 v27, v26, v27, v42
	;; [unrolled: 1-line block ×3, first 2 shown]
	v_mul_f32_e64 v27, |v50|, v27
	v_fma_f32 v52, v26, v27, |v50|
; %bb.14:                               ;   in Loop: Header=BB82_10 Depth=1
	s_or_b64 exec, exec, s[10:11]
	v_add_u32_e32 v26, s6, v6
	v_ashrrev_i32_e32 v27, 31, v26
	v_lshlrev_b64 v[26:27], 1, v[26:27]
	v_mov_b32_e32 v53, s35
	v_add_co_u32_e32 v26, vcc, s34, v26
	v_addc_co_u32_e32 v27, vcc, v53, v27, vcc
	flat_load_ushort v56, v[26:27]
	v_cmp_nlt_f32_e64 s[10:11], |v51|, s24
                                        ; implicit-def: $vgpr53
	s_and_saveexec_b64 s[36:37], s[10:11]
	s_xor_b64 s[10:11], exec, s[36:37]
	s_cbranch_execz .LBB82_16
; %bb.15:                               ;   in Loop: Header=BB82_10 Depth=1
	v_add_f32_e64 v53, |v51|, |v51|
	v_mul_f32_e32 v54, 0x3fb8aa3b, v53
	v_rndne_f32_e32 v55, v54
	v_sub_f32_e32 v57, v54, v55
	v_fma_f32 v54, v53, s25, -v54
	v_fmac_f32_e32 v54, 0x32a5705f, v53
	v_add_f32_e32 v54, v57, v54
	v_cvt_i32_f32_e32 v55, v55
	v_exp_f32_e32 v54, v54
	v_cmp_ngt_f32_e32 vcc, s26, v53
	v_ldexp_f32 v54, v54, v55
	v_cndmask_b32_e32 v54, 0, v54, vcc
	v_cmp_nlt_f32_e32 vcc, s27, v53
	v_cndmask_b32_e32 v53, v44, v54, vcc
	v_add_f32_e32 v53, 1.0, v53
	v_rcp_f32_e32 v53, v53
	v_fma_f32 v53, v53, -2.0, 1.0
.LBB82_16:                              ;   in Loop: Header=BB82_10 Depth=1
	s_andn2_saveexec_b64 s[10:11], s[10:11]
; %bb.17:                               ;   in Loop: Header=BB82_10 Depth=1
	v_mul_f32_e32 v53, v51, v51
	v_mov_b32_e32 v54, 0x3ca908c9
	v_fmac_f32_e32 v54, 0xbbbac73d, v53
	v_fma_f32 v54, v53, v54, v41
	v_fma_f32 v54, v53, v54, v42
	;; [unrolled: 1-line block ×3, first 2 shown]
	v_mul_f32_e64 v54, |v51|, v54
	v_fma_f32 v53, v53, v54, |v51|
; %bb.18:                               ;   in Loop: Header=BB82_10 Depth=1
	s_or_b64 exec, exec, s[10:11]
	flat_load_ushort v63, v[26:27] offset:64
	v_and_b32_e32 v27, 0x60, v7
	v_bfi_b32 v26, s29, v52, v50
	v_add_u32_e32 v50, 32, v27
	v_xor_b32_e32 v55, 16, v7
	v_cmp_lt_i32_e32 vcc, v55, v50
	v_cndmask_b32_e32 v27, v7, v55, vcc
	v_lshlrev_b32_e32 v57, 2, v27
	v_bfi_b32 v27, s29, v53, v51
	s_waitcnt vmcnt(0) lgkmcnt(0)
	v_fma_mix_f32 v26, v26, s0, v56 op_sel_hi:[0,0,1]
	v_add_f32_e32 v52, 0x40051340, v26
	v_cmp_nlt_f32_e64 s[10:11], |v48|, s24
                                        ; implicit-def: $vgpr65
	v_fma_mix_f32 v27, v27, s0, v63 op_sel_hi:[0,0,1]
	v_add_f32_e32 v51, 0x40051340, v27
	v_max3_f32 v52, v2, v52, v51
	ds_bpermute_b32 v53, v57, v52
	v_xor_b32_e32 v51, 8, v7
	v_cmp_lt_i32_e32 vcc, v51, v50
	v_cndmask_b32_e32 v54, v7, v51, vcc
	v_lshlrev_b32_e32 v58, 2, v54
	s_waitcnt lgkmcnt(0)
	v_max_f32_e32 v53, v53, v53
	v_max_f32_e32 v53, v52, v53
	ds_bpermute_b32 v54, v58, v53
	v_xor_b32_e32 v52, 4, v7
	v_cmp_lt_i32_e32 vcc, v52, v50
	v_cndmask_b32_e32 v59, v7, v52, vcc
	v_lshlrev_b32_e32 v60, 2, v59
	s_waitcnt lgkmcnt(0)
	v_max_f32_e32 v54, v54, v54
	v_max_f32_e32 v54, v53, v54
	;; [unrolled: 8-line block ×4, first 2 shown]
	ds_bpermute_b32 v64, v59, v62
	s_and_saveexec_b64 s[36:37], s[10:11]
	s_xor_b64 s[10:11], exec, s[36:37]
	s_cbranch_execz .LBB82_20
; %bb.19:                               ;   in Loop: Header=BB82_10 Depth=1
	v_add_f32_e64 v65, |v48|, |v48|
	v_mul_f32_e32 v66, 0x3fb8aa3b, v65
	v_rndne_f32_e32 v67, v66
	v_sub_f32_e32 v68, v66, v67
	v_fma_f32 v66, v65, s25, -v66
	v_fmac_f32_e32 v66, 0x32a5705f, v65
	v_add_f32_e32 v66, v68, v66
	v_cvt_i32_f32_e32 v67, v67
	v_exp_f32_e32 v66, v66
	v_cmp_ngt_f32_e32 vcc, s26, v65
	v_ldexp_f32 v66, v66, v67
	v_cndmask_b32_e32 v66, 0, v66, vcc
	v_cmp_nlt_f32_e32 vcc, s27, v65
	v_cndmask_b32_e32 v65, v44, v66, vcc
	v_add_f32_e32 v65, 1.0, v65
	v_rcp_f32_e32 v65, v65
	v_fma_f32 v65, v65, -2.0, 1.0
.LBB82_20:                              ;   in Loop: Header=BB82_10 Depth=1
	s_andn2_saveexec_b64 s[10:11], s[10:11]
; %bb.21:                               ;   in Loop: Header=BB82_10 Depth=1
	v_mul_f32_e32 v65, v48, v48
	v_mov_b32_e32 v66, 0x3ca908c9
	v_fmac_f32_e32 v66, 0xbbbac73d, v65
	v_fma_f32 v66, v65, v66, v41
	v_fma_f32 v66, v65, v66, v42
	;; [unrolled: 1-line block ×3, first 2 shown]
	v_mul_f32_e64 v66, |v48|, v66
	v_fma_f32 v65, v65, v66, |v48|
; %bb.22:                               ;   in Loop: Header=BB82_10 Depth=1
	s_or_b64 exec, exec, s[10:11]
	v_cmp_nlt_f32_e64 s[10:11], |v49|, s24
                                        ; implicit-def: $vgpr66
	s_and_saveexec_b64 s[36:37], s[10:11]
	s_xor_b64 s[10:11], exec, s[36:37]
	s_cbranch_execz .LBB82_24
; %bb.23:                               ;   in Loop: Header=BB82_10 Depth=1
	v_add_f32_e64 v66, |v49|, |v49|
	v_mul_f32_e32 v67, 0x3fb8aa3b, v66
	v_rndne_f32_e32 v68, v67
	v_sub_f32_e32 v69, v67, v68
	v_fma_f32 v67, v66, s25, -v67
	v_fmac_f32_e32 v67, 0x32a5705f, v66
	v_add_f32_e32 v67, v69, v67
	v_cvt_i32_f32_e32 v68, v68
	v_exp_f32_e32 v67, v67
	v_cmp_ngt_f32_e32 vcc, s26, v66
	v_ldexp_f32 v67, v67, v68
	v_cndmask_b32_e32 v67, 0, v67, vcc
	v_cmp_nlt_f32_e32 vcc, s27, v66
	v_cndmask_b32_e32 v66, v44, v67, vcc
	v_add_f32_e32 v66, 1.0, v66
	v_rcp_f32_e32 v66, v66
	v_fma_f32 v66, v66, -2.0, 1.0
.LBB82_24:                              ;   in Loop: Header=BB82_10 Depth=1
	s_andn2_saveexec_b64 s[10:11], s[10:11]
	s_cbranch_execz .LBB82_9
; %bb.25:                               ;   in Loop: Header=BB82_10 Depth=1
	v_mul_f32_e32 v66, v49, v49
	v_mov_b32_e32 v67, 0x3ca908c9
	v_fmac_f32_e32 v67, 0xbbbac73d, v66
	v_fma_f32 v67, v66, v67, v41
	v_fma_f32 v67, v66, v67, v42
	v_fma_f32 v67, v66, v67, v43
	v_mul_f32_e64 v67, |v49|, v67
	v_fma_f32 v66, v66, v67, |v49|
	s_branch .LBB82_9
.LBB82_26:
	v_cmp_lt_i32_e32 vcc, v55, v50
	v_cndmask_b32_e32 v6, v7, v55, vcc
	v_lshlrev_b32_e32 v6, 2, v6
	ds_bpermute_b32 v8, v6, v4
	ds_bpermute_b32 v9, v6, v5
	v_cmp_lt_i32_e32 vcc, v51, v50
	v_cndmask_b32_e32 v6, v7, v51, vcc
	v_lshlrev_b32_e32 v6, 2, v6
	v_cmp_lt_i32_e32 vcc, v52, v50
	s_waitcnt lgkmcnt(0)
	v_pk_add_f32 v[4:5], v[4:5], v[8:9]
	ds_bpermute_b32 v8, v6, v4
	ds_bpermute_b32 v9, v6, v5
	v_cndmask_b32_e32 v6, v7, v52, vcc
	v_lshlrev_b32_e32 v6, 2, v6
	v_cmp_lt_i32_e32 vcc, v53, v50
	s_cmp_lg_u64 s[16:17], 0
	s_waitcnt lgkmcnt(0)
	v_pk_add_f32 v[4:5], v[4:5], v[8:9]
	ds_bpermute_b32 v8, v6, v4
	ds_bpermute_b32 v9, v6, v5
	v_cndmask_b32_e32 v6, v7, v53, vcc
	v_lshlrev_b32_e32 v6, 2, v6
	v_cmp_lt_i32_e32 vcc, v54, v50
	s_cselect_b64 s[0:1], -1, 0
	s_waitcnt lgkmcnt(0)
	v_pk_add_f32 v[4:5], v[4:5], v[8:9]
	ds_bpermute_b32 v8, v6, v4
	ds_bpermute_b32 v9, v6, v5
	v_cndmask_b32_e32 v6, v7, v54, vcc
	v_lshlrev_b32_e32 v7, 2, v6
	s_cmp_eq_u32 s7, 0
	s_cselect_b64 s[8:9], -1, 0
	s_waitcnt lgkmcnt(0)
	v_pk_add_f32 v[4:5], v[4:5], v[8:9]
	ds_bpermute_b32 v6, v7, v4
	ds_bpermute_b32 v7, v7, v5
	s_and_b64 s[0:1], s[8:9], s[0:1]
	s_and_b64 vcc, exec, s[0:1]
	s_waitcnt lgkmcnt(0)
	v_pk_add_f32 v[4:5], v[4:5], v[6:7]
	s_cbranch_vccz .LBB82_28
; %bb.27:
	s_ashr_i32 s29, s28, 31
	s_lshl_b64 s[0:1], s[28:29], 2
	s_add_u32 s0, s16, s0
	s_addc_u32 s1, s17, s1
	v_mov_b32_e32 v6, 0
	global_load_dwordx2 v[6:7], v6, s[0:1]
	v_max_f32_e32 v8, v3, v3
	v_max_f32_e32 v10, v2, v2
	s_mov_b32 s0, 0x3fb8aa3b
	s_mov_b32 s1, 0xc2ce8ed0
	;; [unrolled: 1-line block ×3, first 2 shown]
	v_mov_b32_e32 v11, 0x7f800000
	s_waitcnt vmcnt(0)
	v_max_f32_e32 v9, v7, v7
	v_max_f32_e32 v12, v6, v6
	;; [unrolled: 1-line block ×4, first 2 shown]
	v_pk_add_f32 v[2:3], v[2:3], v[8:9] neg_lo:[0,1] neg_hi:[0,1]
	v_mul_f32_e32 v10, 0x3fb8aa3b, v3
	v_pk_add_f32 v[6:7], v[6:7], v[8:9] neg_lo:[0,1] neg_hi:[0,1]
	v_mul_f32_e32 v12, 0x3fb8aa3b, v2
	v_fma_f32 v15, v3, s0, -v10
	v_rndne_f32_e32 v16, v10
	v_mul_f32_e32 v13, 0x3fb8aa3b, v7
	v_fma_f32 v17, v2, s0, -v12
	v_rndne_f32_e32 v18, v12
	v_fmac_f32_e32 v15, 0x32a5705f, v3
	v_sub_f32_e32 v10, v10, v16
	v_mul_f32_e32 v14, 0x3fb8aa3b, v6
	v_fma_f32 v19, v7, s0, -v13
	v_rndne_f32_e32 v20, v13
	v_fmac_f32_e32 v17, 0x32a5705f, v2
	v_sub_f32_e32 v12, v12, v18
	v_add_f32_e32 v10, v10, v15
	v_fma_f32 v21, v6, s0, -v14
	v_rndne_f32_e32 v22, v14
	v_cvt_i32_f32_e32 v16, v16
	v_fmac_f32_e32 v19, 0x32a5705f, v7
	v_sub_f32_e32 v13, v13, v20
	v_add_f32_e32 v12, v12, v17
	v_exp_f32_e32 v10, v10
	v_cvt_i32_f32_e32 v18, v18
	v_fmac_f32_e32 v21, 0x32a5705f, v6
	v_sub_f32_e32 v14, v14, v22
	v_add_f32_e32 v13, v13, v19
	v_exp_f32_e32 v12, v12
	v_cvt_i32_f32_e32 v20, v20
	v_add_f32_e32 v14, v14, v21
	v_exp_f32_e32 v13, v13
	v_cvt_i32_f32_e32 v22, v22
	v_exp_f32_e32 v14, v14
	v_ldexp_f32 v10, v10, v16
	v_cmp_ngt_f32_e32 vcc, s1, v3
	v_ldexp_f32 v12, v12, v18
	v_cndmask_b32_e32 v10, 0, v10, vcc
	v_cmp_ngt_f32_e32 vcc, s1, v2
	v_ldexp_f32 v13, v13, v20
	v_cndmask_b32_e32 v12, 0, v12, vcc
	;; [unrolled: 3-line block ×3, first 2 shown]
	v_cmp_ngt_f32_e32 vcc, s1, v6
	v_cndmask_b32_e32 v14, 0, v14, vcc
	v_cmp_nlt_f32_e32 vcc, s6, v3
	v_cndmask_b32_e32 v3, v11, v10, vcc
	v_cmp_nlt_f32_e32 vcc, s6, v2
	;; [unrolled: 2-line block ×4, first 2 shown]
	v_cvt_f16_f32_e32 v10, v2
	v_cndmask_b32_e32 v6, v11, v14, vcc
	v_cvt_f16_f32_e32 v11, v3
	v_pk_fma_f32 v[4:5], v[4:5], v[2:3], v[6:7]
	v_pk_mul_f16 v47, v10, v47 op_sel_hi:[0,1]
	v_pk_mul_f16 v24, v10, v24 op_sel_hi:[0,1]
	v_pk_mul_f16 v46, v11, v46 op_sel_hi:[0,1]
	v_pk_mul_f16 v45, v11, v45 op_sel_hi:[0,1]
	v_pk_mov_b32 v[2:3], v[8:9], v[8:9] op_sel:[0,1]
.LBB82_28:
	v_cmp_gt_i32_e32 vcc, s2, v1
	s_and_saveexec_b64 s[0:1], vcc
	s_cbranch_execz .LBB82_37
; %bb.29:
	s_load_dword s6, s[4:5], 0xd4
	v_mov_b32_e32 v6, 1.0
	s_waitcnt lgkmcnt(0)
	s_cmp_lg_u32 s6, 1
	s_cselect_b64 s[0:1], -1, 0
	s_cmp_eq_u32 s6, 1
	s_cselect_b64 s[4:5], -1, 0
	s_and_b64 vcc, exec, s[0:1]
	s_cbranch_vccnz .LBB82_31
; %bb.30:
	v_div_scale_f32 v6, s[8:9], v4, v4, 1.0
	v_rcp_f32_e32 v7, v6
	v_div_scale_f32 v8, vcc, 1.0, v4, 1.0
	v_fma_f32 v9, -v6, v7, 1.0
	v_fmac_f32_e32 v7, v9, v7
	v_mul_f32_e32 v9, v8, v7
	v_fma_f32 v10, -v6, v9, v8
	v_fmac_f32_e32 v9, v10, v7
	v_fma_f32 v6, -v6, v9, v8
	v_div_fmas_f32 v6, v6, v7, v9
	v_div_fixup_f32 v6, v6, v4, 1.0
.LBB82_31:
	s_mul_i32 s33, s33, s2
	v_add_u32_e32 v1, s33, v1
	v_mul_lo_u32 v1, v1, s3
	v_add_u32_e32 v1, s28, v1
	v_cmp_eq_u32_e32 vcc, 0, v0
	v_mul_lo_u32 v0, s6, v1
	v_add_u32_e32 v0, s7, v0
	v_cvt_f32_f16_sdwa v11, v47 dst_sel:DWORD dst_unused:UNUSED_PAD src0_sel:WORD_1
	v_cvt_f32_f16_e32 v10, v47
	v_cvt_f32_f16_sdwa v13, v24 dst_sel:DWORD dst_unused:UNUSED_PAD src0_sel:WORD_1
	v_cvt_f32_f16_e32 v12, v24
	v_lshl_add_u32 v8, v0, 7, v25
	v_mov_b32_e32 v9, 0
	v_lshlrev_b64 v[8:9], 2, v[8:9]
	s_and_b64 s[0:1], vcc, s[0:1]
	v_mov_b32_e32 v1, s21
	v_add_co_u32_e32 v14, vcc, s20, v8
	v_addc_co_u32_e32 v15, vcc, v1, v9, vcc
	v_pk_mul_f32 v[8:9], v[6:7], v[10:11] op_sel_hi:[0,1]
	v_pk_mul_f32 v[10:11], v[6:7], v[12:13] op_sel_hi:[0,1]
	global_store_dwordx4 v[14:15], v[8:11], off
	s_and_saveexec_b64 s[2:3], s[0:1]
	s_cbranch_execz .LBB82_33
; %bb.32:
	v_ashrrev_i32_e32 v1, 31, v0
	v_lshlrev_b64 v[6:7], 3, v[0:1]
	v_mov_b32_e32 v1, s23
	v_add_co_u32_e32 v6, vcc, s22, v6
	v_addc_co_u32_e32 v7, vcc, v1, v7, vcc
	v_mov_b32_e32 v8, v2
	v_mov_b32_e32 v9, v4
	global_store_dwordx2 v[6:7], v[8:9], off
.LBB82_33:
	s_or_b64 exec, exec, s[2:3]
	s_andn2_b64 vcc, exec, s[4:5]
	v_mov_b32_e32 v2, 1.0
	s_cbranch_vccnz .LBB82_35
; %bb.34:
	v_div_scale_f32 v1, s[2:3], v5, v5, 1.0
	v_rcp_f32_e32 v2, v1
	v_div_scale_f32 v4, vcc, 1.0, v5, 1.0
	v_fma_f32 v6, -v1, v2, 1.0
	v_fmac_f32_e32 v2, v6, v2
	v_mul_f32_e32 v6, v4, v2
	v_fma_f32 v7, -v1, v6, v4
	v_fmac_f32_e32 v6, v7, v2
	v_fma_f32 v1, -v1, v6, v4
	v_div_fmas_f32 v1, v1, v2, v6
	v_div_fixup_f32 v2, v1, v5, 1.0
.LBB82_35:
	v_add_u32_e32 v0, s6, v0
	v_cvt_f32_f16_sdwa v9, v46 dst_sel:DWORD dst_unused:UNUSED_PAD src0_sel:WORD_1
	v_cvt_f32_f16_e32 v8, v46
	v_cvt_f32_f16_sdwa v11, v45 dst_sel:DWORD dst_unused:UNUSED_PAD src0_sel:WORD_1
	v_cvt_f32_f16_e32 v10, v45
	v_lshl_add_u32 v6, v0, 7, v25
	v_mov_b32_e32 v7, 0
	v_lshlrev_b64 v[6:7], 2, v[6:7]
	v_mov_b32_e32 v1, s21
	v_add_co_u32_e32 v12, vcc, s20, v6
	v_addc_co_u32_e32 v13, vcc, v1, v7, vcc
	v_pk_mul_f32 v[6:7], v[2:3], v[8:9] op_sel_hi:[0,1]
	v_pk_mul_f32 v[8:9], v[2:3], v[10:11] op_sel_hi:[0,1]
	global_store_dwordx4 v[12:13], v[6:9], off
	s_and_b64 exec, exec, s[0:1]
	s_cbranch_execz .LBB82_37
; %bb.36:
	v_ashrrev_i32_e32 v1, 31, v0
	v_lshlrev_b64 v[0:1], 3, v[0:1]
	v_mov_b32_e32 v2, s23
	v_add_co_u32_e32 v0, vcc, s22, v0
	v_addc_co_u32_e32 v1, vcc, v2, v1, vcc
	v_mov_b32_e32 v4, v3
	global_store_dwordx2 v[0:1], v[4:5], off
.LBB82_37:
	s_endpgm
	.section	.rodata,"a",@progbits
	.p2align	6, 0x0
	.amdhsa_kernel _ZL15flash_attn_tileILi128ELi128ELi8ELi2ELb1EEvPKcS1_S1_S1_S1_PKiPfP15HIP_vector_typeIfLj2EEffffjfiS5_IjLj3EEiiiiiiiiiiiliiliiiiil
		.amdhsa_group_segment_fixed_size 23552
		.amdhsa_private_segment_fixed_size 0
		.amdhsa_kernarg_size 464
		.amdhsa_user_sgpr_count 6
		.amdhsa_user_sgpr_private_segment_buffer 1
		.amdhsa_user_sgpr_dispatch_ptr 0
		.amdhsa_user_sgpr_queue_ptr 0
		.amdhsa_user_sgpr_kernarg_segment_ptr 1
		.amdhsa_user_sgpr_dispatch_id 0
		.amdhsa_user_sgpr_flat_scratch_init 0
		.amdhsa_user_sgpr_kernarg_preload_length 0
		.amdhsa_user_sgpr_kernarg_preload_offset 0
		.amdhsa_user_sgpr_private_segment_size 0
		.amdhsa_uses_dynamic_stack 0
		.amdhsa_system_sgpr_private_segment_wavefront_offset 0
		.amdhsa_system_sgpr_workgroup_id_x 1
		.amdhsa_system_sgpr_workgroup_id_y 1
		.amdhsa_system_sgpr_workgroup_id_z 1
		.amdhsa_system_sgpr_workgroup_info 0
		.amdhsa_system_vgpr_workitem_id 1
		.amdhsa_next_free_vgpr 81
		.amdhsa_next_free_sgpr 40
		.amdhsa_accum_offset 84
		.amdhsa_reserve_vcc 1
		.amdhsa_reserve_flat_scratch 0
		.amdhsa_float_round_mode_32 0
		.amdhsa_float_round_mode_16_64 0
		.amdhsa_float_denorm_mode_32 3
		.amdhsa_float_denorm_mode_16_64 3
		.amdhsa_dx10_clamp 1
		.amdhsa_ieee_mode 1
		.amdhsa_fp16_overflow 0
		.amdhsa_tg_split 0
		.amdhsa_exception_fp_ieee_invalid_op 0
		.amdhsa_exception_fp_denorm_src 0
		.amdhsa_exception_fp_ieee_div_zero 0
		.amdhsa_exception_fp_ieee_overflow 0
		.amdhsa_exception_fp_ieee_underflow 0
		.amdhsa_exception_fp_ieee_inexact 0
		.amdhsa_exception_int_div_zero 0
	.end_amdhsa_kernel
	.section	.text._ZL15flash_attn_tileILi128ELi128ELi8ELi2ELb1EEvPKcS1_S1_S1_S1_PKiPfP15HIP_vector_typeIfLj2EEffffjfiS5_IjLj3EEiiiiiiiiiiiliiliiiiil,"axG",@progbits,_ZL15flash_attn_tileILi128ELi128ELi8ELi2ELb1EEvPKcS1_S1_S1_S1_PKiPfP15HIP_vector_typeIfLj2EEffffjfiS5_IjLj3EEiiiiiiiiiiiliiliiiiil,comdat
.Lfunc_end82:
	.size	_ZL15flash_attn_tileILi128ELi128ELi8ELi2ELb1EEvPKcS1_S1_S1_S1_PKiPfP15HIP_vector_typeIfLj2EEffffjfiS5_IjLj3EEiiiiiiiiiiiliiliiiiil, .Lfunc_end82-_ZL15flash_attn_tileILi128ELi128ELi8ELi2ELb1EEvPKcS1_S1_S1_S1_PKiPfP15HIP_vector_typeIfLj2EEffffjfiS5_IjLj3EEiiiiiiiiiiiliiliiiiil
                                        ; -- End function
	.section	.AMDGPU.csdata,"",@progbits
; Kernel info:
; codeLenInByte = 10268
; NumSgprs: 44
; NumVgprs: 81
; NumAgprs: 0
; TotalNumVgprs: 81
; ScratchSize: 0
; MemoryBound: 0
; FloatMode: 240
; IeeeMode: 1
; LDSByteSize: 23552 bytes/workgroup (compile time only)
; SGPRBlocks: 5
; VGPRBlocks: 10
; NumSGPRsForWavesPerEU: 44
; NumVGPRsForWavesPerEU: 81
; AccumOffset: 84
; Occupancy: 2
; WaveLimiterHint : 1
; COMPUTE_PGM_RSRC2:SCRATCH_EN: 0
; COMPUTE_PGM_RSRC2:USER_SGPR: 6
; COMPUTE_PGM_RSRC2:TRAP_HANDLER: 0
; COMPUTE_PGM_RSRC2:TGID_X_EN: 1
; COMPUTE_PGM_RSRC2:TGID_Y_EN: 1
; COMPUTE_PGM_RSRC2:TGID_Z_EN: 1
; COMPUTE_PGM_RSRC2:TIDIG_COMP_CNT: 1
; COMPUTE_PGM_RSRC3_GFX90A:ACCUM_OFFSET: 20
; COMPUTE_PGM_RSRC3_GFX90A:TG_SPLIT: 0
	.section	.text._ZL15flash_attn_tileILi128ELi128ELi4ELi2ELb1EEvPKcS1_S1_S1_S1_PKiPfP15HIP_vector_typeIfLj2EEffffjfiS5_IjLj3EEiiiiiiiiiiiliiliiiiil,"axG",@progbits,_ZL15flash_attn_tileILi128ELi128ELi4ELi2ELb1EEvPKcS1_S1_S1_S1_PKiPfP15HIP_vector_typeIfLj2EEffffjfiS5_IjLj3EEiiiiiiiiiiiliiliiiiil,comdat
	.globl	_ZL15flash_attn_tileILi128ELi128ELi4ELi2ELb1EEvPKcS1_S1_S1_S1_PKiPfP15HIP_vector_typeIfLj2EEffffjfiS5_IjLj3EEiiiiiiiiiiiliiliiiiil ; -- Begin function _ZL15flash_attn_tileILi128ELi128ELi4ELi2ELb1EEvPKcS1_S1_S1_S1_PKiPfP15HIP_vector_typeIfLj2EEffffjfiS5_IjLj3EEiiiiiiiiiiiliiliiiiil
	.p2align	8
	.type	_ZL15flash_attn_tileILi128ELi128ELi4ELi2ELb1EEvPKcS1_S1_S1_S1_PKiPfP15HIP_vector_typeIfLj2EEffffjfiS5_IjLj3EEiiiiiiiiiiiliiliiiiil,@function
_ZL15flash_attn_tileILi128ELi128ELi4ELi2ELb1EEvPKcS1_S1_S1_S1_PKiPfP15HIP_vector_typeIfLj2EEffffjfiS5_IjLj3EEiiiiiiiiiiiliiliiiiil: ; @_ZL15flash_attn_tileILi128ELi128ELi4ELi2ELb1EEvPKcS1_S1_S1_S1_PKiPfP15HIP_vector_typeIfLj2EEffffjfiS5_IjLj3EEiiiiiiiiiiiliiliiiiil
; %bb.0:
	s_load_dwordx4 s[0:3], s[4:5], 0x5c
	s_load_dwordx2 s[28:29], s[4:5], 0x80
	s_load_dwordx2 s[34:35], s[4:5], 0xb8
	s_mov_b64 s[30:31], 0
	s_waitcnt lgkmcnt(0)
	s_lshr_b32 s9, s3, 31
	s_add_i32 s9, s3, s9
	s_ashr_i32 s9, s9, 1
	v_cvt_f32_u32_e32 v1, s9
	s_sub_i32 s10, 0, s9
	v_rcp_iflag_f32_e32 v1, v1
	v_mul_f32_e32 v1, 0x4f7ffffe, v1
	v_cvt_u32_f32_e32 v1, v1
	v_readfirstlane_b32 s11, v1
	s_mul_i32 s10, s10, s11
	s_mul_hi_u32 s10, s11, s10
	s_add_i32 s11, s11, s10
	s_mul_hi_u32 s10, s8, s11
	s_mul_i32 s11, s10, s9
	s_sub_i32 s11, s8, s11
	s_add_i32 s12, s10, 1
	s_sub_i32 s13, s11, s9
	s_cmp_ge_u32 s11, s9
	s_cselect_b32 s10, s12, s10
	s_cselect_b32 s11, s13, s11
	s_add_i32 s12, s10, 1
	s_cmp_ge_u32 s11, s9
	s_cselect_b32 s33, s12, s10
	s_abs_i32 s9, s29
	v_cvt_f32_u32_e32 v1, s9
	s_lshl_b32 s8, s8, 1
	s_mul_i32 s12, s33, s3
	s_xor_b32 s10, s3, s29
	v_rcp_iflag_f32_e32 v1, v1
	s_sub_i32 s13, 0, s9
	s_sub_i32 s29, s8, s12
	s_abs_i32 s11, s3
	v_mul_f32_e32 v1, 0x4f7ffffe, v1
	v_cvt_u32_f32_e32 v1, v1
	s_ashr_i32 s10, s10, 31
	v_readfirstlane_b32 s8, v1
	s_mul_i32 s13, s13, s8
	s_mul_hi_u32 s12, s8, s13
	s_add_i32 s8, s8, s12
	s_mul_hi_u32 s8, s11, s8
	s_mul_i32 s12, s8, s9
	s_sub_i32 s11, s11, s12
	s_add_i32 s13, s8, 1
	s_sub_i32 s12, s11, s9
	s_cmp_ge_u32 s11, s9
	s_cselect_b32 s8, s13, s8
	s_cselect_b32 s11, s12, s11
	s_add_i32 s12, s8, 1
	s_cmp_ge_u32 s11, s9
	s_cselect_b32 s8, s12, s8
	s_xor_b32 s8, s8, s10
	s_sub_i32 s37, s8, s10
	s_abs_i32 s36, s37
	v_cvt_f32_u32_e32 v1, s36
	s_load_dwordx16 s[8:23], s[4:5], 0x0
	v_rcp_iflag_f32_e32 v1, v1
	s_waitcnt lgkmcnt(0)
	s_cmp_eq_u64 s[14:15], 0
	v_mul_f32_e32 v1, 0x4f7ffffe, v1
	v_cvt_u32_f32_e32 v1, v1
	v_readfirstlane_b32 s24, v1
	s_cbranch_scc1 .LBB83_2
; %bb.1:
	s_abs_i32 s25, s34
	v_cvt_f32_u32_e32 v1, s25
	s_sub_i32 s34, 0, s25
	s_abs_i32 s31, s33
	s_ashr_i32 s30, s33, 31
	v_rcp_iflag_f32_e32 v1, v1
	s_load_dwordx2 s[26:27], s[4:5], 0xc8
	v_mul_f32_e32 v1, 0x4f7ffffe, v1
	v_cvt_u32_f32_e32 v1, v1
	v_readfirstlane_b32 s38, v1
	s_mul_i32 s34, s34, s38
	s_mul_hi_u32 s34, s38, s34
	s_add_i32 s38, s38, s34
	s_mul_hi_u32 s34, s31, s38
	s_mul_i32 s34, s34, s25
	s_sub_i32 s31, s31, s34
	s_sub_i32 s34, s31, s25
	s_cmp_ge_u32 s31, s25
	s_cselect_b32 s31, s34, s31
	s_sub_i32 s34, s31, s25
	s_cmp_ge_u32 s31, s25
	s_cselect_b32 s25, s34, s31
	s_xor_b32 s25, s25, s30
	s_sub_i32 s25, s25, s30
	s_ashr_i32 s30, s25, 31
	s_waitcnt lgkmcnt(0)
	s_mul_i32 s27, s25, s27
	s_mul_hi_u32 s31, s25, s26
	s_add_i32 s27, s31, s27
	s_mul_i32 s30, s30, s26
	s_add_i32 s27, s27, s30
	s_mul_i32 s25, s25, s26
	s_add_u32 s30, s14, s25
	s_addc_u32 s31, s15, s27
.LBB83_2:
	s_load_dwordx4 s[40:43], s[4:5], 0x70
	v_bfe_u32 v4, v0, 10, 10
	v_lshrrev_b32_e32 v2, 1, v4
	v_lshl_add_u32 v22, s6, 2, v2
	v_mul_hi_u32 v2, s0, v22
	s_waitcnt lgkmcnt(0)
	s_mul_i32 s14, s33, s42
	s_ashr_i32 s25, s14, 31
	s_mul_i32 s15, s29, s41
	s_add_u32 s8, s8, s14
	s_addc_u32 s9, s9, s25
	s_ashr_i32 s14, s15, 31
	s_add_u32 s8, s8, s15
	s_addc_u32 s9, s9, s14
	s_ashr_i32 s14, s41, 31
	v_mov_b32_e32 v3, s41
	v_add_u32_e32 v2, v22, v2
	v_and_b32_e32 v1, 1, v4
	v_alignbit_b32 v3, s14, v3, 2
	v_lshrrev_b32_e32 v2, s1, v2
	s_lshr_b32 s15, s14, 2
	v_mul_lo_u32 v6, v3, v1
	v_mul_lo_u32 v2, v2, s2
	s_ashr_i32 s14, s40, 31
	v_mov_b32_e32 v3, s40
	v_sub_u32_e32 v2, v22, v2
	v_alignbit_b32 v3, s14, v3, 2
	v_mad_u64_u32 v[8:9], s[0:1], v3, v2, 0
	v_mul_lo_u32 v7, s15, v1
	v_mov_b32_e32 v10, v9
	s_lshr_b32 s0, s14, 2
	v_mad_u64_u32 v[10:11], s[0:1], s0, v2, v[10:11]
	v_lshlrev_b64 v[6:7], 2, v[6:7]
	v_mov_b32_e32 v9, v10
	v_mov_b32_e32 v3, s9
	v_add_co_u32_e32 v5, vcc, s8, v6
	v_addc_co_u32_e32 v3, vcc, v3, v7, vcc
	v_lshlrev_b64 v[6:7], 2, v[8:9]
	v_and_b32_e32 v0, 0x3ff, v0
	v_add_co_u32_e32 v5, vcc, v5, v6
	v_addc_co_u32_e32 v3, vcc, v3, v7, vcc
	v_lshlrev_b32_e32 v6, 4, v0
	v_add_co_u32_e32 v6, vcc, v5, v6
	v_addc_co_u32_e32 v7, vcc, 0, v3, vcc
	global_load_dwordx4 v[6:9], v[6:7], off
	s_load_dword s0, s[4:5], 0x40
	v_lshlrev_b32_e32 v3, 6, v4
	v_lshlrev_b32_e32 v5, 1, v0
	v_add_lshl_u32 v3, v3, v5, 2
	s_cmp_eq_u64 s[18:19], 0
	s_waitcnt vmcnt(0) lgkmcnt(0)
	v_pk_mul_f32 v[6:7], v[6:7], s[0:1] op_sel_hi:[1,0]
	v_pk_mul_f32 v[8:9], v[8:9], s[0:1] op_sel_hi:[1,0]
	v_cvt_f16_f32_e32 v10, v7
	v_cvt_f16_f32_e32 v7, v9
	;; [unrolled: 1-line block ×4, first 2 shown]
	v_pack_b32_f16 v7, v8, v7
	v_pack_b32_f16 v6, v6, v10
	ds_write_b64 v3, v[6:7] offset:17408
	s_waitcnt lgkmcnt(0)
	s_barrier
	s_cbranch_scc1 .LBB83_4
; %bb.3:
	s_load_dword s0, s[4:5], 0xd0
	s_mov_b32 s1, 0
	s_waitcnt lgkmcnt(0)
	s_mul_i32 s0, s0, s33
	s_add_i32 s0, s0, s6
	s_lshl_b64 s[0:1], s[0:1], 2
	s_add_u32 s0, s18, s0
	s_addc_u32 s1, s19, s1
	s_load_dword s28, s[0:1], 0x0
.LBB83_4:
	s_lshl_b32 s6, s7, 6
	s_waitcnt lgkmcnt(0)
	s_cmp_lt_i32 s6, s28
	v_mbcnt_lo_u32_b32 v12, -1, 0
	s_cbranch_scc1 .LBB83_6
; %bb.5:
	v_mbcnt_hi_u32_b32 v3, -1, v12
	v_and_b32_e32 v5, 0x60, v3
	s_mov_b32 s8, 0
	v_add_u32_e32 v47, 32, v5
	v_xor_b32_e32 v21, 16, v3
	v_xor_b32_e32 v46, 8, v3
	;; [unrolled: 1-line block ×5, first 2 shown]
	s_mov_b64 s[0:1], 0
	s_mov_b32 s9, 0xfeffffff
	s_branch .LBB83_7
.LBB83_6:
	s_mov_b64 s[0:1], -1
                                        ; implicit-def: $sgpr9
                                        ; implicit-def: $sgpr8
                                        ; implicit-def: $vgpr3
                                        ; implicit-def: $vgpr47
                                        ; implicit-def: $vgpr21
                                        ; implicit-def: $vgpr46
                                        ; implicit-def: $vgpr48
                                        ; implicit-def: $vgpr49
                                        ; implicit-def: $vgpr50
.LBB83_7:
	v_lshlrev_b32_e32 v23, 2, v0
	s_andn2_b64 vcc, exec, s[0:1]
	v_mov_b32_e32 v20, s9
	v_mov_b32_e32 v51, s8
	v_mov_b32_e32 v43, s8
	v_mov_b32_e32 v42, s8
	s_cbranch_vccnz .LBB83_19
; %bb.8:
	s_sub_i32 s0, 0, s36
	s_mul_i32 s0, s0, s24
	s_mul_hi_u32 s0, s24, s0
	s_abs_i32 s19, s29
	s_add_i32 s24, s24, s0
	s_mul_hi_u32 s34, s19, s24
	s_load_dwordx4 s[24:27], s[4:5], 0x98
	s_load_dword s14, s[4:5], 0x54
	s_load_dwordx2 s[0:1], s[4:5], 0x8c
	s_ashr_i32 s38, s29, 31
	s_ashr_i32 s37, s37, 31
	s_waitcnt lgkmcnt(0)
	s_ashr_i32 s15, s26, 2
	s_ashr_i32 s26, s35, 1
	;; [unrolled: 1-line block ×4, first 2 shown]
	s_mul_i32 s25, s33, s25
	s_mul_hi_u32 s35, s33, s24
	s_add_i32 s25, s35, s25
	s_mul_i32 s35, s0, s24
	s_add_i32 s25, s25, s35
	s_mul_i32 s24, s33, s24
	s_add_u32 s10, s10, s24
	s_addc_u32 s11, s11, s25
	s_mul_i32 s25, s34, s36
	s_sub_i32 s19, s19, s25
	s_xor_b32 s24, s38, s37
	s_add_i32 s25, s34, 1
	s_sub_i32 s35, s19, s36
	s_cmp_ge_u32 s19, s36
	s_cselect_b32 s25, s25, s34
	s_cselect_b32 s19, s35, s19
	s_add_i32 s34, s25, 1
	s_cmp_ge_u32 s19, s36
	s_load_dwordx2 s[8:9], s[4:5], 0xa8
	s_cselect_b32 s19, s34, s25
	s_xor_b32 s19, s19, s24
	s_sub_i32 s19, s19, s24
	s_mul_i32 s1, s19, s1
	s_ashr_i32 s24, s1, 31
	s_add_u32 s10, s10, s1
	s_waitcnt lgkmcnt(0)
	s_mul_i32 s1, s33, s9
	s_mul_hi_u32 s9, s33, s8
	s_addc_u32 s11, s11, s24
	s_add_i32 s1, s9, s1
	s_mul_i32 s0, s0, s8
	s_add_i32 s1, s1, s0
	s_mul_i32 s0, s33, s8
	s_add_u32 s0, s12, s0
	s_mul_i32 s19, s19, s27
	s_addc_u32 s1, s13, s1
	s_ashr_i32 s8, s19, 31
	v_lshrrev_b32_e32 v3, 4, v0
	v_and_b32_e32 v6, 60, v23
	s_add_u32 s12, s0, s19
	v_lshl_add_u32 v5, v4, 1, v3
	v_lshlrev_b32_e32 v7, 2, v6
	s_movk_i32 s0, 0x110
	s_addc_u32 s13, s1, s8
	v_mad_u32_u24 v24, v5, s0, v7
	v_mul_lo_u32 v8, s18, v5
	s_lshl_b32 s0, s18, 4
	v_add_u32_e32 v10, s0, v8
	v_add_u32_e32 v14, s0, v10
	v_mov_b32_e32 v3, 0x4400
	v_add_u32_e32 v16, s0, v14
	v_lshl_add_u32 v28, v4, 8, v3
	v_mad_u64_u32 v[2:3], s[0:1], v2, s26, v[0:1]
	v_mul_lo_u32 v18, s15, v5
	s_lshl_b32 s0, s15, 4
	v_add_u32_e32 v20, s0, v18
	v_add_u32_e32 v46, s0, v20
	v_mov_b32_e32 v3, 0x4c00
	v_add_u32_e32 v48, s0, v46
	v_ashrrev_i32_e32 v9, 31, v8
	v_ashrrev_i32_e32 v11, 31, v10
	v_ashrrev_i32_e32 v15, 31, v14
	v_ashrrev_i32_e32 v17, 31, v16
	v_lshl_add_u32 v30, v4, 7, v3
	v_lshl_or_b32 v32, v5, 8, v7
	v_ashrrev_i32_e32 v19, 31, v18
	v_ashrrev_i32_e32 v21, 31, v20
	;; [unrolled: 1-line block ×4, first 2 shown]
	s_add_u32 s0, s4, 0xd0
	v_mov_b32_e32 v42, 0
	v_add_u32_e32 v25, 0x1100, v24
	v_add_u32_e32 v26, 0x2200, v24
	;; [unrolled: 1-line block ×3, first 2 shown]
	v_mul_u32_u24_e32 v29, 0x110, v0
	v_lshl_add_u32 v31, v0, 1, v30
	v_add_u32_e32 v33, 0x1000, v32
	v_add_u32_e32 v34, 0x2000, v32
	v_add_u32_e32 v35, 0x3000, v32
	v_lshlrev_b32_e32 v36, 3, v0
	s_addc_u32 s1, s5, 0
	v_mov_b32_e32 v45, 0xfeffffff
	v_lshlrev_b64 v[4:5], 2, v[8:9]
	v_lshlrev_b32_e32 v37, 2, v6
	v_lshlrev_b64 v[6:7], 2, v[10:11]
	v_lshlrev_b64 v[8:9], 2, v[14:15]
	;; [unrolled: 1-line block ×3, first 2 shown]
	s_mov_b32 s19, 0x3f200000
	s_mov_b32 s24, 0x3fb8aa3b
	;; [unrolled: 1-line block ×4, first 2 shown]
	v_mov_b32_e32 v38, 0xbd5c1c4e
	v_mov_b32_e32 v39, 0x3e088382
	;; [unrolled: 1-line block ×3, first 2 shown]
	s_brev_b32 s27, -2
	v_mbcnt_hi_u32_b32 v3, -1, v12
	v_lshlrev_b64 v[12:13], 2, v[18:19]
	v_lshlrev_b64 v[14:15], 2, v[20:21]
	;; [unrolled: 1-line block ×4, first 2 shown]
	v_mov_b32_e32 v41, 0x7f800000
	v_mov_b32_e32 v43, 0
	;; [unrolled: 1-line block ×3, first 2 shown]
.LBB83_9:                               ; =>This Inner Loop Header: Depth=1
	s_mul_hi_i32 s9, s6, s18
	s_mul_i32 s8, s6, s18
	s_lshl_b64 s[8:9], s[8:9], 2
	s_add_u32 s8, s10, s8
	s_addc_u32 s9, s11, s9
	v_mov_b32_e32 v20, s9
	v_add_co_u32_e32 v21, vcc, s8, v4
	v_addc_co_u32_e32 v46, vcc, v20, v5, vcc
	v_add_co_u32_e32 v20, vcc, v21, v37
	v_addc_co_u32_e32 v21, vcc, 0, v46, vcc
	v_mov_b32_e32 v46, s9
	v_add_co_u32_e32 v47, vcc, s8, v6
	v_addc_co_u32_e32 v46, vcc, v46, v7, vcc
	v_add_co_u32_e32 v54, vcc, v47, v37
	v_addc_co_u32_e32 v55, vcc, 0, v46, vcc
	global_load_dwordx4 v[46:49], v[20:21], off
	global_load_dwordx4 v[50:53], v[54:55], off
	v_mov_b32_e32 v20, s9
	v_add_co_u32_e32 v21, vcc, s8, v8
	v_addc_co_u32_e32 v54, vcc, v20, v9, vcc
	v_add_co_u32_e32 v20, vcc, v21, v37
	v_addc_co_u32_e32 v21, vcc, 0, v54, vcc
	v_mov_b32_e32 v54, s9
	v_add_co_u32_e32 v55, vcc, s8, v10
	v_addc_co_u32_e32 v54, vcc, v54, v11, vcc
	v_add_co_u32_e32 v62, vcc, v55, v37
	v_addc_co_u32_e32 v63, vcc, 0, v54, vcc
	global_load_dwordx4 v[54:57], v[20:21], off
	global_load_dwordx4 v[58:61], v[62:63], off
	s_waitcnt vmcnt(3)
	ds_write_b128 v24, v[46:49]
	s_waitcnt vmcnt(2)
	ds_write_b128 v25, v[50:53]
	;; [unrolled: 2-line block ×4, first 2 shown]
	s_waitcnt lgkmcnt(0)
	s_barrier
	ds_read_b128 v[48:51], v29
	ds_read_b128 v[52:55], v28
	v_mov_b32_e32 v46, 0
	ds_read_b128 v[56:59], v29 offset:8704
	s_waitcnt lgkmcnt(1)
	;;#ASMSTART
	v_dot2_f32_f16 v46, v48, v52, v46
	;;#ASMEND
	;;#ASMSTART
	v_dot2_f32_f16 v46, v49, v53, v46
	;;#ASMEND
	v_mov_b32_e32 v47, 0
	;;#ASMSTART
	v_dot2_f32_f16 v46, v50, v54, v46
	;;#ASMEND
	;;#ASMSTART
	v_dot2_f32_f16 v46, v51, v55, v46
	;;#ASMEND
	s_waitcnt lgkmcnt(0)
	;;#ASMSTART
	v_dot2_f32_f16 v47, v56, v52, v47
	;;#ASMEND
	;;#ASMSTART
	v_dot2_f32_f16 v47, v57, v53, v47
	;;#ASMEND
	;;#ASMSTART
	v_dot2_f32_f16 v47, v58, v54, v47
	;;#ASMEND
	;;#ASMSTART
	v_dot2_f32_f16 v47, v59, v55, v47
	;;#ASMEND
	ds_read_b128 v[48:51], v29 offset:16
	ds_read_b128 v[52:55], v28 offset:16
	ds_read_b128 v[56:59], v29 offset:8720
	s_waitcnt lgkmcnt(1)
	;;#ASMSTART
	v_dot2_f32_f16 v46, v48, v52, v46
	;;#ASMEND
	;;#ASMSTART
	v_dot2_f32_f16 v46, v49, v53, v46
	;;#ASMEND
	;;#ASMSTART
	v_dot2_f32_f16 v46, v50, v54, v46
	;;#ASMEND
	;;#ASMSTART
	v_dot2_f32_f16 v46, v51, v55, v46
	;;#ASMEND
	s_waitcnt lgkmcnt(0)
	;;#ASMSTART
	v_dot2_f32_f16 v47, v56, v52, v47
	;;#ASMEND
	;;#ASMSTART
	v_dot2_f32_f16 v47, v57, v53, v47
	;;#ASMEND
	;;#ASMSTART
	v_dot2_f32_f16 v47, v58, v54, v47
	;;#ASMEND
	;;#ASMSTART
	v_dot2_f32_f16 v47, v59, v55, v47
	;;#ASMEND
	ds_read_b128 v[48:51], v29 offset:32
	ds_read_b128 v[52:55], v28 offset:32
	ds_read_b128 v[56:59], v29 offset:8736
	s_waitcnt lgkmcnt(1)
	;;#ASMSTART
	v_dot2_f32_f16 v46, v48, v52, v46
	;;#ASMEND
	;;#ASMSTART
	v_dot2_f32_f16 v46, v49, v53, v46
	;;#ASMEND
	;; [unrolled: 29-line block ×15, first 2 shown]
	;;#ASMSTART
	v_dot2_f32_f16 v46, v50, v54, v46
	;;#ASMEND
	;;#ASMSTART
	v_dot2_f32_f16 v46, v51, v55, v46
	;;#ASMEND
	s_waitcnt lgkmcnt(0)
	;;#ASMSTART
	v_dot2_f32_f16 v47, v56, v52, v47
	;;#ASMEND
	;;#ASMSTART
	v_dot2_f32_f16 v47, v57, v53, v47
	;;#ASMEND
	;; [unrolled: 3-line block ×3, first 2 shown]
	v_cmp_nlt_f32_e64 s[8:9], |v46|, s19
	;;#ASMSTART
	v_dot2_f32_f16 v47, v59, v55, v47
	;;#ASMEND
                                        ; implicit-def: $vgpr49
	s_and_saveexec_b64 s[34:35], s[8:9]
	s_xor_b64 s[8:9], exec, s[34:35]
	s_cbranch_execz .LBB83_11
; %bb.10:                               ;   in Loop: Header=BB83_9 Depth=1
	v_add_f32_e64 v20, |v46|, |v46|
	v_mul_f32_e32 v21, 0x3fb8aa3b, v20
	v_rndne_f32_e32 v48, v21
	v_sub_f32_e32 v49, v21, v48
	v_fma_f32 v21, v20, s24, -v21
	v_fmac_f32_e32 v21, 0x32a5705f, v20
	v_add_f32_e32 v21, v49, v21
	v_cvt_i32_f32_e32 v48, v48
	v_exp_f32_e32 v21, v21
	v_cmp_ngt_f32_e32 vcc, s25, v20
	v_ldexp_f32 v21, v21, v48
	v_cndmask_b32_e32 v21, 0, v21, vcc
	v_cmp_nlt_f32_e32 vcc, s26, v20
	v_cndmask_b32_e32 v20, v41, v21, vcc
	v_add_f32_e32 v20, 1.0, v20
	v_rcp_f32_e32 v20, v20
	v_fma_f32 v49, v20, -2.0, 1.0
.LBB83_11:                              ;   in Loop: Header=BB83_9 Depth=1
	s_andn2_saveexec_b64 s[8:9], s[8:9]
; %bb.12:                               ;   in Loop: Header=BB83_9 Depth=1
	v_mul_f32_e32 v20, v46, v46
	v_mov_b32_e32 v21, 0x3ca908c9
	v_fmac_f32_e32 v21, 0xbbbac73d, v20
	v_fma_f32 v21, v20, v21, v38
	v_fma_f32 v21, v20, v21, v39
	;; [unrolled: 1-line block ×3, first 2 shown]
	v_mul_f32_e64 v21, |v46|, v21
	v_fma_f32 v49, v20, v21, |v46|
; %bb.13:                               ;   in Loop: Header=BB83_9 Depth=1
	s_or_b64 exec, exec, s[8:9]
	v_add_u32_e32 v20, s6, v2
	v_ashrrev_i32_e32 v21, 31, v20
	v_lshlrev_b64 v[20:21], 1, v[20:21]
	v_mov_b32_e32 v48, s31
	v_add_co_u32_e32 v20, vcc, s30, v20
	v_addc_co_u32_e32 v21, vcc, v48, v21, vcc
	flat_load_ushort v48, v[20:21]
	v_cmp_nlt_f32_e64 s[8:9], |v47|, s19
                                        ; implicit-def: $vgpr50
	s_and_saveexec_b64 s[34:35], s[8:9]
	s_xor_b64 s[8:9], exec, s[34:35]
	s_cbranch_execz .LBB83_15
; %bb.14:                               ;   in Loop: Header=BB83_9 Depth=1
	v_add_f32_e64 v50, |v47|, |v47|
	v_mul_f32_e32 v51, 0x3fb8aa3b, v50
	v_rndne_f32_e32 v52, v51
	v_sub_f32_e32 v53, v51, v52
	v_fma_f32 v51, v50, s24, -v51
	v_fmac_f32_e32 v51, 0x32a5705f, v50
	v_add_f32_e32 v51, v53, v51
	v_cvt_i32_f32_e32 v52, v52
	v_exp_f32_e32 v51, v51
	v_cmp_ngt_f32_e32 vcc, s25, v50
	v_ldexp_f32 v51, v51, v52
	v_cndmask_b32_e32 v51, 0, v51, vcc
	v_cmp_nlt_f32_e32 vcc, s26, v50
	v_cndmask_b32_e32 v50, v41, v51, vcc
	v_add_f32_e32 v50, 1.0, v50
	v_rcp_f32_e32 v50, v50
	v_fma_f32 v50, v50, -2.0, 1.0
.LBB83_15:                              ;   in Loop: Header=BB83_9 Depth=1
	s_andn2_saveexec_b64 s[8:9], s[8:9]
; %bb.16:                               ;   in Loop: Header=BB83_9 Depth=1
	v_mul_f32_e32 v50, v47, v47
	v_mov_b32_e32 v51, 0x3ca908c9
	v_fmac_f32_e32 v51, 0xbbbac73d, v50
	v_fma_f32 v51, v50, v51, v38
	v_fma_f32 v51, v50, v51, v39
	;; [unrolled: 1-line block ×3, first 2 shown]
	v_mul_f32_e64 v51, |v47|, v51
	v_fma_f32 v50, v50, v51, |v47|
; %bb.17:                               ;   in Loop: Header=BB83_9 Depth=1
	s_or_b64 exec, exec, s[8:9]
	flat_load_ushort v20, v[20:21] offset:64
	v_bfi_b32 v52, s27, v50, v47
	v_and_b32_e32 v47, 0x60, v3
	s_mul_hi_i32 s9, s6, s15
	s_mul_i32 s8, s6, s15
	v_xor_b32_e32 v21, 16, v3
	v_add_u32_e32 v47, 32, v47
	s_lshl_b64 s[8:9], s[8:9], 2
	v_bfi_b32 v49, s27, v49, v46
	v_xor_b32_e32 v46, 8, v3
	v_cmp_lt_i32_e32 vcc, v21, v47
	s_add_u32 s8, s12, s8
	s_waitcnt vmcnt(0) lgkmcnt(0)
	v_fma_mix_f32 v72, v49, s14, v48 op_sel_hi:[0,0,1]
	v_cndmask_b32_e32 v48, v3, v21, vcc
	v_cmp_lt_i32_e32 vcc, v46, v47
	s_addc_u32 s9, s13, s9
	v_cndmask_b32_e32 v49, v3, v46, vcc
	v_lshlrev_b32_e32 v54, 2, v48
	v_mov_b32_e32 v48, s9
	v_add_co_u32_e32 v55, vcc, s8, v12
	v_addc_co_u32_e32 v56, vcc, v48, v13, vcc
	v_lshlrev_b32_e32 v73, 2, v49
	v_mov_b32_e32 v49, s9
	v_add_co_u32_e32 v57, vcc, s8, v14
	v_addc_co_u32_e32 v58, vcc, v49, v15, vcc
	v_mov_b32_e32 v50, s9
	v_add_co_u32_e32 v59, vcc, s8, v16
	v_addc_co_u32_e32 v60, vcc, v50, v17, vcc
	;; [unrolled: 3-line block ×3, first 2 shown]
	v_add_co_u32_e32 v48, vcc, v55, v37
	v_addc_co_u32_e32 v49, vcc, 0, v56, vcc
	v_add_co_u32_e32 v50, vcc, v57, v37
	v_addc_co_u32_e32 v51, vcc, 0, v58, vcc
	v_add_co_u32_e32 v68, vcc, v59, v37
	v_add_f32_e32 v53, 0x40051340, v72
	v_addc_co_u32_e32 v69, vcc, 0, v60, vcc
	v_add_co_u32_e32 v70, vcc, v61, v37
	s_barrier
	v_addc_co_u32_e32 v71, vcc, 0, v62, vcc
	v_fma_mix_f32 v74, v52, s14, v20 op_sel_hi:[0,0,1]
	v_add_f32_e32 v20, 0x40051340, v74
	v_max3_f32 v20, v45, v53, v20
	ds_bpermute_b32 v75, v54, v20
	global_load_dwordx4 v[52:55], v[48:49], off
	global_load_dwordx4 v[56:59], v[50:51], off
	;; [unrolled: 1-line block ×4, first 2 shown]
	s_waitcnt lgkmcnt(0)
	v_max_f32_e32 v48, v75, v75
	v_max_f32_e32 v20, v20, v48
	ds_bpermute_b32 v49, v73, v20
	v_xor_b32_e32 v48, 4, v3
	v_cmp_lt_i32_e32 vcc, v48, v47
	v_cndmask_b32_e32 v50, v3, v48, vcc
	v_lshlrev_b32_e32 v50, 2, v50
	s_waitcnt lgkmcnt(0)
	v_max_f32_e32 v49, v49, v49
	v_max_f32_e32 v20, v20, v49
	ds_bpermute_b32 v50, v50, v20
	v_xor_b32_e32 v49, 2, v3
	v_cmp_lt_i32_e32 vcc, v49, v47
	v_cndmask_b32_e32 v51, v3, v49, vcc
	v_lshlrev_b32_e32 v51, 2, v51
	;; [unrolled: 8-line block ×3, first 2 shown]
	s_waitcnt lgkmcnt(0)
	v_max_f32_e32 v51, v51, v51
	v_max_f32_e32 v20, v20, v51
	ds_bpermute_b32 v51, v68, v20
	s_waitcnt lgkmcnt(0)
	v_max_f32_e32 v51, v51, v51
	v_max_f32_e32 v20, v20, v51
	v_sub_f32_e32 v51, v72, v20
	v_sub_f32_e32 v68, v74, v20
	v_mul_f32_e32 v69, 0x3fb8aa3b, v51
	v_mul_f32_e32 v70, 0x3fb8aa3b, v68
	v_fma_f32 v72, v51, s24, -v69
	v_rndne_f32_e32 v73, v69
	v_fma_f32 v74, v68, s24, -v70
	v_rndne_f32_e32 v75, v70
	v_fmac_f32_e32 v72, 0x32a5705f, v51
	v_sub_f32_e32 v69, v69, v73
	v_fmac_f32_e32 v74, 0x32a5705f, v68
	v_sub_f32_e32 v70, v70, v75
	v_add_f32_e32 v69, v69, v72
	v_cvt_i32_f32_e32 v73, v73
	v_add_f32_e32 v70, v70, v74
	v_exp_f32_e32 v69, v69
	v_cvt_i32_f32_e32 v75, v75
	v_exp_f32_e32 v70, v70
	v_sub_f32_e32 v45, v45, v20
	v_mul_f32_e32 v71, 0x3fb8aa3b, v45
	v_fma_f32 v76, v45, s24, -v71
	v_rndne_f32_e32 v77, v71
	v_ldexp_f32 v69, v69, v73
	v_cmp_ngt_f32_e32 vcc, s25, v51
	v_fmac_f32_e32 v76, 0x32a5705f, v45
	v_sub_f32_e32 v71, v71, v77
	v_ldexp_f32 v70, v70, v75
	v_cndmask_b32_e32 v69, 0, v69, vcc
	v_cmp_ngt_f32_e32 vcc, s25, v68
	v_add_f32_e32 v71, v71, v76
	v_cndmask_b32_e32 v70, 0, v70, vcc
	v_cmp_nlt_f32_e32 vcc, s26, v51
	v_cvt_i32_f32_e32 v77, v77
	v_exp_f32_e32 v71, v71
	v_cndmask_b32_e32 v51, v41, v69, vcc
	v_cmp_nlt_f32_e32 vcc, s26, v68
	v_cndmask_b32_e32 v68, v41, v70, vcc
	v_cvt_f16_f32_e32 v69, v51
	v_add_f32_e32 v51, v51, v68
	v_cvt_f16_f32_e32 v68, v68
	v_ldexp_f32 v70, v71, v77
	v_cmp_ngt_f32_e32 vcc, s25, v45
	v_cndmask_b32_e32 v70, 0, v70, vcc
	v_cmp_nlt_f32_e32 vcc, s26, v45
	v_cndmask_b32_e32 v45, v41, v70, vcc
	ds_write_b16 v31, v69
	ds_write_b16 v31, v68 offset:64
	s_waitcnt vmcnt(3)
	ds_write_b128 v32, v[52:55]
	s_waitcnt vmcnt(2)
	ds_write_b128 v33, v[56:59]
	;; [unrolled: 2-line block ×4, first 2 shown]
	s_waitcnt lgkmcnt(0)
	s_barrier
	ds_read2_b64 v[52:55], v36 offset1:32
	ds_read_b128 v[56:59], v30
	v_fmac_f32_e32 v51, v44, v45
	v_cvt_f16_f32_e32 v44, v45
	ds_read_b128 v[60:63], v30 offset:16
	ds_read_b128 v[64:67], v30 offset:32
	;; [unrolled: 1-line block ×3, first 2 shown]
	ds_read2_b64 v[72:75], v36 offset0:64 offset1:96
	s_waitcnt lgkmcnt(4)
	v_pk_mul_f16 v45, v52, v56 op_sel_hi:[1,0]
	v_pk_fma_f16 v42, v42, v44, v45 op_sel_hi:[1,0,1]
	v_pk_mul_f16 v45, v53, v56 op_sel_hi:[1,0]
	v_pk_fma_f16 v43, v43, v44, v45 op_sel_hi:[1,0,1]
	v_pk_fma_f16 v42, v54, v56, v42 op_sel:[0,1,0]
	v_pk_fma_f16 v52, v55, v56, v43 op_sel:[0,1,0]
	s_waitcnt lgkmcnt(0)
	v_pk_fma_f16 v53, v72, v57, v42 op_sel_hi:[1,0,1]
	ds_read2_b64 v[42:45], v36 offset0:128 offset1:160
	v_pk_fma_f16 v52, v73, v57, v52 op_sel_hi:[1,0,1]
	v_pk_fma_f16 v56, v74, v57, v53 op_sel:[0,1,0]
	v_pk_fma_f16 v57, v75, v57, v52 op_sel:[0,1,0]
	ds_read2_b64 v[52:55], v36 offset0:192 offset1:224
	s_waitcnt lgkmcnt(1)
	v_pk_fma_f16 v42, v42, v58, v56 op_sel_hi:[1,0,1]
	v_pk_fma_f16 v43, v43, v58, v57 op_sel_hi:[1,0,1]
	v_pk_fma_f16 v42, v44, v58, v42 op_sel:[0,1,0]
	v_add_u32_e32 v57, 0x800, v36
	v_pk_fma_f16 v56, v45, v58, v43 op_sel:[0,1,0]
	s_waitcnt lgkmcnt(0)
	v_pk_fma_f16 v52, v52, v59, v42 op_sel_hi:[1,0,1]
	ds_read2_b64 v[42:45], v57 offset1:32
	v_pk_fma_f16 v53, v53, v59, v56 op_sel_hi:[1,0,1]
	v_pk_fma_f16 v56, v54, v59, v52 op_sel:[0,1,0]
	v_pk_fma_f16 v58, v55, v59, v53 op_sel:[0,1,0]
	ds_read2_b64 v[52:55], v57 offset0:64 offset1:96
	s_waitcnt lgkmcnt(1)
	v_pk_fma_f16 v42, v42, v60, v56 op_sel_hi:[1,0,1]
	v_pk_fma_f16 v43, v43, v60, v58 op_sel_hi:[1,0,1]
	v_pk_fma_f16 v42, v44, v60, v42 op_sel:[0,1,0]
	v_pk_fma_f16 v56, v45, v60, v43 op_sel:[0,1,0]
	s_waitcnt lgkmcnt(0)
	v_pk_fma_f16 v52, v52, v61, v42 op_sel_hi:[1,0,1]
	ds_read2_b64 v[42:45], v57 offset0:128 offset1:160
	v_pk_fma_f16 v53, v53, v61, v56 op_sel_hi:[1,0,1]
	v_pk_fma_f16 v56, v54, v61, v52 op_sel:[0,1,0]
	v_pk_fma_f16 v58, v55, v61, v53 op_sel:[0,1,0]
	ds_read2_b64 v[52:55], v57 offset0:192 offset1:224
	s_waitcnt lgkmcnt(1)
	v_pk_fma_f16 v42, v42, v62, v56 op_sel_hi:[1,0,1]
	v_pk_fma_f16 v43, v43, v62, v58 op_sel_hi:[1,0,1]
	v_pk_fma_f16 v42, v44, v62, v42 op_sel:[0,1,0]
	v_add_u32_e32 v57, 0x1000, v36
	v_pk_fma_f16 v56, v45, v62, v43 op_sel:[0,1,0]
	s_waitcnt lgkmcnt(0)
	v_pk_fma_f16 v52, v52, v63, v42 op_sel_hi:[1,0,1]
	ds_read2_b64 v[42:45], v57 offset1:32
	v_pk_fma_f16 v53, v53, v63, v56 op_sel_hi:[1,0,1]
	v_pk_fma_f16 v56, v54, v63, v52 op_sel:[0,1,0]
	v_pk_fma_f16 v58, v55, v63, v53 op_sel:[0,1,0]
	ds_read2_b64 v[52:55], v57 offset0:64 offset1:96
	s_waitcnt lgkmcnt(1)
	v_pk_fma_f16 v42, v42, v64, v56 op_sel_hi:[1,0,1]
	;; [unrolled: 25-line block ×3, first 2 shown]
	v_pk_fma_f16 v43, v43, v68, v58 op_sel_hi:[1,0,1]
	v_pk_fma_f16 v42, v44, v68, v42 op_sel:[0,1,0]
	v_pk_fma_f16 v56, v45, v68, v43 op_sel:[0,1,0]
	s_waitcnt lgkmcnt(0)
	v_pk_fma_f16 v52, v52, v69, v42 op_sel_hi:[1,0,1]
	ds_read2_b64 v[42:45], v57 offset0:128 offset1:160
	v_pk_fma_f16 v53, v53, v69, v56 op_sel_hi:[1,0,1]
	v_pk_fma_f16 v56, v54, v69, v52 op_sel:[0,1,0]
	v_pk_fma_f16 v58, v55, v69, v53 op_sel:[0,1,0]
	ds_read2_b64 v[52:55], v57 offset0:192 offset1:224
	s_waitcnt lgkmcnt(1)
	v_pk_fma_f16 v42, v42, v70, v56 op_sel_hi:[1,0,1]
	v_pk_fma_f16 v43, v43, v70, v58 op_sel_hi:[1,0,1]
	v_pk_fma_f16 v42, v44, v70, v42 op_sel:[0,1,0]
	v_pk_fma_f16 v43, v45, v70, v43 op_sel:[0,1,0]
	v_add_u32_e32 v64, 0x2000, v36
	s_waitcnt lgkmcnt(0)
	v_pk_fma_f16 v52, v52, v71, v42 op_sel_hi:[1,0,1]
	v_pk_fma_f16 v53, v53, v71, v43 op_sel_hi:[1,0,1]
	ds_read2_b64 v[42:45], v64 offset1:32
	ds_read_b128 v[56:59], v30 offset:64
	v_pk_fma_f16 v65, v54, v71, v52 op_sel:[0,1,0]
	v_pk_fma_f16 v66, v55, v71, v53 op_sel:[0,1,0]
	ds_read2_b64 v[52:55], v64 offset0:64 offset1:96
	ds_read_b128 v[60:63], v30 offset:80
	s_waitcnt lgkmcnt(2)
	v_pk_fma_f16 v42, v42, v56, v65 op_sel_hi:[1,0,1]
	v_pk_fma_f16 v43, v43, v56, v66 op_sel_hi:[1,0,1]
	v_pk_fma_f16 v42, v44, v56, v42 op_sel:[0,1,0]
	v_pk_fma_f16 v56, v45, v56, v43 op_sel:[0,1,0]
	s_waitcnt lgkmcnt(1)
	v_pk_fma_f16 v52, v52, v57, v42 op_sel_hi:[1,0,1]
	ds_read2_b64 v[42:45], v64 offset0:128 offset1:160
	v_pk_fma_f16 v53, v53, v57, v56 op_sel_hi:[1,0,1]
	v_pk_fma_f16 v56, v54, v57, v52 op_sel:[0,1,0]
	v_pk_fma_f16 v57, v55, v57, v53 op_sel:[0,1,0]
	ds_read2_b64 v[52:55], v64 offset0:192 offset1:224
	s_waitcnt lgkmcnt(1)
	v_pk_fma_f16 v42, v42, v58, v56 op_sel_hi:[1,0,1]
	v_pk_fma_f16 v43, v43, v58, v57 op_sel_hi:[1,0,1]
	v_pk_fma_f16 v42, v44, v58, v42 op_sel:[0,1,0]
	v_add_u32_e32 v57, 0x2800, v36
	v_pk_fma_f16 v56, v45, v58, v43 op_sel:[0,1,0]
	s_waitcnt lgkmcnt(0)
	v_pk_fma_f16 v52, v52, v59, v42 op_sel_hi:[1,0,1]
	ds_read2_b64 v[42:45], v57 offset1:32
	v_pk_fma_f16 v53, v53, v59, v56 op_sel_hi:[1,0,1]
	v_pk_fma_f16 v56, v54, v59, v52 op_sel:[0,1,0]
	v_pk_fma_f16 v58, v55, v59, v53 op_sel:[0,1,0]
	ds_read2_b64 v[52:55], v57 offset0:64 offset1:96
	s_waitcnt lgkmcnt(1)
	v_pk_fma_f16 v42, v42, v60, v56 op_sel_hi:[1,0,1]
	v_pk_fma_f16 v43, v43, v60, v58 op_sel_hi:[1,0,1]
	v_pk_fma_f16 v42, v44, v60, v42 op_sel:[0,1,0]
	v_pk_fma_f16 v56, v45, v60, v43 op_sel:[0,1,0]
	s_waitcnt lgkmcnt(0)
	v_pk_fma_f16 v52, v52, v61, v42 op_sel_hi:[1,0,1]
	ds_read2_b64 v[42:45], v57 offset0:128 offset1:160
	v_pk_fma_f16 v53, v53, v61, v56 op_sel_hi:[1,0,1]
	v_pk_fma_f16 v56, v54, v61, v52 op_sel:[0,1,0]
	v_pk_fma_f16 v58, v55, v61, v53 op_sel:[0,1,0]
	ds_read2_b64 v[52:55], v57 offset0:192 offset1:224
	s_waitcnt lgkmcnt(1)
	v_pk_fma_f16 v42, v42, v62, v56 op_sel_hi:[1,0,1]
	v_pk_fma_f16 v43, v43, v62, v58 op_sel_hi:[1,0,1]
	v_pk_fma_f16 v42, v44, v62, v42 op_sel:[0,1,0]
	v_add_u32_e32 v64, 0x3000, v36
	v_pk_fma_f16 v60, v45, v62, v43 op_sel:[0,1,0]
	s_waitcnt lgkmcnt(0)
	v_pk_fma_f16 v52, v52, v63, v42 op_sel_hi:[1,0,1]
	ds_read2_b64 v[42:45], v64 offset1:32
	ds_read_b128 v[56:59], v30 offset:96
	v_pk_fma_f16 v53, v53, v63, v60 op_sel_hi:[1,0,1]
	v_pk_fma_f16 v60, v54, v63, v52 op_sel:[0,1,0]
	v_pk_fma_f16 v65, v55, v63, v53 op_sel:[0,1,0]
	ds_read_b128 v[52:55], v30 offset:112
	s_waitcnt lgkmcnt(1)
	v_pk_fma_f16 v42, v42, v56, v60 op_sel_hi:[1,0,1]
	ds_read2_b64 v[60:63], v64 offset0:64 offset1:96
	v_pk_fma_f16 v43, v43, v56, v65 op_sel_hi:[1,0,1]
	v_pk_fma_f16 v65, v44, v56, v42 op_sel:[0,1,0]
	v_pk_fma_f16 v56, v45, v56, v43 op_sel:[0,1,0]
	ds_read2_b64 v[42:45], v64 offset0:128 offset1:160
	s_waitcnt lgkmcnt(1)
	v_pk_fma_f16 v60, v60, v57, v65 op_sel_hi:[1,0,1]
	v_pk_fma_f16 v56, v61, v57, v56 op_sel_hi:[1,0,1]
	v_pk_fma_f16 v60, v62, v57, v60 op_sel:[0,1,0]
	v_pk_fma_f16 v56, v63, v57, v56 op_sel:[0,1,0]
	s_waitcnt lgkmcnt(0)
	v_pk_fma_f16 v42, v42, v58, v60 op_sel_hi:[1,0,1]
	ds_read2_b64 v[60:63], v64 offset0:192 offset1:224
	v_pk_fma_f16 v43, v43, v58, v56 op_sel_hi:[1,0,1]
	v_add_u32_e32 v64, 0x3800, v36
	v_pk_fma_f16 v56, v44, v58, v42 op_sel:[0,1,0]
	v_pk_fma_f16 v57, v45, v58, v43 op_sel:[0,1,0]
	ds_read2_b64 v[42:45], v64 offset1:32
	s_waitcnt lgkmcnt(1)
	v_pk_fma_f16 v56, v60, v59, v56 op_sel_hi:[1,0,1]
	v_pk_fma_f16 v57, v61, v59, v57 op_sel_hi:[1,0,1]
	v_pk_fma_f16 v56, v62, v59, v56 op_sel:[0,1,0]
	v_pk_fma_f16 v60, v63, v59, v57 op_sel:[0,1,0]
	s_waitcnt lgkmcnt(0)
	v_pk_fma_f16 v42, v42, v52, v56 op_sel_hi:[1,0,1]
	ds_read2_b64 v[56:59], v64 offset0:64 offset1:96
	v_pk_fma_f16 v43, v43, v52, v60 op_sel_hi:[1,0,1]
	v_pk_fma_f16 v60, v44, v52, v42 op_sel:[0,1,0]
	v_pk_fma_f16 v52, v45, v52, v43 op_sel:[0,1,0]
	ds_read2_b64 v[42:45], v64 offset0:128 offset1:160
	s_waitcnt lgkmcnt(1)
	v_pk_fma_f16 v56, v56, v53, v60 op_sel_hi:[1,0,1]
	v_pk_fma_f16 v52, v57, v53, v52 op_sel_hi:[1,0,1]
	v_pk_fma_f16 v56, v58, v53, v56 op_sel:[0,1,0]
	v_pk_fma_f16 v52, v59, v53, v52 op_sel:[0,1,0]
	s_waitcnt lgkmcnt(0)
	v_pk_fma_f16 v42, v42, v54, v56 op_sel_hi:[1,0,1]
	ds_read2_b64 v[56:59], v64 offset0:192 offset1:224
	s_waitcnt lgkmcnt(0)
	s_barrier
	s_load_dword s8, s[0:1], 0x4
	v_pk_fma_f16 v43, v43, v54, v52 op_sel_hi:[1,0,1]
	v_pk_fma_f16 v42, v44, v54, v42 op_sel:[0,1,0]
	v_pk_fma_f16 v43, v45, v54, v43 op_sel:[0,1,0]
	v_pk_fma_f16 v42, v56, v55, v42 op_sel_hi:[1,0,1]
	s_waitcnt lgkmcnt(0)
	s_lshl_b32 s8, s8, 6
	v_pk_fma_f16 v43, v57, v55, v43 op_sel_hi:[1,0,1]
	s_add_i32 s6, s8, s6
	v_pk_fma_f16 v42, v58, v55, v42 op_sel:[0,1,0]
	s_cmp_lt_i32 s6, s28
	v_pk_fma_f16 v43, v59, v55, v43 op_sel:[0,1,0]
	s_cbranch_scc0 .LBB83_19
; %bb.18:                               ;   in Loop: Header=BB83_9 Depth=1
	v_mov_b32_e32 v45, v20
	v_mov_b32_e32 v44, v51
	s_branch .LBB83_9
.LBB83_19:
	v_cmp_lt_i32_e32 vcc, v21, v47
	v_cndmask_b32_e32 v2, v3, v21, vcc
	v_lshlrev_b32_e32 v2, 2, v2
	ds_bpermute_b32 v2, v2, v51
	v_cmp_lt_i32_e32 vcc, v46, v47
	v_cndmask_b32_e32 v4, v3, v46, vcc
	v_lshlrev_b32_e32 v4, 2, v4
	v_cmp_lt_i32_e32 vcc, v48, v47
	s_waitcnt lgkmcnt(0)
	v_add_f32_e32 v2, v51, v2
	ds_bpermute_b32 v4, v4, v2
	v_cndmask_b32_e32 v5, v3, v48, vcc
	v_lshlrev_b32_e32 v5, 2, v5
	v_cmp_lt_i32_e32 vcc, v49, v47
	s_cmp_eq_u64 s[16:17], 0
	s_waitcnt lgkmcnt(0)
	v_add_f32_e32 v2, v2, v4
	ds_bpermute_b32 v4, v5, v2
	v_cndmask_b32_e32 v5, v3, v49, vcc
	v_lshlrev_b32_e32 v5, 2, v5
	v_cmp_lt_i32_e32 vcc, v50, v47
	v_cndmask_b32_e32 v3, v3, v50, vcc
	s_waitcnt lgkmcnt(0)
	v_add_f32_e32 v2, v2, v4
	ds_bpermute_b32 v4, v5, v2
	v_lshlrev_b32_e32 v3, 2, v3
	s_cselect_b64 s[0:1], -1, 0
	s_cmp_lg_u32 s7, 0
	s_cselect_b64 s[8:9], -1, 0
	s_waitcnt lgkmcnt(0)
	v_add_f32_e32 v2, v2, v4
	ds_bpermute_b32 v3, v3, v2
	s_or_b64 s[0:1], s[8:9], s[0:1]
	s_and_b64 vcc, exec, s[0:1]
	s_waitcnt lgkmcnt(0)
	v_add_f32_e32 v21, v2, v3
	s_cbranch_vccnz .LBB83_22
; %bb.20:
	v_add_u32_e32 v2, s29, v1
	v_ashrrev_i32_e32 v3, 31, v2
	v_lshlrev_b64 v[2:3], 2, v[2:3]
	v_mov_b32_e32 v4, s17
	v_add_co_u32_e32 v2, vcc, s16, v2
	v_addc_co_u32_e32 v3, vcc, v4, v3, vcc
	global_load_dword v3, v[2:3], off
	v_max_f32_e32 v2, v20, v20
	s_mov_b32 s0, 0x3fb8aa3b
	s_mov_b32 s1, 0xc2ce8ed0
	s_waitcnt vmcnt(0)
	v_max_f32_e32 v4, v3, v3
	v_max_f32_e32 v2, v2, v4
	v_sub_f32_e32 v4, v20, v2
	v_sub_f32_e32 v3, v3, v2
	v_mul_f32_e32 v5, 0x3fb8aa3b, v4
	v_mul_f32_e32 v6, 0x3fb8aa3b, v3
	v_fma_f32 v7, v4, s0, -v5
	v_rndne_f32_e32 v8, v5
	v_fma_f32 v9, v3, s0, -v6
	v_rndne_f32_e32 v10, v6
	v_fmac_f32_e32 v7, 0x32a5705f, v4
	v_sub_f32_e32 v5, v5, v8
	v_fmac_f32_e32 v9, 0x32a5705f, v3
	v_sub_f32_e32 v6, v6, v10
	v_add_f32_e32 v5, v5, v7
	v_cvt_i32_f32_e32 v8, v8
	v_add_f32_e32 v6, v6, v9
	v_exp_f32_e32 v5, v5
	v_cvt_i32_f32_e32 v10, v10
	v_exp_f32_e32 v6, v6
	v_cmp_ngt_f32_e32 vcc, s1, v4
	v_ldexp_f32 v5, v5, v8
	s_mov_b32 s0, 0x42b17218
	v_ldexp_f32 v6, v6, v10
	v_cndmask_b32_e32 v5, 0, v5, vcc
	v_cmp_ngt_f32_e32 vcc, s1, v3
	v_mov_b32_e32 v7, 0x7f800000
	v_cndmask_b32_e32 v6, 0, v6, vcc
	v_cmp_nlt_f32_e32 vcc, s0, v4
	v_cndmask_b32_e32 v4, v7, v5, vcc
	v_cvt_f16_f32_e32 v5, v4
	v_cmp_nlt_f32_e32 vcc, s0, v3
	v_cndmask_b32_e32 v3, v7, v6, vcc
	v_fmac_f32_e32 v3, v21, v4
	v_pk_mul_f16 v42, v5, v42 op_sel_hi:[0,1]
	v_pk_mul_f16 v43, v5, v43 op_sel_hi:[0,1]
	v_pk_mov_b32 v[20:21], v[2:3], v[2:3] op_sel:[0,1]
	v_cmp_gt_i32_e32 vcc, s2, v22
	s_and_saveexec_b64 s[0:1], vcc
	s_cbranch_execnz .LBB83_23
.LBB83_21:
	s_endpgm
.LBB83_22:
	v_mov_b32_e32 v3, v21
	v_cmp_gt_i32_e32 vcc, s2, v22
	s_and_saveexec_b64 s[0:1], vcc
	s_cbranch_execz .LBB83_21
.LBB83_23:
	v_div_scale_f32 v2, s[0:1], v3, v3, 1.0
	v_rcp_f32_e32 v4, v2
	s_load_dword s4, s[4:5], 0xd4
	s_mul_i32 s33, s33, s2
	v_cvt_f32_f16_sdwa v9, v42 dst_sel:DWORD dst_unused:UNUSED_PAD src0_sel:WORD_1
	v_fma_f32 v5, -v2, v4, 1.0
	v_fmac_f32_e32 v4, v5, v4
	v_div_scale_f32 v5, vcc, 1.0, v3, 1.0
	v_mul_f32_e32 v6, v5, v4
	v_fma_f32 v7, -v2, v6, v5
	v_fmac_f32_e32 v6, v7, v4
	v_fma_f32 v2, -v2, v6, v5
	s_waitcnt lgkmcnt(0)
	s_cmp_lg_u32 s4, 1
	v_div_fmas_f32 v2, v2, v4, v6
	v_div_fixup_f32 v2, v2, v3, 1.0
	s_cselect_b64 s[0:1], -1, 0
	v_cndmask_b32_e64 v6, v2, 1.0, s[0:1]
	v_add_u32_e32 v2, s33, v22
	v_mul_lo_u32 v2, v2, s3
	v_add3_u32 v1, s29, v1, v2
	v_mul_lo_u32 v1, s4, v1
	v_add_u32_e32 v2, s7, v1
	v_lshl_add_u32 v4, v2, 7, v23
	v_mov_b32_e32 v5, 0
	v_lshlrev_b64 v[4:5], 2, v[4:5]
	v_cvt_f32_f16_e32 v8, v42
	v_cvt_f32_f16_sdwa v11, v43 dst_sel:DWORD dst_unused:UNUSED_PAD src0_sel:WORD_1
	v_cvt_f32_f16_e32 v10, v43
	v_mov_b32_e32 v1, s21
	v_add_co_u32_e32 v12, vcc, s20, v4
	v_addc_co_u32_e32 v13, vcc, v1, v5, vcc
	v_cmp_eq_u32_e32 vcc, 0, v0
	v_pk_mul_f32 v[4:5], v[6:7], v[8:9] op_sel_hi:[0,1]
	v_pk_mul_f32 v[6:7], v[6:7], v[10:11] op_sel_hi:[0,1]
	s_and_b64 s[0:1], vcc, s[0:1]
	global_store_dwordx4 v[12:13], v[4:7], off
	s_and_b64 exec, exec, s[0:1]
	s_cbranch_execz .LBB83_21
; %bb.24:
	v_ashrrev_i32_e32 v3, 31, v2
	v_lshlrev_b64 v[0:1], 3, v[2:3]
	v_mov_b32_e32 v2, s23
	v_add_co_u32_e32 v0, vcc, s22, v0
	v_addc_co_u32_e32 v1, vcc, v2, v1, vcc
	global_store_dwordx2 v[0:1], v[20:21], off
	s_endpgm
	.section	.rodata,"a",@progbits
	.p2align	6, 0x0
	.amdhsa_kernel _ZL15flash_attn_tileILi128ELi128ELi4ELi2ELb1EEvPKcS1_S1_S1_S1_PKiPfP15HIP_vector_typeIfLj2EEffffjfiS5_IjLj3EEiiiiiiiiiiiliiliiiiil
		.amdhsa_group_segment_fixed_size 20480
		.amdhsa_private_segment_fixed_size 0
		.amdhsa_kernarg_size 464
		.amdhsa_user_sgpr_count 6
		.amdhsa_user_sgpr_private_segment_buffer 1
		.amdhsa_user_sgpr_dispatch_ptr 0
		.amdhsa_user_sgpr_queue_ptr 0
		.amdhsa_user_sgpr_kernarg_segment_ptr 1
		.amdhsa_user_sgpr_dispatch_id 0
		.amdhsa_user_sgpr_flat_scratch_init 0
		.amdhsa_user_sgpr_kernarg_preload_length 0
		.amdhsa_user_sgpr_kernarg_preload_offset 0
		.amdhsa_user_sgpr_private_segment_size 0
		.amdhsa_uses_dynamic_stack 0
		.amdhsa_system_sgpr_private_segment_wavefront_offset 0
		.amdhsa_system_sgpr_workgroup_id_x 1
		.amdhsa_system_sgpr_workgroup_id_y 1
		.amdhsa_system_sgpr_workgroup_id_z 1
		.amdhsa_system_sgpr_workgroup_info 0
		.amdhsa_system_vgpr_workitem_id 1
		.amdhsa_next_free_vgpr 78
		.amdhsa_next_free_sgpr 44
		.amdhsa_accum_offset 80
		.amdhsa_reserve_vcc 1
		.amdhsa_reserve_flat_scratch 0
		.amdhsa_float_round_mode_32 0
		.amdhsa_float_round_mode_16_64 0
		.amdhsa_float_denorm_mode_32 3
		.amdhsa_float_denorm_mode_16_64 3
		.amdhsa_dx10_clamp 1
		.amdhsa_ieee_mode 1
		.amdhsa_fp16_overflow 0
		.amdhsa_tg_split 0
		.amdhsa_exception_fp_ieee_invalid_op 0
		.amdhsa_exception_fp_denorm_src 0
		.amdhsa_exception_fp_ieee_div_zero 0
		.amdhsa_exception_fp_ieee_overflow 0
		.amdhsa_exception_fp_ieee_underflow 0
		.amdhsa_exception_fp_ieee_inexact 0
		.amdhsa_exception_int_div_zero 0
	.end_amdhsa_kernel
	.section	.text._ZL15flash_attn_tileILi128ELi128ELi4ELi2ELb1EEvPKcS1_S1_S1_S1_PKiPfP15HIP_vector_typeIfLj2EEffffjfiS5_IjLj3EEiiiiiiiiiiiliiliiiiil,"axG",@progbits,_ZL15flash_attn_tileILi128ELi128ELi4ELi2ELb1EEvPKcS1_S1_S1_S1_PKiPfP15HIP_vector_typeIfLj2EEffffjfiS5_IjLj3EEiiiiiiiiiiiliiliiiiil,comdat
.Lfunc_end83:
	.size	_ZL15flash_attn_tileILi128ELi128ELi4ELi2ELb1EEvPKcS1_S1_S1_S1_PKiPfP15HIP_vector_typeIfLj2EEffffjfiS5_IjLj3EEiiiiiiiiiiiliiliiiiil, .Lfunc_end83-_ZL15flash_attn_tileILi128ELi128ELi4ELi2ELb1EEvPKcS1_S1_S1_S1_PKiPfP15HIP_vector_typeIfLj2EEffffjfiS5_IjLj3EEiiiiiiiiiiiliiliiiiil
                                        ; -- End function
	.section	.AMDGPU.csdata,"",@progbits
; Kernel info:
; codeLenInByte = 6728
; NumSgprs: 48
; NumVgprs: 78
; NumAgprs: 0
; TotalNumVgprs: 78
; ScratchSize: 0
; MemoryBound: 0
; FloatMode: 240
; IeeeMode: 1
; LDSByteSize: 20480 bytes/workgroup (compile time only)
; SGPRBlocks: 5
; VGPRBlocks: 9
; NumSGPRsForWavesPerEU: 48
; NumVGPRsForWavesPerEU: 78
; AccumOffset: 80
; Occupancy: 3
; WaveLimiterHint : 1
; COMPUTE_PGM_RSRC2:SCRATCH_EN: 0
; COMPUTE_PGM_RSRC2:USER_SGPR: 6
; COMPUTE_PGM_RSRC2:TRAP_HANDLER: 0
; COMPUTE_PGM_RSRC2:TGID_X_EN: 1
; COMPUTE_PGM_RSRC2:TGID_Y_EN: 1
; COMPUTE_PGM_RSRC2:TGID_Z_EN: 1
; COMPUTE_PGM_RSRC2:TIDIG_COMP_CNT: 1
; COMPUTE_PGM_RSRC3_GFX90A:ACCUM_OFFSET: 19
; COMPUTE_PGM_RSRC3_GFX90A:TG_SPLIT: 0
	.section	.text._ZL15flash_attn_tileILi128ELi128ELi2ELi2ELb1EEvPKcS1_S1_S1_S1_PKiPfP15HIP_vector_typeIfLj2EEffffjfiS5_IjLj3EEiiiiiiiiiiiliiliiiiil,"axG",@progbits,_ZL15flash_attn_tileILi128ELi128ELi2ELi2ELb1EEvPKcS1_S1_S1_S1_PKiPfP15HIP_vector_typeIfLj2EEffffjfiS5_IjLj3EEiiiiiiiiiiiliiliiiiil,comdat
	.globl	_ZL15flash_attn_tileILi128ELi128ELi2ELi2ELb1EEvPKcS1_S1_S1_S1_PKiPfP15HIP_vector_typeIfLj2EEffffjfiS5_IjLj3EEiiiiiiiiiiiliiliiiiil ; -- Begin function _ZL15flash_attn_tileILi128ELi128ELi2ELi2ELb1EEvPKcS1_S1_S1_S1_PKiPfP15HIP_vector_typeIfLj2EEffffjfiS5_IjLj3EEiiiiiiiiiiiliiliiiiil
	.p2align	8
	.type	_ZL15flash_attn_tileILi128ELi128ELi2ELi2ELb1EEvPKcS1_S1_S1_S1_PKiPfP15HIP_vector_typeIfLj2EEffffjfiS5_IjLj3EEiiiiiiiiiiiliiliiiiil,@function
_ZL15flash_attn_tileILi128ELi128ELi2ELi2ELb1EEvPKcS1_S1_S1_S1_PKiPfP15HIP_vector_typeIfLj2EEffffjfiS5_IjLj3EEiiiiiiiiiiiliiliiiiil: ; @_ZL15flash_attn_tileILi128ELi128ELi2ELi2ELb1EEvPKcS1_S1_S1_S1_PKiPfP15HIP_vector_typeIfLj2EEffffjfiS5_IjLj3EEiiiiiiiiiiiliiliiiiil
; %bb.0:
	s_load_dwordx4 s[0:3], s[4:5], 0x5c
	s_load_dwordx2 s[28:29], s[4:5], 0x80
	s_load_dwordx2 s[34:35], s[4:5], 0xb8
	s_mov_b64 s[30:31], 0
	s_waitcnt lgkmcnt(0)
	s_lshr_b32 s9, s3, 31
	s_add_i32 s9, s3, s9
	s_ashr_i32 s9, s9, 1
	v_cvt_f32_u32_e32 v1, s9
	s_sub_i32 s10, 0, s9
	v_rcp_iflag_f32_e32 v1, v1
	v_mul_f32_e32 v1, 0x4f7ffffe, v1
	v_cvt_u32_f32_e32 v1, v1
	v_readfirstlane_b32 s11, v1
	s_mul_i32 s10, s10, s11
	s_mul_hi_u32 s10, s11, s10
	s_add_i32 s11, s11, s10
	s_mul_hi_u32 s10, s8, s11
	s_mul_i32 s11, s10, s9
	s_sub_i32 s11, s8, s11
	s_add_i32 s12, s10, 1
	s_sub_i32 s13, s11, s9
	s_cmp_ge_u32 s11, s9
	s_cselect_b32 s10, s12, s10
	s_cselect_b32 s11, s13, s11
	s_add_i32 s12, s10, 1
	s_cmp_ge_u32 s11, s9
	s_cselect_b32 s33, s12, s10
	s_abs_i32 s9, s29
	v_cvt_f32_u32_e32 v1, s9
	s_lshl_b32 s8, s8, 1
	s_mul_i32 s12, s33, s3
	s_xor_b32 s10, s3, s29
	v_rcp_iflag_f32_e32 v1, v1
	s_sub_i32 s13, 0, s9
	s_sub_i32 s29, s8, s12
	s_abs_i32 s11, s3
	v_mul_f32_e32 v1, 0x4f7ffffe, v1
	v_cvt_u32_f32_e32 v1, v1
	s_ashr_i32 s10, s10, 31
	v_readfirstlane_b32 s8, v1
	s_mul_i32 s13, s13, s8
	s_mul_hi_u32 s12, s8, s13
	s_add_i32 s8, s8, s12
	s_mul_hi_u32 s8, s11, s8
	s_mul_i32 s12, s8, s9
	s_sub_i32 s11, s11, s12
	s_add_i32 s13, s8, 1
	s_sub_i32 s12, s11, s9
	s_cmp_ge_u32 s11, s9
	s_cselect_b32 s8, s13, s8
	s_cselect_b32 s11, s12, s11
	s_add_i32 s12, s8, 1
	s_cmp_ge_u32 s11, s9
	s_cselect_b32 s8, s12, s8
	s_xor_b32 s8, s8, s10
	s_sub_i32 s37, s8, s10
	s_abs_i32 s36, s37
	v_cvt_f32_u32_e32 v1, s36
	s_load_dwordx16 s[8:23], s[4:5], 0x0
	v_rcp_iflag_f32_e32 v1, v1
	s_waitcnt lgkmcnt(0)
	s_cmp_eq_u64 s[14:15], 0
	v_mul_f32_e32 v1, 0x4f7ffffe, v1
	v_cvt_u32_f32_e32 v1, v1
	v_readfirstlane_b32 s24, v1
	s_cbranch_scc1 .LBB84_2
; %bb.1:
	s_abs_i32 s25, s34
	v_cvt_f32_u32_e32 v1, s25
	s_sub_i32 s34, 0, s25
	s_abs_i32 s31, s33
	s_ashr_i32 s30, s33, 31
	v_rcp_iflag_f32_e32 v1, v1
	s_load_dwordx2 s[26:27], s[4:5], 0xc8
	v_mul_f32_e32 v1, 0x4f7ffffe, v1
	v_cvt_u32_f32_e32 v1, v1
	v_readfirstlane_b32 s38, v1
	s_mul_i32 s34, s34, s38
	s_mul_hi_u32 s34, s38, s34
	s_add_i32 s38, s38, s34
	s_mul_hi_u32 s34, s31, s38
	s_mul_i32 s34, s34, s25
	s_sub_i32 s31, s31, s34
	s_sub_i32 s34, s31, s25
	s_cmp_ge_u32 s31, s25
	s_cselect_b32 s31, s34, s31
	s_sub_i32 s34, s31, s25
	s_cmp_ge_u32 s31, s25
	s_cselect_b32 s25, s34, s31
	s_xor_b32 s25, s25, s30
	s_sub_i32 s25, s25, s30
	s_ashr_i32 s30, s25, 31
	s_waitcnt lgkmcnt(0)
	s_mul_i32 s27, s25, s27
	s_mul_hi_u32 s31, s25, s26
	s_add_i32 s27, s31, s27
	s_mul_i32 s30, s30, s26
	s_add_i32 s27, s27, s30
	s_mul_i32 s25, s25, s26
	s_add_u32 s30, s14, s25
	s_addc_u32 s31, s15, s27
.LBB84_2:
	s_load_dwordx4 s[40:43], s[4:5], 0x70
	v_bfe_u32 v4, v0, 10, 10
	v_lshrrev_b32_e32 v2, 1, v4
	v_lshl_add_u32 v38, s6, 1, v2
	v_mul_hi_u32 v2, s0, v38
	s_waitcnt lgkmcnt(0)
	s_mul_i32 s14, s33, s42
	s_ashr_i32 s25, s14, 31
	s_mul_i32 s15, s29, s41
	s_add_u32 s8, s8, s14
	s_addc_u32 s9, s9, s25
	s_ashr_i32 s14, s15, 31
	s_add_u32 s8, s8, s15
	s_addc_u32 s9, s9, s14
	s_ashr_i32 s14, s41, 31
	v_mov_b32_e32 v3, s41
	v_add_u32_e32 v2, v38, v2
	v_and_b32_e32 v1, 1, v4
	v_alignbit_b32 v3, s14, v3, 2
	v_lshrrev_b32_e32 v2, s1, v2
	s_lshr_b32 s15, s14, 2
	v_mul_lo_u32 v6, v3, v1
	v_mul_lo_u32 v2, v2, s2
	s_ashr_i32 s14, s40, 31
	v_mov_b32_e32 v3, s40
	v_sub_u32_e32 v2, v38, v2
	v_alignbit_b32 v3, s14, v3, 2
	v_mad_u64_u32 v[8:9], s[0:1], v3, v2, 0
	v_mul_lo_u32 v7, s15, v1
	v_mov_b32_e32 v10, v9
	s_lshr_b32 s0, s14, 2
	v_mad_u64_u32 v[10:11], s[0:1], s0, v2, v[10:11]
	v_lshlrev_b64 v[6:7], 2, v[6:7]
	v_mov_b32_e32 v9, v10
	v_mov_b32_e32 v3, s9
	v_add_co_u32_e32 v5, vcc, s8, v6
	v_addc_co_u32_e32 v3, vcc, v3, v7, vcc
	v_lshlrev_b64 v[6:7], 2, v[8:9]
	v_and_b32_e32 v0, 0x3ff, v0
	v_add_co_u32_e32 v5, vcc, v5, v6
	v_addc_co_u32_e32 v3, vcc, v3, v7, vcc
	v_lshlrev_b32_e32 v6, 4, v0
	v_add_co_u32_e32 v6, vcc, v5, v6
	v_addc_co_u32_e32 v7, vcc, 0, v3, vcc
	global_load_dwordx4 v[6:9], v[6:7], off
	s_load_dword s0, s[4:5], 0x40
	v_lshlrev_b32_e32 v3, 6, v4
	v_lshlrev_b32_e32 v5, 1, v0
	v_add_lshl_u32 v3, v3, v5, 2
	s_cmp_eq_u64 s[18:19], 0
	s_waitcnt vmcnt(0) lgkmcnt(0)
	v_pk_mul_f32 v[6:7], v[6:7], s[0:1] op_sel_hi:[1,0]
	v_pk_mul_f32 v[8:9], v[8:9], s[0:1] op_sel_hi:[1,0]
	v_cvt_f16_f32_e32 v10, v7
	v_cvt_f16_f32_e32 v7, v9
	v_cvt_f16_f32_e32 v8, v8
	v_cvt_f16_f32_e32 v6, v6
	v_pack_b32_f16 v7, v8, v7
	v_pack_b32_f16 v6, v6, v10
	ds_write_b64 v3, v[6:7] offset:17408
	s_waitcnt lgkmcnt(0)
	s_barrier
	s_cbranch_scc1 .LBB84_4
; %bb.3:
	s_load_dword s0, s[4:5], 0xd0
	s_mov_b32 s1, 0
	s_waitcnt lgkmcnt(0)
	s_mul_i32 s0, s0, s33
	s_add_i32 s0, s0, s6
	s_lshl_b64 s[0:1], s[0:1], 2
	s_add_u32 s0, s18, s0
	s_addc_u32 s1, s19, s1
	s_load_dword s28, s[0:1], 0x0
.LBB84_4:
	s_lshl_b32 s6, s7, 6
	s_waitcnt lgkmcnt(0)
	s_cmp_lt_i32 s6, s28
	v_mbcnt_lo_u32_b32 v20, -1, 0
	s_cbranch_scc1 .LBB84_6
; %bb.5:
	v_mbcnt_hi_u32_b32 v3, -1, v20
	v_and_b32_e32 v5, 0x60, v3
	s_mov_b32 s8, 0
	v_add_u32_e32 v72, 32, v5
	v_xor_b32_e32 v37, 16, v3
	v_xor_b32_e32 v70, 8, v3
	;; [unrolled: 1-line block ×5, first 2 shown]
	s_mov_b64 s[0:1], 0
	s_mov_b32 s9, 0xfeffffff
	s_branch .LBB84_7
.LBB84_6:
	s_mov_b64 s[0:1], -1
                                        ; implicit-def: $sgpr9
                                        ; implicit-def: $sgpr8
                                        ; implicit-def: $vgpr3
                                        ; implicit-def: $vgpr72
                                        ; implicit-def: $vgpr37
                                        ; implicit-def: $vgpr70
                                        ; implicit-def: $vgpr71
                                        ; implicit-def: $vgpr73
                                        ; implicit-def: $vgpr74
.LBB84_7:
	v_lshlrev_b32_e32 v39, 2, v0
	s_andn2_b64 vcc, exec, s[0:1]
	v_mov_b32_e32 v36, s9
	v_mov_b32_e32 v75, s8
	;; [unrolled: 1-line block ×4, first 2 shown]
	s_cbranch_vccnz .LBB84_19
; %bb.8:
	s_sub_i32 s0, 0, s36
	s_mul_i32 s0, s0, s24
	s_mul_hi_u32 s0, s24, s0
	s_abs_i32 s19, s29
	s_add_i32 s24, s24, s0
	s_mul_hi_u32 s34, s19, s24
	s_load_dwordx4 s[24:27], s[4:5], 0x98
	s_load_dword s14, s[4:5], 0x54
	s_load_dwordx2 s[0:1], s[4:5], 0x8c
	s_ashr_i32 s38, s29, 31
	s_ashr_i32 s37, s37, 31
	s_waitcnt lgkmcnt(0)
	s_ashr_i32 s15, s26, 2
	s_ashr_i32 s26, s35, 1
	;; [unrolled: 1-line block ×4, first 2 shown]
	s_mul_i32 s25, s33, s25
	s_mul_hi_u32 s35, s33, s24
	s_add_i32 s25, s35, s25
	s_mul_i32 s35, s0, s24
	s_add_i32 s25, s25, s35
	s_mul_i32 s24, s33, s24
	s_add_u32 s10, s10, s24
	s_addc_u32 s11, s11, s25
	s_mul_i32 s25, s34, s36
	s_sub_i32 s19, s19, s25
	s_xor_b32 s24, s38, s37
	s_add_i32 s25, s34, 1
	s_sub_i32 s35, s19, s36
	s_cmp_ge_u32 s19, s36
	s_cselect_b32 s25, s25, s34
	s_cselect_b32 s19, s35, s19
	s_add_i32 s34, s25, 1
	s_cmp_ge_u32 s19, s36
	s_load_dwordx2 s[8:9], s[4:5], 0xa8
	s_cselect_b32 s19, s34, s25
	s_xor_b32 s19, s19, s24
	s_sub_i32 s19, s19, s24
	s_mul_i32 s1, s19, s1
	s_ashr_i32 s24, s1, 31
	s_add_u32 s10, s10, s1
	s_waitcnt lgkmcnt(0)
	s_mul_i32 s1, s33, s9
	s_mul_hi_u32 s9, s33, s8
	s_addc_u32 s11, s11, s24
	s_add_i32 s1, s9, s1
	s_mul_i32 s0, s0, s8
	s_add_i32 s1, s1, s0
	s_mul_i32 s0, s33, s8
	s_add_u32 s0, s12, s0
	s_mul_i32 s19, s19, s27
	s_addc_u32 s1, s13, s1
	s_ashr_i32 s8, s19, 31
	v_lshrrev_b32_e32 v3, 4, v0
	v_and_b32_e32 v6, 60, v39
	s_add_u32 s12, s0, s19
	v_lshl_add_u32 v5, v4, 1, v3
	v_lshlrev_b32_e32 v7, 2, v6
	s_movk_i32 s0, 0x110
	s_addc_u32 s13, s1, s8
	v_mad_u32_u24 v40, v5, s0, v7
	v_mul_lo_u32 v8, s18, v5
	s_lshl_b32 s0, s18, 3
	v_add_u32_e32 v10, s0, v8
	v_add_u32_e32 v12, s0, v10
	v_add_u32_e32 v14, s0, v12
	v_add_u32_e32 v16, s0, v14
	v_add_u32_e32 v18, s0, v16
	v_add_u32_e32 v22, s0, v18
	v_mov_b32_e32 v3, 0x4400
	v_add_u32_e32 v24, s0, v22
	v_lshl_add_u32 v48, v4, 8, v3
	v_mad_u64_u32 v[2:3], s[0:1], v2, s26, v[0:1]
	v_mul_lo_u32 v26, s15, v5
	s_lshl_b32 s0, s15, 3
	v_add_u32_e32 v28, s0, v26
	v_add_u32_e32 v30, s0, v28
	;; [unrolled: 1-line block ×6, first 2 shown]
	v_mov_b32_e32 v3, 0x4800
	v_add_u32_e32 v72, s0, v70
	v_ashrrev_i32_e32 v9, 31, v8
	v_ashrrev_i32_e32 v11, 31, v10
	;; [unrolled: 1-line block ×8, first 2 shown]
	v_lshl_add_u32 v50, v4, 7, v3
	v_lshl_or_b32 v52, v5, 8, v7
	v_ashrrev_i32_e32 v27, 31, v26
	v_ashrrev_i32_e32 v29, 31, v28
	;; [unrolled: 1-line block ×8, first 2 shown]
	s_add_u32 s0, s4, 0xd0
	v_mov_b32_e32 v66, 0
	v_add_u32_e32 v41, 0x880, v40
	v_add_u32_e32 v42, 0x1100, v40
	;; [unrolled: 1-line block ×7, first 2 shown]
	v_mul_u32_u24_e32 v49, 0x110, v0
	v_lshl_add_u32 v51, v0, 1, v50
	v_add_u32_e32 v53, 0x800, v52
	v_add_u32_e32 v54, 0x1000, v52
	v_add_u32_e32 v55, 0x1800, v52
	v_add_u32_e32 v56, 0x2000, v52
	v_add_u32_e32 v57, 0x2800, v52
	v_add_u32_e32 v58, 0x3000, v52
	v_add_u32_e32 v59, 0x3800, v52
	v_lshlrev_b32_e32 v60, 3, v0
	s_addc_u32 s1, s5, 0
	v_mov_b32_e32 v69, 0xfeffffff
	v_lshlrev_b64 v[4:5], 2, v[8:9]
	v_lshlrev_b32_e32 v61, 2, v6
	v_lshlrev_b64 v[6:7], 2, v[10:11]
	v_lshlrev_b64 v[8:9], 2, v[12:13]
	;; [unrolled: 1-line block ×7, first 2 shown]
	s_mov_b32 s19, 0x3f200000
	s_mov_b32 s24, 0x3fb8aa3b
	;; [unrolled: 1-line block ×4, first 2 shown]
	v_mov_b32_e32 v62, 0xbd5c1c4e
	v_mov_b32_e32 v63, 0x3e088382
	;; [unrolled: 1-line block ×3, first 2 shown]
	s_brev_b32 s27, -2
	v_mbcnt_hi_u32_b32 v3, -1, v20
	v_lshlrev_b64 v[20:21], 2, v[26:27]
	v_lshlrev_b64 v[22:23], 2, v[28:29]
	;; [unrolled: 1-line block ×8, first 2 shown]
	v_mov_b32_e32 v65, 0x7f800000
	v_mov_b32_e32 v67, 0
	v_mov_b32_e32 v68, 0
.LBB84_9:                               ; =>This Inner Loop Header: Depth=1
	s_mul_hi_i32 s9, s6, s18
	s_mul_i32 s8, s6, s18
	s_lshl_b64 s[8:9], s[8:9], 2
	s_add_u32 s8, s10, s8
	s_addc_u32 s9, s11, s9
	v_mov_b32_e32 v36, s9
	v_add_co_u32_e32 v37, vcc, s8, v4
	v_addc_co_u32_e32 v70, vcc, v36, v5, vcc
	v_add_co_u32_e32 v36, vcc, v37, v61
	v_addc_co_u32_e32 v37, vcc, 0, v70, vcc
	v_mov_b32_e32 v70, s9
	v_add_co_u32_e32 v71, vcc, s8, v6
	v_addc_co_u32_e32 v70, vcc, v70, v7, vcc
	v_add_co_u32_e32 v78, vcc, v71, v61
	v_addc_co_u32_e32 v79, vcc, 0, v70, vcc
	global_load_dwordx4 v[70:73], v[36:37], off
	global_load_dwordx4 v[74:77], v[78:79], off
	v_mov_b32_e32 v36, s9
	v_add_co_u32_e32 v37, vcc, s8, v8
	v_addc_co_u32_e32 v78, vcc, v36, v9, vcc
	v_add_co_u32_e32 v36, vcc, v37, v61
	v_addc_co_u32_e32 v37, vcc, 0, v78, vcc
	v_mov_b32_e32 v78, s9
	v_add_co_u32_e32 v79, vcc, s8, v10
	v_addc_co_u32_e32 v78, vcc, v78, v11, vcc
	v_add_co_u32_e32 v86, vcc, v79, v61
	v_addc_co_u32_e32 v87, vcc, 0, v78, vcc
	global_load_dwordx4 v[78:81], v[36:37], off
	global_load_dwordx4 v[82:85], v[86:87], off
	v_mov_b32_e32 v36, s9
	v_add_co_u32_e32 v37, vcc, s8, v12
	v_addc_co_u32_e32 v86, vcc, v36, v13, vcc
	v_add_co_u32_e32 v36, vcc, v37, v61
	v_addc_co_u32_e32 v37, vcc, 0, v86, vcc
	v_mov_b32_e32 v86, s9
	v_add_co_u32_e32 v87, vcc, s8, v14
	v_addc_co_u32_e32 v86, vcc, v86, v15, vcc
	v_add_co_u32_e32 v94, vcc, v87, v61
	v_addc_co_u32_e32 v95, vcc, 0, v86, vcc
	global_load_dwordx4 v[86:89], v[36:37], off
	global_load_dwordx4 v[90:93], v[94:95], off
	v_mov_b32_e32 v36, s9
	v_add_co_u32_e32 v37, vcc, s8, v16
	v_addc_co_u32_e32 v94, vcc, v36, v17, vcc
	v_add_co_u32_e32 v36, vcc, v37, v61
	v_addc_co_u32_e32 v37, vcc, 0, v94, vcc
	v_mov_b32_e32 v94, s9
	v_add_co_u32_e32 v95, vcc, s8, v18
	v_addc_co_u32_e32 v94, vcc, v94, v19, vcc
	v_add_co_u32_e32 v102, vcc, v95, v61
	v_addc_co_u32_e32 v103, vcc, 0, v94, vcc
	global_load_dwordx4 v[94:97], v[36:37], off
	global_load_dwordx4 v[98:101], v[102:103], off
	s_waitcnt vmcnt(7)
	ds_write_b128 v40, v[70:73]
	s_waitcnt vmcnt(6)
	ds_write_b128 v41, v[74:77]
	;; [unrolled: 2-line block ×8, first 2 shown]
	s_waitcnt lgkmcnt(0)
	s_barrier
	ds_read_b128 v[72:75], v49
	ds_read_b128 v[76:79], v48
	ds_read_b128 v[80:83], v49 offset:8704
	v_mov_b32_e32 v70, 0
	s_waitcnt lgkmcnt(1)
	;;#ASMSTART
	v_dot2_f32_f16 v70, v72, v76, v70
	;;#ASMEND
	;;#ASMSTART
	v_dot2_f32_f16 v70, v73, v77, v70
	;;#ASMEND
	;; [unrolled: 3-line block ×3, first 2 shown]
	v_mov_b32_e32 v71, 0
	;;#ASMSTART
	v_dot2_f32_f16 v70, v75, v79, v70
	;;#ASMEND
	s_waitcnt lgkmcnt(0)
	;;#ASMSTART
	v_dot2_f32_f16 v71, v80, v76, v71
	;;#ASMEND
	;;#ASMSTART
	v_dot2_f32_f16 v71, v81, v77, v71
	;;#ASMEND
	;;#ASMSTART
	v_dot2_f32_f16 v71, v82, v78, v71
	;;#ASMEND
	;;#ASMSTART
	v_dot2_f32_f16 v71, v83, v79, v71
	;;#ASMEND
	ds_read_b128 v[72:75], v49 offset:16
	ds_read_b128 v[76:79], v48 offset:16
	ds_read_b128 v[80:83], v49 offset:8720
	s_waitcnt lgkmcnt(1)
	;;#ASMSTART
	v_dot2_f32_f16 v70, v72, v76, v70
	;;#ASMEND
	;;#ASMSTART
	v_dot2_f32_f16 v70, v73, v77, v70
	;;#ASMEND
	;;#ASMSTART
	v_dot2_f32_f16 v70, v74, v78, v70
	;;#ASMEND
	;;#ASMSTART
	v_dot2_f32_f16 v70, v75, v79, v70
	;;#ASMEND
	s_waitcnt lgkmcnt(0)
	;;#ASMSTART
	v_dot2_f32_f16 v71, v80, v76, v71
	;;#ASMEND
	;;#ASMSTART
	v_dot2_f32_f16 v71, v81, v77, v71
	;;#ASMEND
	;;#ASMSTART
	v_dot2_f32_f16 v71, v82, v78, v71
	;;#ASMEND
	;;#ASMSTART
	v_dot2_f32_f16 v71, v83, v79, v71
	;;#ASMEND
	ds_read_b128 v[72:75], v49 offset:32
	ds_read_b128 v[76:79], v48 offset:32
	ds_read_b128 v[80:83], v49 offset:8736
	s_waitcnt lgkmcnt(1)
	;;#ASMSTART
	v_dot2_f32_f16 v70, v72, v76, v70
	;;#ASMEND
	;;#ASMSTART
	v_dot2_f32_f16 v70, v73, v77, v70
	;;#ASMEND
	;;#ASMSTART
	v_dot2_f32_f16 v70, v74, v78, v70
	;;#ASMEND
	;; [unrolled: 29-line block ×15, first 2 shown]
	;;#ASMSTART
	v_dot2_f32_f16 v70, v75, v79, v70
	;;#ASMEND
	s_waitcnt lgkmcnt(0)
	;;#ASMSTART
	v_dot2_f32_f16 v71, v80, v76, v71
	;;#ASMEND
	;;#ASMSTART
	v_dot2_f32_f16 v71, v81, v77, v71
	;;#ASMEND
	;; [unrolled: 3-line block ×3, first 2 shown]
	v_cmp_nlt_f32_e64 s[8:9], |v70|, s19
	;;#ASMSTART
	v_dot2_f32_f16 v71, v83, v79, v71
	;;#ASMEND
                                        ; implicit-def: $vgpr73
	s_and_saveexec_b64 s[34:35], s[8:9]
	s_xor_b64 s[8:9], exec, s[34:35]
	s_cbranch_execz .LBB84_11
; %bb.10:                               ;   in Loop: Header=BB84_9 Depth=1
	v_add_f32_e64 v36, |v70|, |v70|
	v_mul_f32_e32 v37, 0x3fb8aa3b, v36
	v_rndne_f32_e32 v72, v37
	v_sub_f32_e32 v73, v37, v72
	v_fma_f32 v37, v36, s24, -v37
	v_fmac_f32_e32 v37, 0x32a5705f, v36
	v_add_f32_e32 v37, v73, v37
	v_cvt_i32_f32_e32 v72, v72
	v_exp_f32_e32 v37, v37
	v_cmp_ngt_f32_e32 vcc, s25, v36
	v_ldexp_f32 v37, v37, v72
	v_cndmask_b32_e32 v37, 0, v37, vcc
	v_cmp_nlt_f32_e32 vcc, s26, v36
	v_cndmask_b32_e32 v36, v65, v37, vcc
	v_add_f32_e32 v36, 1.0, v36
	v_rcp_f32_e32 v36, v36
	v_fma_f32 v73, v36, -2.0, 1.0
.LBB84_11:                              ;   in Loop: Header=BB84_9 Depth=1
	s_andn2_saveexec_b64 s[8:9], s[8:9]
; %bb.12:                               ;   in Loop: Header=BB84_9 Depth=1
	v_mul_f32_e32 v36, v70, v70
	v_mov_b32_e32 v37, 0x3ca908c9
	v_fmac_f32_e32 v37, 0xbbbac73d, v36
	v_fma_f32 v37, v36, v37, v62
	v_fma_f32 v37, v36, v37, v63
	;; [unrolled: 1-line block ×3, first 2 shown]
	v_mul_f32_e64 v37, |v70|, v37
	v_fma_f32 v73, v36, v37, |v70|
; %bb.13:                               ;   in Loop: Header=BB84_9 Depth=1
	s_or_b64 exec, exec, s[8:9]
	v_add_u32_e32 v36, s6, v2
	v_ashrrev_i32_e32 v37, 31, v36
	v_lshlrev_b64 v[36:37], 1, v[36:37]
	v_mov_b32_e32 v72, s31
	v_add_co_u32_e32 v36, vcc, s30, v36
	v_addc_co_u32_e32 v37, vcc, v72, v37, vcc
	flat_load_ushort v72, v[36:37]
	v_cmp_nlt_f32_e64 s[8:9], |v71|, s19
                                        ; implicit-def: $vgpr74
	s_and_saveexec_b64 s[34:35], s[8:9]
	s_xor_b64 s[8:9], exec, s[34:35]
	s_cbranch_execz .LBB84_15
; %bb.14:                               ;   in Loop: Header=BB84_9 Depth=1
	v_add_f32_e64 v74, |v71|, |v71|
	v_mul_f32_e32 v75, 0x3fb8aa3b, v74
	v_rndne_f32_e32 v76, v75
	v_sub_f32_e32 v77, v75, v76
	v_fma_f32 v75, v74, s24, -v75
	v_fmac_f32_e32 v75, 0x32a5705f, v74
	v_add_f32_e32 v75, v77, v75
	v_cvt_i32_f32_e32 v76, v76
	v_exp_f32_e32 v75, v75
	v_cmp_ngt_f32_e32 vcc, s25, v74
	v_ldexp_f32 v75, v75, v76
	v_cndmask_b32_e32 v75, 0, v75, vcc
	v_cmp_nlt_f32_e32 vcc, s26, v74
	v_cndmask_b32_e32 v74, v65, v75, vcc
	v_add_f32_e32 v74, 1.0, v74
	v_rcp_f32_e32 v74, v74
	v_fma_f32 v74, v74, -2.0, 1.0
.LBB84_15:                              ;   in Loop: Header=BB84_9 Depth=1
	s_andn2_saveexec_b64 s[8:9], s[8:9]
; %bb.16:                               ;   in Loop: Header=BB84_9 Depth=1
	v_mul_f32_e32 v74, v71, v71
	v_mov_b32_e32 v75, 0x3ca908c9
	v_fmac_f32_e32 v75, 0xbbbac73d, v74
	v_fma_f32 v75, v74, v75, v62
	v_fma_f32 v75, v74, v75, v63
	;; [unrolled: 1-line block ×3, first 2 shown]
	v_mul_f32_e64 v75, |v71|, v75
	v_fma_f32 v74, v74, v75, |v71|
; %bb.17:                               ;   in Loop: Header=BB84_9 Depth=1
	s_or_b64 exec, exec, s[8:9]
	flat_load_ushort v36, v[36:37] offset:64
	v_bfi_b32 v73, s27, v73, v70
	v_bfi_b32 v76, s27, v74, v71
	v_and_b32_e32 v74, 0x60, v3
	v_xor_b32_e32 v37, 16, v3
	s_mul_hi_i32 s9, s6, s15
	s_mul_i32 s8, s6, s15
	s_waitcnt vmcnt(0) lgkmcnt(0)
	v_fma_mix_f32 v110, v73, s14, v72 op_sel_hi:[0,0,1]
	v_add_u32_e32 v72, 32, v74
	v_xor_b32_e32 v70, 8, v3
	s_lshl_b64 s[8:9], s[8:9], 2
	v_cmp_lt_i32_e32 vcc, v37, v72
	v_xor_b32_e32 v71, 4, v3
	v_cndmask_b32_e32 v74, v3, v37, vcc
	v_cmp_lt_i32_e32 vcc, v70, v72
	s_add_u32 s8, s12, s8
	v_cndmask_b32_e32 v75, v3, v70, vcc
	v_cmp_lt_i32_e32 vcc, v71, v72
	s_addc_u32 s9, s13, s9
	v_cndmask_b32_e32 v77, v3, v71, vcc
	v_lshlrev_b32_e32 v78, 2, v74
	v_mov_b32_e32 v74, s9
	v_add_co_u32_e32 v84, vcc, s8, v20
	v_addc_co_u32_e32 v85, vcc, v74, v21, vcc
	v_lshlrev_b32_e32 v79, 2, v75
	v_mov_b32_e32 v75, s9
	v_add_co_u32_e32 v87, vcc, s8, v22
	v_addc_co_u32_e32 v88, vcc, v75, v23, vcc
	;; [unrolled: 4-line block ×3, first 2 shown]
	v_add_f32_e32 v73, 0x40051340, v110
	v_mov_b32_e32 v80, s9
	v_add_co_u32_e32 v90, vcc, s8, v26
	v_addc_co_u32_e32 v80, vcc, v80, v27, vcc
	v_mov_b32_e32 v81, s9
	v_add_co_u32_e32 v91, vcc, s8, v28
	v_addc_co_u32_e32 v81, vcc, v81, v29, vcc
	;; [unrolled: 3-line block ×4, first 2 shown]
	v_add_co_u32_e32 v74, vcc, v84, v61
	v_addc_co_u32_e32 v75, vcc, 0, v85, vcc
	v_add_co_u32_e32 v84, vcc, v87, v61
	v_addc_co_u32_e32 v85, vcc, 0, v88, vcc
	;; [unrolled: 2-line block ×5, first 2 shown]
	v_add_co_u32_e32 v106, vcc, v92, v61
	v_fma_mix_f32 v111, v76, s14, v36 op_sel_hi:[0,0,1]
	v_add_f32_e32 v36, 0x40051340, v111
	v_max3_f32 v36, v69, v73, v36
	ds_bpermute_b32 v73, v78, v36
	v_addc_co_u32_e32 v107, vcc, 0, v82, vcc
	s_waitcnt lgkmcnt(0)
	s_barrier
	v_max_f32_e32 v73, v73, v73
	v_max_f32_e32 v36, v36, v73
	ds_bpermute_b32 v73, v79, v36
	s_waitcnt lgkmcnt(0)
	global_load_dwordx4 v[76:79], v[74:75], off
	global_load_dwordx4 v[80:83], v[84:85], off
	v_add_co_u32_e32 v74, vcc, v108, v61
	v_max_f32_e32 v73, v73, v73
	v_max_f32_e32 v36, v36, v73
	ds_bpermute_b32 v73, v86, v36
	v_addc_co_u32_e32 v75, vcc, 0, v109, vcc
	global_load_dwordx4 v[84:87], v[100:101], off
	global_load_dwordx4 v[88:91], v[102:103], off
	;; [unrolled: 1-line block ×4, first 2 shown]
	v_add_co_u32_e32 v100, vcc, s8, v34
	s_waitcnt lgkmcnt(0)
	v_max_f32_e32 v73, v73, v73
	v_max_f32_e32 v36, v36, v73
	v_mov_b32_e32 v73, s9
	v_addc_co_u32_e32 v73, vcc, v73, v35, vcc
	v_add_co_u32_e32 v108, vcc, v100, v61
	v_addc_co_u32_e32 v109, vcc, 0, v73, vcc
	global_load_dwordx4 v[100:103], v[74:75], off
	global_load_dwordx4 v[104:107], v[108:109], off
	v_xor_b32_e32 v73, 2, v3
	v_cmp_lt_i32_e32 vcc, v73, v72
	v_cndmask_b32_e32 v74, v3, v73, vcc
	v_lshlrev_b32_e32 v74, 2, v74
	ds_bpermute_b32 v74, v74, v36
	s_waitcnt lgkmcnt(0)
	v_max_f32_e32 v74, v74, v74
	v_max_f32_e32 v36, v36, v74
	v_xor_b32_e32 v74, 1, v3
	v_cmp_lt_i32_e32 vcc, v74, v72
	v_cndmask_b32_e32 v75, v3, v74, vcc
	v_lshlrev_b32_e32 v75, 2, v75
	ds_bpermute_b32 v75, v75, v36
	s_waitcnt lgkmcnt(0)
	v_max_f32_e32 v75, v75, v75
	v_max_f32_e32 v36, v36, v75
	v_sub_f32_e32 v75, v110, v36
	v_mul_f32_e32 v108, 0x3fb8aa3b, v75
	v_fma_f32 v109, v75, s24, -v108
	v_rndne_f32_e32 v110, v108
	v_fmac_f32_e32 v109, 0x32a5705f, v75
	v_sub_f32_e32 v108, v108, v110
	v_add_f32_e32 v108, v108, v109
	v_exp_f32_e32 v108, v108
	v_cvt_i32_f32_e32 v109, v110
	v_sub_f32_e32 v69, v69, v36
	v_cmp_ngt_f32_e32 vcc, s25, v75
	v_ldexp_f32 v108, v108, v109
	v_sub_f32_e32 v109, v111, v36
	v_mul_f32_e32 v110, 0x3fb8aa3b, v109
	v_fma_f32 v111, v109, s24, -v110
	v_rndne_f32_e32 v112, v110
	v_fmac_f32_e32 v111, 0x32a5705f, v109
	v_sub_f32_e32 v110, v110, v112
	v_add_f32_e32 v110, v110, v111
	v_exp_f32_e32 v110, v110
	v_cvt_i32_f32_e32 v111, v112
	v_cndmask_b32_e32 v108, 0, v108, vcc
	v_cmp_nlt_f32_e32 vcc, s26, v75
	v_cndmask_b32_e32 v75, v65, v108, vcc
	v_ldexp_f32 v110, v110, v111
	v_mul_f32_e32 v111, 0x3fb8aa3b, v69
	v_fma_f32 v112, v69, s24, -v111
	v_rndne_f32_e32 v113, v111
	v_fmac_f32_e32 v112, 0x32a5705f, v69
	v_sub_f32_e32 v111, v111, v113
	v_cmp_ngt_f32_e32 vcc, s25, v109
	v_add_f32_e32 v111, v111, v112
	v_cndmask_b32_e32 v110, 0, v110, vcc
	v_exp_f32_e32 v111, v111
	v_cvt_i32_f32_e32 v112, v113
	v_cmp_nlt_f32_e32 vcc, s26, v109
	v_cvt_f16_f32_e32 v108, v75
	v_cndmask_b32_e32 v109, v65, v110, vcc
	v_add_f32_e32 v75, v75, v109
	v_cvt_f16_f32_e32 v109, v109
	v_ldexp_f32 v110, v111, v112
	v_cmp_ngt_f32_e32 vcc, s25, v69
	v_cndmask_b32_e32 v110, 0, v110, vcc
	v_cmp_nlt_f32_e32 vcc, s26, v69
	v_cndmask_b32_e32 v69, v65, v110, vcc
	v_fmac_f32_e32 v75, v68, v69
	v_cvt_f16_f32_e32 v68, v69
	ds_write_b16 v51, v108
	ds_write_b16 v51, v109 offset:64
	s_waitcnt vmcnt(7)
	ds_write_b128 v52, v[76:79]
	s_waitcnt vmcnt(6)
	ds_write_b128 v53, v[80:83]
	;; [unrolled: 2-line block ×8, first 2 shown]
	s_waitcnt lgkmcnt(0)
	s_barrier
	ds_read2_b64 v[76:79], v60 offset1:32
	ds_read_b128 v[80:83], v50
	ds_read_b128 v[84:87], v50 offset:16
	ds_read_b128 v[88:91], v50 offset:32
	;; [unrolled: 1-line block ×3, first 2 shown]
	ds_read2_b64 v[96:99], v60 offset0:64 offset1:96
	s_waitcnt lgkmcnt(4)
	v_pk_mul_f16 v69, v76, v80 op_sel_hi:[1,0]
	v_pk_fma_f16 v66, v66, v68, v69 op_sel_hi:[1,0,1]
	v_pk_mul_f16 v69, v77, v80 op_sel_hi:[1,0]
	v_pk_fma_f16 v67, v67, v68, v69 op_sel_hi:[1,0,1]
	v_pk_fma_f16 v66, v78, v80, v66 op_sel:[0,1,0]
	v_pk_fma_f16 v76, v79, v80, v67 op_sel:[0,1,0]
	s_waitcnt lgkmcnt(0)
	v_pk_fma_f16 v77, v96, v81, v66 op_sel_hi:[1,0,1]
	ds_read2_b64 v[66:69], v60 offset0:128 offset1:160
	v_pk_fma_f16 v76, v97, v81, v76 op_sel_hi:[1,0,1]
	v_pk_fma_f16 v80, v98, v81, v77 op_sel:[0,1,0]
	v_pk_fma_f16 v81, v99, v81, v76 op_sel:[0,1,0]
	ds_read2_b64 v[76:79], v60 offset0:192 offset1:224
	s_waitcnt lgkmcnt(1)
	v_pk_fma_f16 v66, v66, v82, v80 op_sel_hi:[1,0,1]
	v_pk_fma_f16 v67, v67, v82, v81 op_sel_hi:[1,0,1]
	v_pk_fma_f16 v66, v68, v82, v66 op_sel:[0,1,0]
	v_add_u32_e32 v81, 0x800, v60
	v_pk_fma_f16 v80, v69, v82, v67 op_sel:[0,1,0]
	s_waitcnt lgkmcnt(0)
	v_pk_fma_f16 v76, v76, v83, v66 op_sel_hi:[1,0,1]
	ds_read2_b64 v[66:69], v81 offset1:32
	v_pk_fma_f16 v77, v77, v83, v80 op_sel_hi:[1,0,1]
	v_pk_fma_f16 v80, v78, v83, v76 op_sel:[0,1,0]
	v_pk_fma_f16 v82, v79, v83, v77 op_sel:[0,1,0]
	ds_read2_b64 v[76:79], v81 offset0:64 offset1:96
	s_waitcnt lgkmcnt(1)
	v_pk_fma_f16 v66, v66, v84, v80 op_sel_hi:[1,0,1]
	v_pk_fma_f16 v67, v67, v84, v82 op_sel_hi:[1,0,1]
	v_pk_fma_f16 v66, v68, v84, v66 op_sel:[0,1,0]
	v_pk_fma_f16 v80, v69, v84, v67 op_sel:[0,1,0]
	s_waitcnt lgkmcnt(0)
	v_pk_fma_f16 v76, v76, v85, v66 op_sel_hi:[1,0,1]
	ds_read2_b64 v[66:69], v81 offset0:128 offset1:160
	v_pk_fma_f16 v77, v77, v85, v80 op_sel_hi:[1,0,1]
	v_pk_fma_f16 v80, v78, v85, v76 op_sel:[0,1,0]
	v_pk_fma_f16 v82, v79, v85, v77 op_sel:[0,1,0]
	ds_read2_b64 v[76:79], v81 offset0:192 offset1:224
	s_waitcnt lgkmcnt(1)
	v_pk_fma_f16 v66, v66, v86, v80 op_sel_hi:[1,0,1]
	v_pk_fma_f16 v67, v67, v86, v82 op_sel_hi:[1,0,1]
	v_pk_fma_f16 v66, v68, v86, v66 op_sel:[0,1,0]
	v_add_u32_e32 v81, 0x1000, v60
	v_pk_fma_f16 v80, v69, v86, v67 op_sel:[0,1,0]
	s_waitcnt lgkmcnt(0)
	v_pk_fma_f16 v76, v76, v87, v66 op_sel_hi:[1,0,1]
	ds_read2_b64 v[66:69], v81 offset1:32
	v_pk_fma_f16 v77, v77, v87, v80 op_sel_hi:[1,0,1]
	v_pk_fma_f16 v80, v78, v87, v76 op_sel:[0,1,0]
	v_pk_fma_f16 v82, v79, v87, v77 op_sel:[0,1,0]
	ds_read2_b64 v[76:79], v81 offset0:64 offset1:96
	s_waitcnt lgkmcnt(1)
	v_pk_fma_f16 v66, v66, v88, v80 op_sel_hi:[1,0,1]
	;; [unrolled: 25-line block ×3, first 2 shown]
	v_pk_fma_f16 v67, v67, v92, v82 op_sel_hi:[1,0,1]
	v_pk_fma_f16 v66, v68, v92, v66 op_sel:[0,1,0]
	v_pk_fma_f16 v80, v69, v92, v67 op_sel:[0,1,0]
	s_waitcnt lgkmcnt(0)
	v_pk_fma_f16 v76, v76, v93, v66 op_sel_hi:[1,0,1]
	ds_read2_b64 v[66:69], v81 offset0:128 offset1:160
	v_pk_fma_f16 v77, v77, v93, v80 op_sel_hi:[1,0,1]
	v_pk_fma_f16 v80, v78, v93, v76 op_sel:[0,1,0]
	v_pk_fma_f16 v82, v79, v93, v77 op_sel:[0,1,0]
	ds_read2_b64 v[76:79], v81 offset0:192 offset1:224
	s_waitcnt lgkmcnt(1)
	v_pk_fma_f16 v66, v66, v94, v80 op_sel_hi:[1,0,1]
	v_pk_fma_f16 v67, v67, v94, v82 op_sel_hi:[1,0,1]
	v_pk_fma_f16 v66, v68, v94, v66 op_sel:[0,1,0]
	v_pk_fma_f16 v67, v69, v94, v67 op_sel:[0,1,0]
	v_add_u32_e32 v88, 0x2000, v60
	s_waitcnt lgkmcnt(0)
	v_pk_fma_f16 v76, v76, v95, v66 op_sel_hi:[1,0,1]
	v_pk_fma_f16 v77, v77, v95, v67 op_sel_hi:[1,0,1]
	ds_read2_b64 v[66:69], v88 offset1:32
	ds_read_b128 v[80:83], v50 offset:64
	v_pk_fma_f16 v89, v78, v95, v76 op_sel:[0,1,0]
	v_pk_fma_f16 v90, v79, v95, v77 op_sel:[0,1,0]
	ds_read2_b64 v[76:79], v88 offset0:64 offset1:96
	ds_read_b128 v[84:87], v50 offset:80
	s_waitcnt lgkmcnt(2)
	v_pk_fma_f16 v66, v66, v80, v89 op_sel_hi:[1,0,1]
	v_pk_fma_f16 v67, v67, v80, v90 op_sel_hi:[1,0,1]
	v_pk_fma_f16 v66, v68, v80, v66 op_sel:[0,1,0]
	v_pk_fma_f16 v80, v69, v80, v67 op_sel:[0,1,0]
	s_waitcnt lgkmcnt(1)
	v_pk_fma_f16 v76, v76, v81, v66 op_sel_hi:[1,0,1]
	ds_read2_b64 v[66:69], v88 offset0:128 offset1:160
	v_pk_fma_f16 v77, v77, v81, v80 op_sel_hi:[1,0,1]
	v_pk_fma_f16 v80, v78, v81, v76 op_sel:[0,1,0]
	v_pk_fma_f16 v81, v79, v81, v77 op_sel:[0,1,0]
	ds_read2_b64 v[76:79], v88 offset0:192 offset1:224
	s_waitcnt lgkmcnt(1)
	v_pk_fma_f16 v66, v66, v82, v80 op_sel_hi:[1,0,1]
	v_pk_fma_f16 v67, v67, v82, v81 op_sel_hi:[1,0,1]
	v_pk_fma_f16 v66, v68, v82, v66 op_sel:[0,1,0]
	v_add_u32_e32 v81, 0x2800, v60
	v_pk_fma_f16 v80, v69, v82, v67 op_sel:[0,1,0]
	s_waitcnt lgkmcnt(0)
	v_pk_fma_f16 v76, v76, v83, v66 op_sel_hi:[1,0,1]
	ds_read2_b64 v[66:69], v81 offset1:32
	v_pk_fma_f16 v77, v77, v83, v80 op_sel_hi:[1,0,1]
	v_pk_fma_f16 v80, v78, v83, v76 op_sel:[0,1,0]
	v_pk_fma_f16 v82, v79, v83, v77 op_sel:[0,1,0]
	ds_read2_b64 v[76:79], v81 offset0:64 offset1:96
	s_waitcnt lgkmcnt(1)
	v_pk_fma_f16 v66, v66, v84, v80 op_sel_hi:[1,0,1]
	v_pk_fma_f16 v67, v67, v84, v82 op_sel_hi:[1,0,1]
	v_pk_fma_f16 v66, v68, v84, v66 op_sel:[0,1,0]
	v_pk_fma_f16 v80, v69, v84, v67 op_sel:[0,1,0]
	s_waitcnt lgkmcnt(0)
	v_pk_fma_f16 v76, v76, v85, v66 op_sel_hi:[1,0,1]
	ds_read2_b64 v[66:69], v81 offset0:128 offset1:160
	v_pk_fma_f16 v77, v77, v85, v80 op_sel_hi:[1,0,1]
	v_pk_fma_f16 v80, v78, v85, v76 op_sel:[0,1,0]
	v_pk_fma_f16 v82, v79, v85, v77 op_sel:[0,1,0]
	ds_read2_b64 v[76:79], v81 offset0:192 offset1:224
	s_waitcnt lgkmcnt(1)
	v_pk_fma_f16 v66, v66, v86, v80 op_sel_hi:[1,0,1]
	v_pk_fma_f16 v67, v67, v86, v82 op_sel_hi:[1,0,1]
	v_pk_fma_f16 v66, v68, v86, v66 op_sel:[0,1,0]
	v_add_u32_e32 v88, 0x3000, v60
	v_pk_fma_f16 v84, v69, v86, v67 op_sel:[0,1,0]
	s_waitcnt lgkmcnt(0)
	v_pk_fma_f16 v76, v76, v87, v66 op_sel_hi:[1,0,1]
	ds_read2_b64 v[66:69], v88 offset1:32
	ds_read_b128 v[80:83], v50 offset:96
	v_pk_fma_f16 v77, v77, v87, v84 op_sel_hi:[1,0,1]
	v_pk_fma_f16 v84, v78, v87, v76 op_sel:[0,1,0]
	v_pk_fma_f16 v89, v79, v87, v77 op_sel:[0,1,0]
	ds_read_b128 v[76:79], v50 offset:112
	s_waitcnt lgkmcnt(1)
	v_pk_fma_f16 v66, v66, v80, v84 op_sel_hi:[1,0,1]
	ds_read2_b64 v[84:87], v88 offset0:64 offset1:96
	v_pk_fma_f16 v67, v67, v80, v89 op_sel_hi:[1,0,1]
	v_pk_fma_f16 v89, v68, v80, v66 op_sel:[0,1,0]
	v_pk_fma_f16 v80, v69, v80, v67 op_sel:[0,1,0]
	ds_read2_b64 v[66:69], v88 offset0:128 offset1:160
	s_waitcnt lgkmcnt(1)
	v_pk_fma_f16 v84, v84, v81, v89 op_sel_hi:[1,0,1]
	v_pk_fma_f16 v80, v85, v81, v80 op_sel_hi:[1,0,1]
	v_pk_fma_f16 v84, v86, v81, v84 op_sel:[0,1,0]
	v_pk_fma_f16 v80, v87, v81, v80 op_sel:[0,1,0]
	s_waitcnt lgkmcnt(0)
	v_pk_fma_f16 v66, v66, v82, v84 op_sel_hi:[1,0,1]
	ds_read2_b64 v[84:87], v88 offset0:192 offset1:224
	v_pk_fma_f16 v67, v67, v82, v80 op_sel_hi:[1,0,1]
	v_add_u32_e32 v88, 0x3800, v60
	v_pk_fma_f16 v80, v68, v82, v66 op_sel:[0,1,0]
	v_pk_fma_f16 v81, v69, v82, v67 op_sel:[0,1,0]
	ds_read2_b64 v[66:69], v88 offset1:32
	s_waitcnt lgkmcnt(1)
	v_pk_fma_f16 v80, v84, v83, v80 op_sel_hi:[1,0,1]
	v_pk_fma_f16 v81, v85, v83, v81 op_sel_hi:[1,0,1]
	v_pk_fma_f16 v80, v86, v83, v80 op_sel:[0,1,0]
	v_pk_fma_f16 v84, v87, v83, v81 op_sel:[0,1,0]
	s_waitcnt lgkmcnt(0)
	v_pk_fma_f16 v66, v66, v76, v80 op_sel_hi:[1,0,1]
	ds_read2_b64 v[80:83], v88 offset0:64 offset1:96
	v_pk_fma_f16 v67, v67, v76, v84 op_sel_hi:[1,0,1]
	v_pk_fma_f16 v84, v68, v76, v66 op_sel:[0,1,0]
	v_pk_fma_f16 v76, v69, v76, v67 op_sel:[0,1,0]
	ds_read2_b64 v[66:69], v88 offset0:128 offset1:160
	s_waitcnt lgkmcnt(1)
	v_pk_fma_f16 v80, v80, v77, v84 op_sel_hi:[1,0,1]
	v_pk_fma_f16 v76, v81, v77, v76 op_sel_hi:[1,0,1]
	v_pk_fma_f16 v80, v82, v77, v80 op_sel:[0,1,0]
	v_pk_fma_f16 v76, v83, v77, v76 op_sel:[0,1,0]
	s_waitcnt lgkmcnt(0)
	v_pk_fma_f16 v66, v66, v78, v80 op_sel_hi:[1,0,1]
	ds_read2_b64 v[80:83], v88 offset0:192 offset1:224
	s_waitcnt lgkmcnt(0)
	s_barrier
	s_load_dword s8, s[0:1], 0x4
	v_pk_fma_f16 v67, v67, v78, v76 op_sel_hi:[1,0,1]
	v_pk_fma_f16 v66, v68, v78, v66 op_sel:[0,1,0]
	v_pk_fma_f16 v67, v69, v78, v67 op_sel:[0,1,0]
	v_pk_fma_f16 v66, v80, v79, v66 op_sel_hi:[1,0,1]
	s_waitcnt lgkmcnt(0)
	s_lshl_b32 s8, s8, 6
	v_pk_fma_f16 v67, v81, v79, v67 op_sel_hi:[1,0,1]
	s_add_i32 s6, s8, s6
	v_pk_fma_f16 v66, v82, v79, v66 op_sel:[0,1,0]
	s_cmp_lt_i32 s6, s28
	v_pk_fma_f16 v67, v83, v79, v67 op_sel:[0,1,0]
	s_cbranch_scc0 .LBB84_19
; %bb.18:                               ;   in Loop: Header=BB84_9 Depth=1
	v_mov_b32_e32 v69, v36
	v_mov_b32_e32 v68, v75
	s_branch .LBB84_9
.LBB84_19:
	v_cmp_lt_i32_e32 vcc, v37, v72
	v_cndmask_b32_e32 v2, v3, v37, vcc
	v_lshlrev_b32_e32 v2, 2, v2
	ds_bpermute_b32 v2, v2, v75
	v_cmp_lt_i32_e32 vcc, v70, v72
	v_cndmask_b32_e32 v4, v3, v70, vcc
	v_lshlrev_b32_e32 v4, 2, v4
	v_cmp_lt_i32_e32 vcc, v71, v72
	s_waitcnt lgkmcnt(0)
	v_add_f32_e32 v2, v75, v2
	ds_bpermute_b32 v4, v4, v2
	v_cndmask_b32_e32 v5, v3, v71, vcc
	v_lshlrev_b32_e32 v5, 2, v5
	v_cmp_lt_i32_e32 vcc, v73, v72
	s_cmp_eq_u64 s[16:17], 0
	s_waitcnt lgkmcnt(0)
	v_add_f32_e32 v2, v2, v4
	ds_bpermute_b32 v4, v5, v2
	v_cndmask_b32_e32 v5, v3, v73, vcc
	v_lshlrev_b32_e32 v5, 2, v5
	v_cmp_lt_i32_e32 vcc, v74, v72
	v_cndmask_b32_e32 v3, v3, v74, vcc
	s_waitcnt lgkmcnt(0)
	v_add_f32_e32 v2, v2, v4
	ds_bpermute_b32 v4, v5, v2
	v_lshlrev_b32_e32 v3, 2, v3
	s_cselect_b64 s[0:1], -1, 0
	s_cmp_lg_u32 s7, 0
	s_cselect_b64 s[8:9], -1, 0
	s_waitcnt lgkmcnt(0)
	v_add_f32_e32 v2, v2, v4
	ds_bpermute_b32 v3, v3, v2
	s_or_b64 s[0:1], s[8:9], s[0:1]
	s_and_b64 vcc, exec, s[0:1]
	s_waitcnt lgkmcnt(0)
	v_add_f32_e32 v37, v2, v3
	s_cbranch_vccnz .LBB84_22
; %bb.20:
	v_add_u32_e32 v2, s29, v1
	v_ashrrev_i32_e32 v3, 31, v2
	v_lshlrev_b64 v[2:3], 2, v[2:3]
	v_mov_b32_e32 v4, s17
	v_add_co_u32_e32 v2, vcc, s16, v2
	v_addc_co_u32_e32 v3, vcc, v4, v3, vcc
	global_load_dword v3, v[2:3], off
	v_max_f32_e32 v2, v36, v36
	s_mov_b32 s0, 0x3fb8aa3b
	s_mov_b32 s1, 0xc2ce8ed0
	s_waitcnt vmcnt(0)
	v_max_f32_e32 v4, v3, v3
	v_max_f32_e32 v2, v2, v4
	v_sub_f32_e32 v4, v36, v2
	v_sub_f32_e32 v3, v3, v2
	v_mul_f32_e32 v5, 0x3fb8aa3b, v4
	v_mul_f32_e32 v6, 0x3fb8aa3b, v3
	v_fma_f32 v7, v4, s0, -v5
	v_rndne_f32_e32 v8, v5
	v_fma_f32 v9, v3, s0, -v6
	v_rndne_f32_e32 v10, v6
	v_fmac_f32_e32 v7, 0x32a5705f, v4
	v_sub_f32_e32 v5, v5, v8
	v_fmac_f32_e32 v9, 0x32a5705f, v3
	v_sub_f32_e32 v6, v6, v10
	v_add_f32_e32 v5, v5, v7
	v_cvt_i32_f32_e32 v8, v8
	v_add_f32_e32 v6, v6, v9
	v_exp_f32_e32 v5, v5
	v_cvt_i32_f32_e32 v10, v10
	v_exp_f32_e32 v6, v6
	v_cmp_ngt_f32_e32 vcc, s1, v4
	v_ldexp_f32 v5, v5, v8
	s_mov_b32 s0, 0x42b17218
	v_ldexp_f32 v6, v6, v10
	v_cndmask_b32_e32 v5, 0, v5, vcc
	v_cmp_ngt_f32_e32 vcc, s1, v3
	v_mov_b32_e32 v7, 0x7f800000
	v_cndmask_b32_e32 v6, 0, v6, vcc
	v_cmp_nlt_f32_e32 vcc, s0, v4
	v_cndmask_b32_e32 v4, v7, v5, vcc
	v_cvt_f16_f32_e32 v5, v4
	v_cmp_nlt_f32_e32 vcc, s0, v3
	v_cndmask_b32_e32 v3, v7, v6, vcc
	v_fmac_f32_e32 v3, v37, v4
	v_pk_mul_f16 v66, v5, v66 op_sel_hi:[0,1]
	v_pk_mul_f16 v67, v5, v67 op_sel_hi:[0,1]
	v_pk_mov_b32 v[36:37], v[2:3], v[2:3] op_sel:[0,1]
	v_cmp_gt_i32_e32 vcc, s2, v38
	s_and_saveexec_b64 s[0:1], vcc
	s_cbranch_execnz .LBB84_23
.LBB84_21:
	s_endpgm
.LBB84_22:
	v_mov_b32_e32 v3, v37
	v_cmp_gt_i32_e32 vcc, s2, v38
	s_and_saveexec_b64 s[0:1], vcc
	s_cbranch_execz .LBB84_21
.LBB84_23:
	v_div_scale_f32 v2, s[0:1], v3, v3, 1.0
	v_rcp_f32_e32 v4, v2
	s_load_dword s4, s[4:5], 0xd4
	s_mul_i32 s33, s33, s2
	v_cvt_f32_f16_sdwa v9, v66 dst_sel:DWORD dst_unused:UNUSED_PAD src0_sel:WORD_1
	v_fma_f32 v5, -v2, v4, 1.0
	v_fmac_f32_e32 v4, v5, v4
	v_div_scale_f32 v5, vcc, 1.0, v3, 1.0
	v_mul_f32_e32 v6, v5, v4
	v_fma_f32 v7, -v2, v6, v5
	v_fmac_f32_e32 v6, v7, v4
	v_fma_f32 v2, -v2, v6, v5
	s_waitcnt lgkmcnt(0)
	s_cmp_lg_u32 s4, 1
	v_div_fmas_f32 v2, v2, v4, v6
	v_div_fixup_f32 v2, v2, v3, 1.0
	s_cselect_b64 s[0:1], -1, 0
	v_cndmask_b32_e64 v6, v2, 1.0, s[0:1]
	v_add_u32_e32 v2, s33, v38
	v_mul_lo_u32 v2, v2, s3
	v_add3_u32 v1, s29, v1, v2
	v_mul_lo_u32 v1, s4, v1
	v_add_u32_e32 v2, s7, v1
	v_lshl_add_u32 v4, v2, 7, v39
	v_mov_b32_e32 v5, 0
	v_lshlrev_b64 v[4:5], 2, v[4:5]
	v_cvt_f32_f16_e32 v8, v66
	v_cvt_f32_f16_sdwa v11, v67 dst_sel:DWORD dst_unused:UNUSED_PAD src0_sel:WORD_1
	v_cvt_f32_f16_e32 v10, v67
	v_mov_b32_e32 v1, s21
	v_add_co_u32_e32 v12, vcc, s20, v4
	v_addc_co_u32_e32 v13, vcc, v1, v5, vcc
	v_cmp_eq_u32_e32 vcc, 0, v0
	v_pk_mul_f32 v[4:5], v[6:7], v[8:9] op_sel_hi:[0,1]
	v_pk_mul_f32 v[6:7], v[6:7], v[10:11] op_sel_hi:[0,1]
	s_and_b64 s[0:1], vcc, s[0:1]
	global_store_dwordx4 v[12:13], v[4:7], off
	s_and_b64 exec, exec, s[0:1]
	s_cbranch_execz .LBB84_21
; %bb.24:
	v_ashrrev_i32_e32 v3, 31, v2
	v_lshlrev_b64 v[0:1], 3, v[2:3]
	v_mov_b32_e32 v2, s23
	v_add_co_u32_e32 v0, vcc, s22, v0
	v_addc_co_u32_e32 v1, vcc, v2, v1, vcc
	global_store_dwordx2 v[0:1], v[36:37], off
	s_endpgm
	.section	.rodata,"a",@progbits
	.p2align	6, 0x0
	.amdhsa_kernel _ZL15flash_attn_tileILi128ELi128ELi2ELi2ELb1EEvPKcS1_S1_S1_S1_PKiPfP15HIP_vector_typeIfLj2EEffffjfiS5_IjLj3EEiiiiiiiiiiiliiliiiiil
		.amdhsa_group_segment_fixed_size 18944
		.amdhsa_private_segment_fixed_size 0
		.amdhsa_kernarg_size 464
		.amdhsa_user_sgpr_count 6
		.amdhsa_user_sgpr_private_segment_buffer 1
		.amdhsa_user_sgpr_dispatch_ptr 0
		.amdhsa_user_sgpr_queue_ptr 0
		.amdhsa_user_sgpr_kernarg_segment_ptr 1
		.amdhsa_user_sgpr_dispatch_id 0
		.amdhsa_user_sgpr_flat_scratch_init 0
		.amdhsa_user_sgpr_kernarg_preload_length 0
		.amdhsa_user_sgpr_kernarg_preload_offset 0
		.amdhsa_user_sgpr_private_segment_size 0
		.amdhsa_uses_dynamic_stack 0
		.amdhsa_system_sgpr_private_segment_wavefront_offset 0
		.amdhsa_system_sgpr_workgroup_id_x 1
		.amdhsa_system_sgpr_workgroup_id_y 1
		.amdhsa_system_sgpr_workgroup_id_z 1
		.amdhsa_system_sgpr_workgroup_info 0
		.amdhsa_system_vgpr_workitem_id 1
		.amdhsa_next_free_vgpr 114
		.amdhsa_next_free_sgpr 44
		.amdhsa_accum_offset 116
		.amdhsa_reserve_vcc 1
		.amdhsa_reserve_flat_scratch 0
		.amdhsa_float_round_mode_32 0
		.amdhsa_float_round_mode_16_64 0
		.amdhsa_float_denorm_mode_32 3
		.amdhsa_float_denorm_mode_16_64 3
		.amdhsa_dx10_clamp 1
		.amdhsa_ieee_mode 1
		.amdhsa_fp16_overflow 0
		.amdhsa_tg_split 0
		.amdhsa_exception_fp_ieee_invalid_op 0
		.amdhsa_exception_fp_denorm_src 0
		.amdhsa_exception_fp_ieee_div_zero 0
		.amdhsa_exception_fp_ieee_overflow 0
		.amdhsa_exception_fp_ieee_underflow 0
		.amdhsa_exception_fp_ieee_inexact 0
		.amdhsa_exception_int_div_zero 0
	.end_amdhsa_kernel
	.section	.text._ZL15flash_attn_tileILi128ELi128ELi2ELi2ELb1EEvPKcS1_S1_S1_S1_PKiPfP15HIP_vector_typeIfLj2EEffffjfiS5_IjLj3EEiiiiiiiiiiiliiliiiiil,"axG",@progbits,_ZL15flash_attn_tileILi128ELi128ELi2ELi2ELb1EEvPKcS1_S1_S1_S1_PKiPfP15HIP_vector_typeIfLj2EEffffjfiS5_IjLj3EEiiiiiiiiiiiliiliiiiil,comdat
.Lfunc_end84:
	.size	_ZL15flash_attn_tileILi128ELi128ELi2ELi2ELb1EEvPKcS1_S1_S1_S1_PKiPfP15HIP_vector_typeIfLj2EEffffjfiS5_IjLj3EEiiiiiiiiiiiliiliiiiil, .Lfunc_end84-_ZL15flash_attn_tileILi128ELi128ELi2ELi2ELb1EEvPKcS1_S1_S1_S1_PKiPfP15HIP_vector_typeIfLj2EEffffjfiS5_IjLj3EEiiiiiiiiiiiliiliiiiil
                                        ; -- End function
	.section	.AMDGPU.csdata,"",@progbits
; Kernel info:
; codeLenInByte = 7240
; NumSgprs: 48
; NumVgprs: 114
; NumAgprs: 0
; TotalNumVgprs: 114
; ScratchSize: 0
; MemoryBound: 0
; FloatMode: 240
; IeeeMode: 1
; LDSByteSize: 18944 bytes/workgroup (compile time only)
; SGPRBlocks: 5
; VGPRBlocks: 14
; NumSGPRsForWavesPerEU: 48
; NumVGPRsForWavesPerEU: 114
; AccumOffset: 116
; Occupancy: 2
; WaveLimiterHint : 1
; COMPUTE_PGM_RSRC2:SCRATCH_EN: 0
; COMPUTE_PGM_RSRC2:USER_SGPR: 6
; COMPUTE_PGM_RSRC2:TRAP_HANDLER: 0
; COMPUTE_PGM_RSRC2:TGID_X_EN: 1
; COMPUTE_PGM_RSRC2:TGID_Y_EN: 1
; COMPUTE_PGM_RSRC2:TGID_Z_EN: 1
; COMPUTE_PGM_RSRC2:TIDIG_COMP_CNT: 1
; COMPUTE_PGM_RSRC3_GFX90A:ACCUM_OFFSET: 28
; COMPUTE_PGM_RSRC3_GFX90A:TG_SPLIT: 0
	.section	.text._ZL15flash_attn_tileILi128ELi128ELi1ELi2ELb1EEvPKcS1_S1_S1_S1_PKiPfP15HIP_vector_typeIfLj2EEffffjfiS5_IjLj3EEiiiiiiiiiiiliiliiiiil,"axG",@progbits,_ZL15flash_attn_tileILi128ELi128ELi1ELi2ELb1EEvPKcS1_S1_S1_S1_PKiPfP15HIP_vector_typeIfLj2EEffffjfiS5_IjLj3EEiiiiiiiiiiiliiliiiiil,comdat
	.globl	_ZL15flash_attn_tileILi128ELi128ELi1ELi2ELb1EEvPKcS1_S1_S1_S1_PKiPfP15HIP_vector_typeIfLj2EEffffjfiS5_IjLj3EEiiiiiiiiiiiliiliiiiil ; -- Begin function _ZL15flash_attn_tileILi128ELi128ELi1ELi2ELb1EEvPKcS1_S1_S1_S1_PKiPfP15HIP_vector_typeIfLj2EEffffjfiS5_IjLj3EEiiiiiiiiiiiliiliiiiil
	.p2align	8
	.type	_ZL15flash_attn_tileILi128ELi128ELi1ELi2ELb1EEvPKcS1_S1_S1_S1_PKiPfP15HIP_vector_typeIfLj2EEffffjfiS5_IjLj3EEiiiiiiiiiiiliiliiiiil,@function
_ZL15flash_attn_tileILi128ELi128ELi1ELi2ELb1EEvPKcS1_S1_S1_S1_PKiPfP15HIP_vector_typeIfLj2EEffffjfiS5_IjLj3EEiiiiiiiiiiiliiliiiiil: ; @_ZL15flash_attn_tileILi128ELi128ELi1ELi2ELb1EEvPKcS1_S1_S1_S1_PKiPfP15HIP_vector_typeIfLj2EEffffjfiS5_IjLj3EEiiiiiiiiiiiliiliiiiil
; %bb.0:
	s_load_dwordx4 s[24:27], s[4:5], 0x5c
	s_load_dwordx2 s[2:3], s[4:5], 0x80
	s_load_dwordx2 s[36:37], s[4:5], 0xb8
	s_mov_b64 s[34:35], 0
	s_waitcnt lgkmcnt(0)
	s_lshr_b32 s0, s27, 31
	s_add_i32 s0, s27, s0
	s_ashr_i32 s0, s0, 1
	v_cvt_f32_u32_e32 v1, s0
	s_sub_i32 s1, 0, s0
	v_rcp_iflag_f32_e32 v1, v1
	v_mul_f32_e32 v1, 0x4f7ffffe, v1
	v_cvt_u32_f32_e32 v1, v1
	v_readfirstlane_b32 s9, v1
	s_mul_i32 s1, s1, s9
	s_mul_hi_u32 s1, s9, s1
	s_add_i32 s9, s9, s1
	s_mul_hi_u32 s1, s8, s9
	s_mul_i32 s9, s1, s0
	s_sub_i32 s9, s8, s9
	s_add_i32 s10, s1, 1
	s_sub_i32 s11, s9, s0
	s_cmp_ge_u32 s9, s0
	s_cselect_b32 s1, s10, s1
	s_cselect_b32 s9, s11, s9
	s_add_i32 s10, s1, 1
	s_cmp_ge_u32 s9, s0
	s_cselect_b32 s33, s10, s1
	s_abs_i32 s1, s3
	v_cvt_f32_u32_e32 v1, s1
	s_sub_i32 s9, 0, s1
	s_lshl_b32 s0, s8, 1
	s_abs_i32 s8, s27
	v_rcp_iflag_f32_e32 v1, v1
	s_xor_b32 s3, s27, s3
	s_ashr_i32 s3, s3, 31
	v_mul_f32_e32 v1, 0x4f7ffffe, v1
	v_cvt_u32_f32_e32 v1, v1
	v_readfirstlane_b32 s10, v1
	s_mul_i32 s9, s9, s10
	s_mul_hi_u32 s9, s10, s9
	s_add_i32 s10, s10, s9
	s_mul_hi_u32 s9, s8, s10
	s_mul_i32 s10, s9, s1
	s_sub_i32 s8, s8, s10
	s_add_i32 s11, s9, 1
	s_sub_i32 s10, s8, s1
	s_cmp_ge_u32 s8, s1
	s_cselect_b32 s9, s11, s9
	s_cselect_b32 s8, s10, s8
	s_add_i32 s10, s9, 1
	s_cmp_ge_u32 s8, s1
	s_cselect_b32 s1, s10, s9
	s_xor_b32 s1, s1, s3
	s_sub_i32 s39, s1, s3
	s_abs_i32 s38, s39
	v_cvt_f32_u32_e32 v1, s38
	s_load_dwordx16 s[8:23], s[4:5], 0x0
	s_mul_i32 s1, s33, s27
	v_rcp_iflag_f32_e32 v1, v1
	s_waitcnt lgkmcnt(0)
	s_cmp_eq_u64 s[14:15], 0
	v_mul_f32_e32 v1, 0x4f7ffffe, v1
	v_cvt_u32_f32_e32 v1, v1
	v_readfirstlane_b32 s28, v1
	s_cbranch_scc1 .LBB85_2
; %bb.1:
	s_abs_i32 s3, s36
	v_cvt_f32_u32_e32 v1, s3
	s_sub_i32 s35, 0, s3
	s_abs_i32 s34, s33
	s_ashr_i32 s29, s33, 31
	v_rcp_iflag_f32_e32 v1, v1
	s_load_dwordx2 s[30:31], s[4:5], 0xc8
	v_mul_f32_e32 v1, 0x4f7ffffe, v1
	v_cvt_u32_f32_e32 v1, v1
	v_readfirstlane_b32 s36, v1
	s_mul_i32 s35, s35, s36
	s_mul_hi_u32 s35, s36, s35
	s_add_i32 s36, s36, s35
	s_mul_hi_u32 s35, s34, s36
	s_mul_i32 s35, s35, s3
	s_sub_i32 s34, s34, s35
	s_sub_i32 s35, s34, s3
	s_cmp_ge_u32 s34, s3
	s_cselect_b32 s34, s35, s34
	s_sub_i32 s35, s34, s3
	s_cmp_ge_u32 s34, s3
	s_cselect_b32 s3, s35, s34
	s_xor_b32 s3, s3, s29
	s_sub_i32 s3, s3, s29
	s_ashr_i32 s29, s3, 31
	s_waitcnt lgkmcnt(0)
	s_mul_i32 s31, s3, s31
	s_mul_hi_u32 s34, s3, s30
	s_add_i32 s31, s34, s31
	s_mul_i32 s29, s29, s30
	s_add_i32 s31, s31, s29
	s_mul_i32 s3, s3, s30
	s_add_u32 s34, s14, s3
	s_addc_u32 s35, s15, s31
.LBB85_2:
	v_bfe_u32 v26, v0, 10, 10
	v_lshlrev_b32_e32 v1, 7, v26
	v_and_b32_e32 v22, 0x3ff, v0
	v_lshrrev_b32_e32 v23, 3, v26
	v_and_b32_e32 v1, 0x180, v1
	v_lshlrev_b32_e32 v24, 2, v22
	s_sub_i32 s14, s0, s1
	v_add_u32_e32 v0, v1, v24
	s_movk_i32 s0, 0x80
	v_add_u32_e32 v2, s6, v23
	v_bfe_u32 v25, v26, 2, 1
	v_cmp_gt_u32_e32 vcc, s0, v0
	v_mul_hi_u32 v4, s24, v2
	s_and_saveexec_b64 s[0:1], vcc
	s_cbranch_execz .LBB85_4
; %bb.3:
	s_load_dwordx4 s[40:43], s[4:5], 0x70
	s_waitcnt lgkmcnt(0)
	s_mul_i32 s3, s33, s42
	s_ashr_i32 s24, s3, 31
	s_mul_i32 s15, s14, s41
	s_add_u32 s3, s8, s3
	s_addc_u32 s8, s9, s24
	s_ashr_i32 s9, s15, 31
	s_add_u32 s3, s3, s15
	v_mov_b32_e32 v0, s41
	s_addc_u32 s15, s8, s9
	s_ashr_i32 s8, s41, 31
	v_alignbit_b32 v0, s8, v0, 2
	v_mul_lo_u32 v6, v0, v25
	v_add_u32_e32 v0, v2, v4
	v_lshrrev_b32_e32 v0, s25, v0
	v_mul_lo_u32 v0, v0, s26
	v_sub_u32_e32 v3, v2, v0
	s_ashr_i32 s24, s40, 31
	v_mov_b32_e32 v0, s40
	s_lshr_b32 s8, s8, 2
	v_alignbit_b32 v0, s24, v0, 2
	v_mul_lo_u32 v7, s8, v25
	v_mad_u64_u32 v[8:9], s[8:9], v0, v3, 0
	v_mov_b32_e32 v0, v9
	s_lshr_b32 s8, s24, 2
	v_mad_u64_u32 v[10:11], s[8:9], s8, v3, v[0:1]
	v_lshlrev_b64 v[6:7], 2, v[6:7]
	v_mov_b32_e32 v9, v10
	v_mov_b32_e32 v0, s15
	v_add_co_u32_e32 v3, vcc, s3, v6
	v_addc_co_u32_e32 v0, vcc, v0, v7, vcc
	v_lshlrev_b64 v[6:7], 2, v[8:9]
	v_add_co_u32_e32 v3, vcc, v3, v6
	v_addc_co_u32_e32 v0, vcc, v0, v7, vcc
	v_lshlrev_b32_e32 v1, 2, v1
	v_add_co_u32_e32 v1, vcc, v3, v1
	v_addc_co_u32_e32 v3, vcc, 0, v0, vcc
	v_lshlrev_b32_e32 v0, 2, v24
	v_add_co_u32_e32 v0, vcc, v1, v0
	v_addc_co_u32_e32 v1, vcc, 0, v3, vcc
	global_load_dwordx4 v[6:9], v[0:1], off
	s_load_dword s8, s[4:5], 0x40
	v_lshrrev_b32_e32 v0, 2, v26
	v_mul_i32_i24_e32 v5, -3, v0
	v_lshlrev_b32_e32 v3, 1, v22
	v_add_lshl_u32 v5, v5, v26, 6
	v_add_lshl_u32 v3, v5, v3, 2
	s_waitcnt vmcnt(0) lgkmcnt(0)
	v_pk_mul_f32 v[0:1], v[6:7], s[8:9] op_sel_hi:[1,0]
	v_pk_mul_f32 v[6:7], v[8:9], s[8:9] op_sel_hi:[1,0]
	v_cvt_f16_f32_e32 v8, v1
	v_cvt_f16_f32_e32 v1, v7
	;; [unrolled: 1-line block ×4, first 2 shown]
	v_pack_b32_f16 v1, v6, v1
	v_pack_b32_f16 v0, v0, v8
	ds_write_b64 v3, v[0:1] offset:18944
.LBB85_4:
	s_or_b64 exec, exec, s[0:1]
	s_cmp_eq_u64 s[18:19], 0
	s_waitcnt lgkmcnt(0)
	s_barrier
	s_cbranch_scc1 .LBB85_6
; %bb.5:
	s_load_dword s0, s[4:5], 0xd0
	s_mov_b32 s1, 0
	s_waitcnt lgkmcnt(0)
	s_mul_i32 s0, s0, s33
	s_add_i32 s0, s0, s6
	s_lshl_b64 s[0:1], s[0:1], 2
	s_add_u32 s0, s18, s0
	s_addc_u32 s1, s19, s1
	s_load_dword s2, s[0:1], 0x0
.LBB85_6:
	s_lshl_b32 s3, s7, 7
	s_waitcnt lgkmcnt(0)
	s_cmp_lt_i32 s3, s2
	v_mbcnt_lo_u32_b32 v12, -1, 0
	v_and_b32_e32 v21, 3, v26
	s_cbranch_scc1 .LBB85_8
; %bb.7:
	v_mbcnt_hi_u32_b32 v3, -1, v12
	v_and_b32_e32 v0, 0x60, v3
	s_mov_b32 s8, 0
	v_add_u32_e32 v67, 32, v0
	v_xor_b32_e32 v68, 16, v3
	v_xor_b32_e32 v69, 8, v3
	;; [unrolled: 1-line block ×5, first 2 shown]
	v_and_b32_e32 v5, 3, v26
	s_mov_b64 s[0:1], 0
	s_mov_b32 s9, 0xfeffffff
	s_branch .LBB85_9
.LBB85_8:
	s_mov_b64 s[0:1], -1
                                        ; implicit-def: $sgpr9
                                        ; implicit-def: $sgpr8
                                        ; implicit-def: $vgpr3
                                        ; implicit-def: $vgpr67
                                        ; implicit-def: $vgpr68
                                        ; implicit-def: $vgpr69
                                        ; implicit-def: $vgpr70
                                        ; implicit-def: $vgpr71
                                        ; implicit-def: $vgpr72
                                        ; implicit-def: $vgpr5
.LBB85_9:
	s_andn2_b64 vcc, exec, s[0:1]
	v_mov_b32_e32 v20, s9
	v_mov_b32_e32 v44, s8
	;; [unrolled: 1-line block ×3, first 2 shown]
	v_lshlrev_b32_e32 v27, 2, v26
	v_cmp_eq_u32_e64 s[0:1], 0, v22
	v_lshlrev_b32_e32 v28, 3, v22
	v_mov_b32_e32 v0, s8
	s_cbranch_vccnz .LBB85_20
; %bb.10:
	s_sub_i32 s8, 0, s38
	s_mul_i32 s8, s8, s28
	s_mul_hi_u32 s8, s28, s8
	s_abs_i32 s24, s14
	s_add_i32 s28, s28, s8
	s_mul_hi_u32 s36, s24, s28
	s_load_dwordx4 s[28:31], s[4:5], 0x98
	s_load_dword s15, s[4:5], 0x54
	s_load_dwordx2 s[8:9], s[4:5], 0x8c
	s_ashr_i32 s42, s14, 31
	s_ashr_i32 s39, s39, 31
	s_waitcnt lgkmcnt(0)
	s_ashr_i32 s18, s30, 2
	s_ashr_i32 s30, s33, 31
	;; [unrolled: 1-line block ×4, first 2 shown]
	s_mul_i32 s29, s33, s29
	s_mul_hi_u32 s37, s33, s28
	s_add_i32 s29, s37, s29
	s_mul_i32 s37, s30, s28
	s_add_i32 s29, s29, s37
	s_mul_i32 s28, s33, s28
	s_add_u32 s10, s10, s28
	s_addc_u32 s11, s11, s29
	s_mul_i32 s29, s36, s38
	s_sub_i32 s24, s24, s29
	s_xor_b32 s28, s42, s39
	s_add_i32 s29, s36, 1
	s_sub_i32 s37, s24, s38
	s_cmp_ge_u32 s24, s38
	s_cselect_b32 s29, s29, s36
	s_cselect_b32 s24, s37, s24
	s_add_i32 s36, s29, 1
	s_cmp_ge_u32 s24, s38
	s_load_dwordx2 s[40:41], s[4:5], 0xa8
	s_cselect_b32 s24, s36, s29
	s_xor_b32 s24, s24, s28
	s_sub_i32 s29, s24, s28
	s_mul_i32 s9, s29, s9
	s_ashr_i32 s28, s9, 31
	s_add_u32 s24, s10, s9
	s_waitcnt lgkmcnt(0)
	s_mul_i32 s9, s33, s41
	s_mul_hi_u32 s10, s33, s40
	s_addc_u32 s28, s11, s28
	s_add_i32 s9, s10, s9
	s_mul_i32 s30, s30, s40
	s_add_i32 s9, s9, s30
	s_mul_i32 s10, s33, s40
	s_add_u32 s10, s12, s10
	s_mul_i32 s29, s29, s31
	s_addc_u32 s9, s13, s9
	s_ashr_i32 s11, s29, 31
	s_add_u32 s12, s10, s29
	v_lshrrev_b32_e32 v0, 3, v22
	v_and_b32_e32 v6, 28, v24
	s_addc_u32 s13, s9, s11
	v_add_u32_e32 v1, v0, v27
	v_lshlrev_b32_e32 v3, 2, v6
	s_movk_i32 s9, 0x90
	v_mad_u32_u24 v29, v1, s9, v3
	v_add_u32_e32 v3, v2, v4
	v_mul_lo_u32 v8, s19, v1
	s_lshl_b32 s9, s19, 5
	v_lshlrev_b32_e32 v1, 5, v26
	v_lshrrev_b32_e32 v3, s25, v3
	v_add_u32_e32 v10, s9, v8
	v_and_b32_e32 v1, 0x60, v1
	v_mul_lo_u32 v3, v3, s26
	v_add_u32_e32 v14, s9, v10
	v_add_u32_e32 v18, v1, v22
	v_sub_u32_e32 v2, v2, v3
	v_add_u32_e32 v16, s9, v14
	v_mad_u64_u32 v[2:3], s[8:9], v2, s8, v[18:19]
	v_and_b32_e32 v3, 3, v22
	s_movk_i32 s8, 0x3fc
	v_and_or_b32 v3, v26, s8, v3
	v_mov_b32_e32 v4, 0x4c00
	v_lshl_add_u32 v36, v3, 2, v4
	v_lshrrev_b32_e32 v3, 4, v22
	v_lshlrev_b32_e32 v1, 6, v26
	v_lshl_add_u32 v3, v26, 1, v3
	v_and_b32_e32 v1, 0xff00, v1
	v_mul_lo_u32 v50, s18, v3
	s_lshl_b32 s8, s18, 4
	v_add_u32_e32 v34, 0x4a00, v1
	v_add_u32_e32 v1, 0x4800, v1
	;; [unrolled: 1-line block ×3, first 2 shown]
	v_mul_u32_u24_e32 v33, 0x90, v18
	v_lshl_add_u32 v37, v18, 1, v1
	v_and_b32_e32 v18, 60, v24
	v_add_u32_e32 v54, s8, v52
	v_lshlrev_b32_e32 v4, 2, v18
	v_add_u32_e32 v56, s8, v54
	v_lshlrev_b32_e32 v42, 8, v21
	v_mov_b32_e32 v0, 0
	v_ashrrev_i32_e32 v9, 31, v8
	v_ashrrev_i32_e32 v11, 31, v10
	;; [unrolled: 1-line block ×4, first 2 shown]
	v_lshl_or_b32 v38, v3, 8, v4
	v_ashrrev_i32_e32 v51, 31, v50
	v_ashrrev_i32_e32 v53, 31, v52
	;; [unrolled: 1-line block ×4, first 2 shown]
	v_lshl_or_b32 v43, v21, 1, v1
	v_or_b32_e32 v1, 0x400, v42
	v_or_b32_e32 v20, 0x800, v42
	;; [unrolled: 1-line block ×15, first 2 shown]
	s_add_u32 s8, s4, 0xd0
	v_add_u32_e32 v30, 0x1200, v29
	v_add_u32_e32 v31, 0x2400, v29
	;; [unrolled: 1-line block ×7, first 2 shown]
	s_addc_u32 s9, s5, 0
	v_mov_b32_e32 v66, 0xfeffffff
	v_lshlrev_b64 v[4:5], 2, v[8:9]
	v_lshlrev_b32_e32 v45, 2, v6
	v_lshlrev_b64 v[6:7], 2, v[10:11]
	v_lshlrev_b64 v[8:9], 2, v[14:15]
	;; [unrolled: 1-line block ×3, first 2 shown]
	s_mov_b32 s25, 0x3f200000
	s_mov_b32 s29, 0x3fb8aa3b
	;; [unrolled: 1-line block ×4, first 2 shown]
	v_mov_b32_e32 v46, 0xbd5c1c4e
	v_mov_b32_e32 v47, 0x3e088382
	;; [unrolled: 1-line block ×3, first 2 shown]
	s_brev_b32 s36, -2
	v_mbcnt_hi_u32_b32 v3, -1, v12
	v_lshlrev_b64 v[12:13], 2, v[50:51]
	v_lshlrev_b32_e32 v49, 2, v18
	v_lshlrev_b64 v[14:15], 2, v[52:53]
	v_lshlrev_b64 v[16:17], 2, v[54:55]
	v_lshlrev_b64 v[18:19], 2, v[56:57]
	v_add_u32_e32 v50, v28, v1
	v_add_u32_e32 v51, v28, v20
	;; [unrolled: 1-line block ×15, first 2 shown]
	v_mov_b32_e32 v65, 0x7f800000
	v_mov_b32_e32 v1, v0
	;; [unrolled: 1-line block ×3, first 2 shown]
.LBB85_11:                              ; =>This Inner Loop Header: Depth=1
	s_mul_hi_i32 s11, s3, s19
	s_mul_i32 s10, s3, s19
	s_lshl_b64 s[10:11], s[10:11], 2
	s_add_u32 s10, s24, s10
	s_addc_u32 s11, s28, s11
	v_mov_b32_e32 v20, s11
	v_add_co_u32_e32 v67, vcc, s10, v4
	v_addc_co_u32_e32 v20, vcc, v20, v5, vcc
	v_add_co_u32_e32 v84, vcc, v67, v45
	v_addc_co_u32_e32 v85, vcc, 0, v20, vcc
	v_mov_b32_e32 v20, s11
	v_add_co_u32_e32 v67, vcc, s10, v6
	v_addc_co_u32_e32 v20, vcc, v20, v7, vcc
	v_add_co_u32_e32 v86, vcc, v67, v45
	v_addc_co_u32_e32 v87, vcc, 0, v20, vcc
	;; [unrolled: 5-line block ×3, first 2 shown]
	v_mov_b32_e32 v20, s11
	v_add_co_u32_e32 v67, vcc, s10, v10
	v_addc_co_u32_e32 v20, vcc, v20, v11, vcc
	v_add_co_u32_e32 v90, vcc, v67, v45
	global_load_dwordx4 v[68:71], v[84:85], off
	global_load_dwordx4 v[72:75], v[86:87], off
	v_addc_co_u32_e32 v91, vcc, 0, v20, vcc
	global_load_dwordx4 v[76:79], v[88:89], off
	global_load_dwordx4 v[80:83], v[90:91], off
	v_mov_b32_e32 v20, 0
                                        ; implicit-def: $vgpr67
	s_waitcnt vmcnt(3)
	ds_write_b128 v29, v[68:71]
	s_waitcnt vmcnt(2)
	ds_write_b128 v30, v[72:75]
	;; [unrolled: 2-line block ×4, first 2 shown]
	s_waitcnt lgkmcnt(0)
	s_barrier
	ds_read_b128 v[68:71], v33
	ds_read_b128 v[72:75], v34
	s_waitcnt lgkmcnt(0)
	;;#ASMSTART
	v_dot2_f32_f16 v20, v68, v72, v20
	;;#ASMEND
	;;#ASMSTART
	v_dot2_f32_f16 v20, v69, v73, v20
	;;#ASMEND
	;;#ASMSTART
	v_dot2_f32_f16 v20, v70, v74, v20
	;;#ASMEND
	;;#ASMSTART
	v_dot2_f32_f16 v20, v71, v75, v20
	;;#ASMEND
	ds_read_b128 v[68:71], v33 offset:16
	ds_read_b128 v[72:75], v34 offset:16
	s_waitcnt lgkmcnt(0)
	;;#ASMSTART
	v_dot2_f32_f16 v20, v68, v72, v20
	;;#ASMEND
	;;#ASMSTART
	v_dot2_f32_f16 v20, v69, v73, v20
	;;#ASMEND
	;;#ASMSTART
	v_dot2_f32_f16 v20, v70, v74, v20
	;;#ASMEND
	;;#ASMSTART
	v_dot2_f32_f16 v20, v71, v75, v20
	;;#ASMEND
	ds_read_b128 v[68:71], v33 offset:32
	ds_read_b128 v[72:75], v34 offset:32
	;; [unrolled: 15-line block ×7, first 2 shown]
	s_waitcnt lgkmcnt(0)
	;;#ASMSTART
	v_dot2_f32_f16 v20, v68, v72, v20
	;;#ASMEND
	;;#ASMSTART
	v_dot2_f32_f16 v20, v69, v73, v20
	;;#ASMEND
	;; [unrolled: 3-line block ×4, first 2 shown]
	s_barrier
	global_load_dwordx4 v[68:71], v[84:85], off offset:128
	global_load_dwordx4 v[72:75], v[86:87], off offset:128
	;; [unrolled: 1-line block ×4, first 2 shown]
	s_waitcnt vmcnt(3)
	ds_write_b128 v29, v[68:71]
	s_waitcnt vmcnt(2)
	ds_write_b128 v30, v[72:75]
	;; [unrolled: 2-line block ×4, first 2 shown]
	s_waitcnt lgkmcnt(0)
	s_barrier
	ds_read_b128 v[68:71], v33
	ds_read_b128 v[72:75], v34 offset:128
	s_waitcnt lgkmcnt(0)
	;;#ASMSTART
	v_dot2_f32_f16 v20, v68, v72, v20
	;;#ASMEND
	;;#ASMSTART
	v_dot2_f32_f16 v20, v69, v73, v20
	;;#ASMEND
	;;#ASMSTART
	v_dot2_f32_f16 v20, v70, v74, v20
	;;#ASMEND
	;;#ASMSTART
	v_dot2_f32_f16 v20, v71, v75, v20
	;;#ASMEND
	ds_read_b128 v[68:71], v33 offset:16
	ds_read_b128 v[72:75], v34 offset:144
	s_waitcnt lgkmcnt(0)
	;;#ASMSTART
	v_dot2_f32_f16 v20, v68, v72, v20
	;;#ASMEND
	;;#ASMSTART
	v_dot2_f32_f16 v20, v69, v73, v20
	;;#ASMEND
	;;#ASMSTART
	v_dot2_f32_f16 v20, v70, v74, v20
	;;#ASMEND
	;;#ASMSTART
	v_dot2_f32_f16 v20, v71, v75, v20
	;;#ASMEND
	ds_read_b128 v[68:71], v33 offset:32
	;; [unrolled: 15-line block ×7, first 2 shown]
	ds_read_b128 v[72:75], v34 offset:240
	s_waitcnt lgkmcnt(0)
	;;#ASMSTART
	v_dot2_f32_f16 v20, v68, v72, v20
	;;#ASMEND
	;;#ASMSTART
	v_dot2_f32_f16 v20, v69, v73, v20
	;;#ASMEND
	;; [unrolled: 3-line block ×4, first 2 shown]
	v_cmp_nlt_f32_e64 s[10:11], |v20|, s25
	s_and_saveexec_b64 s[38:39], s[10:11]
	s_xor_b64 s[10:11], exec, s[38:39]
	s_cbranch_execz .LBB85_13
; %bb.12:                               ;   in Loop: Header=BB85_11 Depth=1
	v_add_f32_e64 v67, |v20|, |v20|
	v_mul_f32_e32 v68, 0x3fb8aa3b, v67
	v_rndne_f32_e32 v69, v68
	v_sub_f32_e32 v70, v68, v69
	v_fma_f32 v68, v67, s29, -v68
	v_fmac_f32_e32 v68, 0x32a5705f, v67
	v_add_f32_e32 v68, v70, v68
	v_cvt_i32_f32_e32 v69, v69
	v_exp_f32_e32 v68, v68
	v_cmp_ngt_f32_e32 vcc, s30, v67
	v_ldexp_f32 v68, v68, v69
	v_cndmask_b32_e32 v68, 0, v68, vcc
	v_cmp_nlt_f32_e32 vcc, s31, v67
	v_cndmask_b32_e32 v67, v65, v68, vcc
	v_add_f32_e32 v67, 1.0, v67
	v_rcp_f32_e32 v67, v67
	v_fma_f32 v67, v67, -2.0, 1.0
.LBB85_13:                              ;   in Loop: Header=BB85_11 Depth=1
	s_andn2_saveexec_b64 s[10:11], s[10:11]
; %bb.14:                               ;   in Loop: Header=BB85_11 Depth=1
	v_mul_f32_e32 v67, v20, v20
	v_mov_b32_e32 v68, 0x3ca908c9
	v_fmac_f32_e32 v68, 0xbbbac73d, v67
	v_fma_f32 v68, v67, v68, v46
	v_fma_f32 v68, v67, v68, v47
	;; [unrolled: 1-line block ×3, first 2 shown]
	v_mul_f32_e64 v68, |v20|, v68
	v_fma_f32 v67, v67, v68, |v20|
; %bb.15:                               ;   in Loop: Header=BB85_11 Depth=1
	s_or_b64 exec, exec, s[10:11]
	v_add_u32_e32 v68, s3, v2
	v_ashrrev_i32_e32 v69, 31, v68
	v_lshlrev_b64 v[68:69], 1, v[68:69]
	v_mov_b32_e32 v70, s35
	v_add_co_u32_e32 v68, vcc, s34, v68
	v_addc_co_u32_e32 v69, vcc, v70, v69, vcc
	flat_load_ushort v69, v[68:69]
	v_bfi_b32 v20, s36, v67, v20
	v_and_b32_e32 v67, 0x60, v3
	v_xor_b32_e32 v68, 16, v3
	v_add_u32_e32 v67, 32, v67
	v_cmp_lt_i32_e32 vcc, v68, v67
	v_max_f32_e32 v70, v66, v66
	v_cndmask_b32_e32 v71, v3, v68, vcc
	v_lshlrev_b32_e32 v71, 2, v71
	s_waitcnt vmcnt(0) lgkmcnt(0)
	v_fma_mix_f32 v73, v20, s15, v69 op_sel_hi:[0,0,1]
	v_add_f32_e32 v20, 0x40051340, v73
	v_max_f32_e32 v20, v70, v20
	ds_bpermute_b32 v70, v71, v20
	v_xor_b32_e32 v69, 8, v3
	v_cmp_lt_i32_e32 vcc, v69, v67
	v_cndmask_b32_e32 v71, v3, v69, vcc
	v_lshlrev_b32_e32 v71, 2, v71
	s_waitcnt lgkmcnt(0)
	v_max_f32_e32 v70, v70, v70
	v_max_f32_e32 v20, v20, v70
	ds_bpermute_b32 v71, v71, v20
	v_xor_b32_e32 v70, 4, v3
	v_cmp_lt_i32_e32 vcc, v70, v67
	v_cndmask_b32_e32 v72, v3, v70, vcc
	v_lshlrev_b32_e32 v72, 2, v72
	s_waitcnt lgkmcnt(0)
	v_max_f32_e32 v71, v71, v71
	v_max_f32_e32 v20, v20, v71
	ds_bpermute_b32 v72, v72, v20
	v_xor_b32_e32 v71, 2, v3
	v_cmp_lt_i32_e32 vcc, v71, v67
	v_cndmask_b32_e32 v74, v3, v71, vcc
	v_lshlrev_b32_e32 v74, 2, v74
	s_waitcnt lgkmcnt(0)
	v_max_f32_e32 v72, v72, v72
	v_max_f32_e32 v20, v20, v72
	ds_bpermute_b32 v74, v74, v20
	v_xor_b32_e32 v72, 1, v3
	v_cmp_lt_i32_e32 vcc, v72, v67
	v_cndmask_b32_e32 v75, v3, v72, vcc
	s_waitcnt lgkmcnt(0)
	v_max_f32_e32 v74, v74, v74
	v_max_f32_e32 v20, v20, v74
	v_lshlrev_b32_e32 v74, 2, v75
	ds_bpermute_b32 v74, v74, v20
	s_and_saveexec_b64 s[10:11], s[0:1]
	s_cbranch_execz .LBB85_17
; %bb.16:                               ;   in Loop: Header=BB85_11 Depth=1
	s_waitcnt lgkmcnt(0)
	v_max_f32_e32 v74, v74, v74
	v_max_f32_e32 v20, v20, v20
	;; [unrolled: 1-line block ×3, first 2 shown]
	ds_write_b32 v35, v20
.LBB85_17:                              ;   in Loop: Header=BB85_11 Depth=1
	s_or_b64 exec, exec, s[10:11]
	s_mul_hi_i32 s11, s3, s18
	s_mul_i32 s10, s3, s18
	s_lshl_b64 s[10:11], s[10:11], 2
	s_add_u32 s10, s12, s10
	s_addc_u32 s11, s13, s11
	v_mov_b32_e32 v20, s11
	s_waitcnt lgkmcnt(0)
	v_add_co_u32_e32 v74, vcc, s10, v12
	v_addc_co_u32_e32 v20, vcc, v20, v13, vcc
	v_add_co_u32_e32 v82, vcc, v74, v49
	v_addc_co_u32_e32 v83, vcc, 0, v20, vcc
	v_mov_b32_e32 v20, s11
	v_add_co_u32_e32 v74, vcc, s10, v14
	v_addc_co_u32_e32 v20, vcc, v20, v15, vcc
	v_add_co_u32_e32 v84, vcc, v74, v49
	v_addc_co_u32_e32 v85, vcc, 0, v20, vcc
	s_barrier
	global_load_dwordx4 v[74:77], v[82:83], off
	global_load_dwordx4 v[78:81], v[84:85], off
	v_mov_b32_e32 v20, s11
	v_add_co_u32_e32 v82, vcc, s10, v16
	v_addc_co_u32_e32 v20, vcc, v20, v17, vcc
	v_add_co_u32_e32 v90, vcc, v82, v49
	v_addc_co_u32_e32 v91, vcc, 0, v20, vcc
	v_mov_b32_e32 v20, s11
	v_add_co_u32_e32 v82, vcc, s10, v18
	v_addc_co_u32_e32 v20, vcc, v20, v19, vcc
	v_add_co_u32_e32 v92, vcc, v82, v49
	v_addc_co_u32_e32 v93, vcc, 0, v20, vcc
	global_load_dwordx4 v[82:85], v[90:91], off
	global_load_dwordx4 v[86:89], v[92:93], off
	ds_read_b32 v20, v36
	v_and_b32_e32 v90, 0x7c, v3
	v_add_u32_e32 v90, 4, v90
	v_cmp_lt_i32_e32 vcc, v71, v90
	v_cndmask_b32_e32 v91, v3, v71, vcc
	v_lshlrev_b32_e32 v91, 2, v91
	s_waitcnt lgkmcnt(0)
	ds_bpermute_b32 v91, v91, v20
	v_cmp_lt_i32_e32 vcc, v72, v90
	v_max_f32_e32 v20, v20, v20
	v_cndmask_b32_e32 v90, v3, v72, vcc
	v_lshlrev_b32_e32 v90, 2, v90
	s_waitcnt lgkmcnt(0)
	v_max_f32_e32 v91, v91, v91
	v_max_f32_e32 v20, v20, v91
	ds_bpermute_b32 v90, v90, v20
	s_or_b32 s10, s3, 64
	s_mul_hi_i32 s11, s10, s18
	s_mul_i32 s10, s10, s18
	s_lshl_b64 s[10:11], s[10:11], 2
	s_waitcnt lgkmcnt(0)
	v_max_f32_e32 v90, v90, v90
	v_max_f32_e32 v20, v20, v90
	v_sub_f32_e32 v73, v73, v20
	v_mul_f32_e32 v90, 0x3fb8aa3b, v73
	v_fma_f32 v91, v73, s29, -v90
	v_rndne_f32_e32 v92, v90
	v_fmac_f32_e32 v91, 0x32a5705f, v73
	v_sub_f32_e32 v90, v90, v92
	v_add_f32_e32 v90, v90, v91
	v_cvt_i32_f32_e32 v92, v92
	v_exp_f32_e32 v90, v90
	v_cmp_ngt_f32_e32 vcc, s30, v73
	s_add_u32 s10, s12, s10
	s_addc_u32 s11, s13, s11
	v_ldexp_f32 v90, v90, v92
	v_cndmask_b32_e32 v90, 0, v90, vcc
	v_cmp_nlt_f32_e32 vcc, s31, v73
	v_cndmask_b32_e32 v73, v65, v90, vcc
	v_cvt_f16_f32_e32 v90, v73
	v_add_u32_e32 v122, v28, v42
	v_sub_f32_e32 v66, v66, v20
	v_mul_f32_e32 v139, 0x3fb8aa3b, v66
	v_fma_f32 v140, v66, s29, -v139
	v_rndne_f32_e32 v141, v139
	v_fmac_f32_e32 v140, 0x32a5705f, v66
	v_sub_f32_e32 v139, v139, v141
	v_add_f32_e32 v139, v139, v140
	v_exp_f32_e32 v139, v139
	v_cvt_i32_f32_e32 v140, v141
	ds_write_b16 v37, v90
	s_waitcnt vmcnt(3)
	ds_write_b128 v38, v[74:77]
	s_waitcnt vmcnt(2)
	ds_write_b128 v39, v[78:81]
	;; [unrolled: 2-line block ×4, first 2 shown]
	v_mov_b32_e32 v74, s11
	v_add_co_u32_e32 v75, vcc, s10, v12
	v_addc_co_u32_e32 v76, vcc, v74, v13, vcc
	v_add_co_u32_e32 v74, vcc, v75, v49
	v_addc_co_u32_e32 v75, vcc, 0, v76, vcc
	v_mov_b32_e32 v76, s11
	v_add_co_u32_e32 v77, vcc, s10, v14
	v_addc_co_u32_e32 v76, vcc, v76, v15, vcc
	v_add_co_u32_e32 v78, vcc, v77, v49
	v_addc_co_u32_e32 v79, vcc, 0, v76, vcc
	v_mov_b32_e32 v82, s11
	v_add_co_u32_e32 v83, vcc, s10, v16
	v_addc_co_u32_e32 v84, vcc, v82, v17, vcc
	v_add_co_u32_e32 v82, vcc, v83, v49
	v_addc_co_u32_e32 v83, vcc, 0, v84, vcc
	v_mov_b32_e32 v84, s11
	v_add_co_u32_e32 v85, vcc, s10, v18
	v_addc_co_u32_e32 v84, vcc, v84, v19, vcc
	v_add_co_u32_e32 v86, vcc, v85, v49
	v_addc_co_u32_e32 v87, vcc, 0, v84, vcc
	s_waitcnt lgkmcnt(0)
	s_barrier
	ds_read_u16 v123, v43
	ds_read_u16 v124, v43 offset:8
	ds_read_u16 v125, v43 offset:16
	ds_read_u16 v126, v43 offset:24
	ds_read_u16 v127, v43 offset:32
	ds_read_u16 v128, v43 offset:40
	ds_read_u16 v129, v43 offset:48
	ds_read_u16 v130, v43 offset:56
	ds_read_b64 v[90:91], v122
	ds_read_b64 v[92:93], v50
	;; [unrolled: 1-line block ×16, first 2 shown]
	ds_read_u16 v131, v43 offset:64
	ds_read_u16 v132, v43 offset:72
	;; [unrolled: 1-line block ×8, first 2 shown]
	s_waitcnt lgkmcnt(0)
	s_barrier
	global_load_dwordx4 v[74:77], v[74:75], off
	s_nop 0
	global_load_dwordx4 v[78:81], v[78:79], off
	s_nop 0
	;; [unrolled: 2-line block ×3, first 2 shown]
	global_load_dwordx4 v[86:89], v[86:87], off
	v_ldexp_f32 v139, v139, v140
	v_cmp_ngt_f32_e32 vcc, s30, v66
	v_cndmask_b32_e32 v139, 0, v139, vcc
	v_cmp_nlt_f32_e32 vcc, s31, v66
	v_cndmask_b32_e32 v66, v65, v139, vcc
	v_cvt_f16_f32_e32 v139, v66
	v_fma_f32 v44, v44, v66, v73
	v_pk_mul_f16 v66, v90, v123 op_sel_hi:[1,0]
	s_waitcnt vmcnt(3)
	ds_write_b128 v38, v[74:77]
	s_waitcnt vmcnt(2)
	ds_write_b128 v39, v[78:81]
	;; [unrolled: 2-line block ×4, first 2 shown]
	v_pk_fma_f16 v0, v0, v139, v66 op_sel_hi:[1,0,1]
	v_pk_mul_f16 v66, v91, v123 op_sel_hi:[1,0]
	v_pk_fma_f16 v1, v1, v139, v66 op_sel_hi:[1,0,1]
	v_pk_fma_f16 v0, v92, v124, v0 op_sel_hi:[1,0,1]
	;; [unrolled: 1-line block ×31, first 2 shown]
	s_waitcnt lgkmcnt(0)
	s_barrier
	ds_read_b64 v[0:1], v122
	ds_read_u16 v80, v43 offset:128
	ds_read_u16 v81, v43 offset:136
	;; [unrolled: 1-line block ×8, first 2 shown]
	ds_read_b64 v[74:75], v50
	ds_read_b64 v[76:77], v51
	ds_read_b64 v[78:79], v52
	s_waitcnt lgkmcnt(10)
	v_pk_fma_f16 v0, v0, v80, v66 op_sel_hi:[1,0,1]
	v_pk_fma_f16 v1, v1, v80, v73 op_sel_hi:[1,0,1]
	s_waitcnt lgkmcnt(2)
	v_pk_fma_f16 v0, v74, v81, v0 op_sel_hi:[1,0,1]
	v_pk_fma_f16 v1, v75, v81, v1 op_sel_hi:[1,0,1]
	;; [unrolled: 3-line block ×3, first 2 shown]
	s_waitcnt lgkmcnt(0)
	v_pk_fma_f16 v73, v78, v83, v0 op_sel_hi:[1,0,1]
	ds_read_b64 v[0:1], v53
	v_pk_fma_f16 v66, v79, v83, v66 op_sel_hi:[1,0,1]
	ds_read_b64 v[74:75], v54
	ds_read_b64 v[76:77], v55
	;; [unrolled: 1-line block ×3, first 2 shown]
	s_waitcnt lgkmcnt(3)
	v_pk_fma_f16 v0, v0, v84, v73 op_sel_hi:[1,0,1]
	v_pk_fma_f16 v1, v1, v84, v66 op_sel_hi:[1,0,1]
	s_waitcnt lgkmcnt(2)
	v_pk_fma_f16 v0, v74, v85, v0 op_sel_hi:[1,0,1]
	v_pk_fma_f16 v1, v75, v85, v1 op_sel_hi:[1,0,1]
	;; [unrolled: 3-line block ×4, first 2 shown]
	ds_read_b64 v[0:1], v57
	ds_read_b64 v[74:75], v58
	;; [unrolled: 1-line block ×4, first 2 shown]
	ds_read_u16 v80, v43 offset:192
	ds_read_u16 v81, v43 offset:200
	;; [unrolled: 1-line block ×8, first 2 shown]
	s_waitcnt lgkmcnt(7)
	v_pk_fma_f16 v0, v0, v80, v66 op_sel_hi:[1,0,1]
	v_pk_fma_f16 v1, v1, v80, v73 op_sel_hi:[1,0,1]
	s_waitcnt lgkmcnt(6)
	v_pk_fma_f16 v0, v74, v81, v0 op_sel_hi:[1,0,1]
	v_pk_fma_f16 v1, v75, v81, v1 op_sel_hi:[1,0,1]
	;; [unrolled: 3-line block ×3, first 2 shown]
	s_waitcnt lgkmcnt(4)
	v_pk_fma_f16 v73, v78, v83, v0 op_sel_hi:[1,0,1]
	ds_read_b64 v[0:1], v61
	v_pk_fma_f16 v66, v79, v83, v66 op_sel_hi:[1,0,1]
	ds_read_b64 v[74:75], v62
	ds_read_b64 v[76:77], v63
	;; [unrolled: 1-line block ×3, first 2 shown]
	s_waitcnt lgkmcnt(0)
	s_barrier
	s_load_dword s10, s[8:9], 0x4
	v_pk_fma_f16 v0, v0, v84, v73 op_sel_hi:[1,0,1]
	v_pk_fma_f16 v1, v1, v84, v66 op_sel_hi:[1,0,1]
	;; [unrolled: 1-line block ×4, first 2 shown]
	s_waitcnt lgkmcnt(0)
	s_lshl_b32 s10, s10, 7
	v_pk_fma_f16 v0, v76, v86, v0 op_sel_hi:[1,0,1]
	v_pk_fma_f16 v1, v77, v86, v1 op_sel_hi:[1,0,1]
	s_add_i32 s3, s10, s3
	v_pk_fma_f16 v0, v78, v87, v0 op_sel_hi:[1,0,1]
	s_cmp_lt_i32 s3, s2
	v_pk_fma_f16 v1, v79, v87, v1 op_sel_hi:[1,0,1]
	s_cbranch_scc0 .LBB85_19
; %bb.18:                               ;   in Loop: Header=BB85_11 Depth=1
	v_mov_b32_e32 v66, v20
	s_branch .LBB85_11
.LBB85_19:
	v_mov_b32_e32 v5, v21
.LBB85_20:
	v_cmp_lt_i32_e32 vcc, v68, v67
	v_cndmask_b32_e32 v2, v3, v68, vcc
	v_lshlrev_b32_e32 v2, 2, v2
	ds_bpermute_b32 v2, v2, v44
	v_cmp_lt_i32_e32 vcc, v69, v67
	v_cndmask_b32_e32 v4, v3, v69, vcc
	v_lshlrev_b32_e32 v4, 2, v4
	v_cmp_lt_i32_e32 vcc, v70, v67
	s_waitcnt lgkmcnt(0)
	v_add_f32_e32 v2, v44, v2
	ds_bpermute_b32 v4, v4, v2
	v_cndmask_b32_e32 v6, v3, v70, vcc
	v_lshlrev_b32_e32 v6, 2, v6
	v_cmp_lt_i32_e32 vcc, v71, v67
	v_cmp_ne_u32_e64 s[0:1], 0, v5
	s_waitcnt lgkmcnt(0)
	v_add_f32_e32 v2, v2, v4
	ds_bpermute_b32 v4, v6, v2
	v_cndmask_b32_e32 v6, v3, v71, vcc
	v_lshlrev_b32_e32 v6, 2, v6
	v_cmp_lt_i32_e32 vcc, v72, v67
	v_cndmask_b32_e32 v3, v3, v72, vcc
	s_waitcnt lgkmcnt(0)
	v_add_f32_e32 v2, v2, v4
	ds_bpermute_b32 v4, v6, v2
	v_lshlrev_b32_e32 v3, 2, v3
	v_cmp_eq_u32_e32 vcc, 0, v5
	s_waitcnt lgkmcnt(0)
	v_add_f32_e32 v2, v2, v4
	ds_bpermute_b32 v3, v3, v2
	s_waitcnt lgkmcnt(0)
	v_add_f32_e32 v21, v2, v3
	s_and_saveexec_b64 s[2:3], s[0:1]
	s_xor_b64 s[2:3], exec, s[2:3]
	s_cbranch_execnz .LBB85_24
; %bb.21:
	s_andn2_saveexec_b64 s[0:1], s[2:3]
	s_cbranch_execnz .LBB85_27
.LBB85_22:
	s_or_b64 exec, exec, s[0:1]
	s_and_saveexec_b64 s[0:1], vcc
	s_cbranch_execnz .LBB85_28
.LBB85_23:
	s_endpgm
.LBB85_24:
	v_lshl_add_u32 v2, v26, 8, v28
	v_cmp_eq_u32_e64 s[0:1], 0, v22
	ds_write_b64 v2, v[0:1]
	s_and_saveexec_b64 s[8:9], s[0:1]
	s_cbranch_execz .LBB85_26
; %bb.25:
	ds_write_b32 v27, v21 offset:18944
.LBB85_26:
	s_or_b64 exec, exec, s[8:9]
                                        ; implicit-def: $vgpr26
                                        ; implicit-def: $vgpr27
	s_andn2_saveexec_b64 s[0:1], s[2:3]
	s_cbranch_execz .LBB85_22
.LBB85_27:
	v_lshlrev_b32_e32 v2, 8, v26
	v_lshl_add_u32 v8, v22, 3, v2
	s_waitcnt lgkmcnt(0)
	s_barrier
	ds_read2_b64 v[2:5], v8 offset0:32 offset1:64
	v_add_u32_e32 v6, 0x4a04, v27
	ds_read2_b32 v[6:7], v6 offset1:1
	s_waitcnt lgkmcnt(1)
	v_pk_add_f16 v2, v2, v0
	v_pk_add_f16 v3, v3, v1
	ds_read_b32 v9, v27 offset:18956
	ds_read_b64 v[0:1], v8 offset:768
	s_waitcnt lgkmcnt(2)
	v_add_f32_e32 v6, v21, v6
	v_pk_add_f16 v2, v4, v2
	v_pk_add_f16 v3, v5, v3
	v_add_f32_e32 v4, v6, v7
	s_waitcnt lgkmcnt(0)
	v_pk_add_f16 v0, v0, v2
	v_pk_add_f16 v1, v1, v3
	v_add_f32_e32 v21, v4, v9
	s_or_b64 exec, exec, s[0:1]
	s_and_saveexec_b64 s[0:1], vcc
	s_cbranch_execz .LBB85_23
.LBB85_28:
	s_cmp_eq_u64 s[16:17], 0
	s_cselect_b64 s[0:1], -1, 0
	s_cmp_lg_u32 s7, 0
	s_cselect_b64 s[2:3], -1, 0
	s_or_b64 s[0:1], s[2:3], s[0:1]
	v_add_u32_e32 v2, s14, v25
	s_and_b64 vcc, exec, s[0:1]
	s_cbranch_vccnz .LBB85_30
; %bb.29:
	v_ashrrev_i32_e32 v3, 31, v2
	v_lshlrev_b64 v[4:5], 2, v[2:3]
	v_mov_b32_e32 v3, s17
	v_add_co_u32_e32 v4, vcc, s16, v4
	v_addc_co_u32_e32 v5, vcc, v3, v5, vcc
	global_load_dword v3, v[4:5], off
	v_max_f32_e32 v4, v20, v20
	s_mov_b32 s0, 0x3fb8aa3b
	s_mov_b32 s1, 0xc2ce8ed0
	s_waitcnt vmcnt(0)
	v_max_f32_e32 v5, v3, v3
	v_max_f32_e32 v4, v4, v5
	v_sub_f32_e32 v5, v20, v4
	v_sub_f32_e32 v3, v3, v4
	v_mul_f32_e32 v6, 0x3fb8aa3b, v5
	v_mul_f32_e32 v7, 0x3fb8aa3b, v3
	v_fma_f32 v8, v5, s0, -v6
	v_rndne_f32_e32 v9, v6
	v_fma_f32 v10, v3, s0, -v7
	v_rndne_f32_e32 v11, v7
	v_fmac_f32_e32 v8, 0x32a5705f, v5
	v_sub_f32_e32 v6, v6, v9
	v_fmac_f32_e32 v10, 0x32a5705f, v3
	v_sub_f32_e32 v7, v7, v11
	v_add_f32_e32 v6, v6, v8
	v_cvt_i32_f32_e32 v9, v9
	v_add_f32_e32 v7, v7, v10
	v_exp_f32_e32 v6, v6
	v_cvt_i32_f32_e32 v11, v11
	v_exp_f32_e32 v7, v7
	v_cmp_ngt_f32_e32 vcc, s1, v5
	v_ldexp_f32 v6, v6, v9
	s_mov_b32 s0, 0x42b17218
	v_ldexp_f32 v7, v7, v11
	v_cndmask_b32_e32 v6, 0, v6, vcc
	v_cmp_ngt_f32_e32 vcc, s1, v3
	v_mov_b32_e32 v8, 0x7f800000
	v_cndmask_b32_e32 v7, 0, v7, vcc
	v_cmp_nlt_f32_e32 vcc, s0, v5
	v_cndmask_b32_e32 v6, v8, v6, vcc
	v_cvt_f16_f32_e32 v9, v6
	v_cmp_nlt_f32_e32 vcc, s0, v3
	v_cndmask_b32_e32 v5, v8, v7, vcc
	v_fmac_f32_e32 v5, v21, v6
	v_pk_mul_f16 v0, v9, v0 op_sel_hi:[0,1]
	v_pk_mul_f16 v1, v9, v1 op_sel_hi:[0,1]
	v_pk_mov_b32 v[20:21], v[4:5], v[4:5] op_sel:[0,1]
	s_branch .LBB85_31
.LBB85_30:
	v_mov_b32_e32 v5, v21
.LBB85_31:
	v_div_scale_f32 v3, s[0:1], v5, v5, 1.0
	v_rcp_f32_e32 v4, v3
	s_load_dword s4, s[4:5], 0xd4
	s_mul_i32 s2, s33, s26
	v_cvt_f32_f16_sdwa v9, v0 dst_sel:DWORD dst_unused:UNUSED_PAD src0_sel:WORD_1
	v_fma_f32 v6, -v3, v4, 1.0
	v_fmac_f32_e32 v4, v6, v4
	v_div_scale_f32 v6, vcc, 1.0, v5, 1.0
	v_mul_f32_e32 v7, v6, v4
	v_fma_f32 v8, -v3, v7, v6
	v_fmac_f32_e32 v7, v8, v4
	v_fma_f32 v3, -v3, v7, v6
	s_waitcnt lgkmcnt(0)
	s_cmp_lg_u32 s4, 1
	v_div_fmas_f32 v3, v3, v4, v7
	v_div_fixup_f32 v3, v3, v5, 1.0
	s_cselect_b64 s[0:1], -1, 0
	s_add_i32 s2, s2, s6
	v_cndmask_b32_e64 v6, v3, 1.0, s[0:1]
	v_add_u32_e32 v3, s2, v23
	v_mad_u64_u32 v[2:3], s[2:3], v3, s27, v[2:3]
	v_mul_lo_u32 v2, s4, v2
	v_add_u32_e32 v2, s7, v2
	v_lshl_add_u32 v4, v2, 7, v24
	v_mov_b32_e32 v5, 0
	v_lshlrev_b64 v[4:5], 2, v[4:5]
	v_cvt_f32_f16_e32 v8, v0
	v_cvt_f32_f16_sdwa v11, v1 dst_sel:DWORD dst_unused:UNUSED_PAD src0_sel:WORD_1
	v_cvt_f32_f16_e32 v10, v1
	v_mov_b32_e32 v3, s21
	v_add_co_u32_e32 v0, vcc, s20, v4
	v_addc_co_u32_e32 v1, vcc, v3, v5, vcc
	v_cmp_eq_u32_e32 vcc, 0, v22
	v_pk_mul_f32 v[4:5], v[6:7], v[8:9] op_sel_hi:[0,1]
	v_pk_mul_f32 v[6:7], v[6:7], v[10:11] op_sel_hi:[0,1]
	s_and_b64 s[0:1], vcc, s[0:1]
	global_store_dwordx4 v[0:1], v[4:7], off
	s_and_b64 exec, exec, s[0:1]
	s_cbranch_execz .LBB85_23
; %bb.32:
	v_ashrrev_i32_e32 v3, 31, v2
	v_lshlrev_b64 v[0:1], 3, v[2:3]
	v_mov_b32_e32 v2, s23
	v_add_co_u32_e32 v0, vcc, s22, v0
	v_addc_co_u32_e32 v1, vcc, v2, v1, vcc
	global_store_dwordx2 v[0:1], v[20:21], off
	s_endpgm
	.section	.rodata,"a",@progbits
	.p2align	6, 0x0
	.amdhsa_kernel _ZL15flash_attn_tileILi128ELi128ELi1ELi2ELb1EEvPKcS1_S1_S1_S1_PKiPfP15HIP_vector_typeIfLj2EEffffjfiS5_IjLj3EEiiiiiiiiiiiliiliiiiil
		.amdhsa_group_segment_fixed_size 19488
		.amdhsa_private_segment_fixed_size 0
		.amdhsa_kernarg_size 464
		.amdhsa_user_sgpr_count 6
		.amdhsa_user_sgpr_private_segment_buffer 1
		.amdhsa_user_sgpr_dispatch_ptr 0
		.amdhsa_user_sgpr_queue_ptr 0
		.amdhsa_user_sgpr_kernarg_segment_ptr 1
		.amdhsa_user_sgpr_dispatch_id 0
		.amdhsa_user_sgpr_flat_scratch_init 0
		.amdhsa_user_sgpr_kernarg_preload_length 0
		.amdhsa_user_sgpr_kernarg_preload_offset 0
		.amdhsa_user_sgpr_private_segment_size 0
		.amdhsa_uses_dynamic_stack 0
		.amdhsa_system_sgpr_private_segment_wavefront_offset 0
		.amdhsa_system_sgpr_workgroup_id_x 1
		.amdhsa_system_sgpr_workgroup_id_y 1
		.amdhsa_system_sgpr_workgroup_id_z 1
		.amdhsa_system_sgpr_workgroup_info 0
		.amdhsa_system_vgpr_workitem_id 1
		.amdhsa_next_free_vgpr 142
		.amdhsa_next_free_sgpr 44
		.amdhsa_accum_offset 144
		.amdhsa_reserve_vcc 1
		.amdhsa_reserve_flat_scratch 0
		.amdhsa_float_round_mode_32 0
		.amdhsa_float_round_mode_16_64 0
		.amdhsa_float_denorm_mode_32 3
		.amdhsa_float_denorm_mode_16_64 3
		.amdhsa_dx10_clamp 1
		.amdhsa_ieee_mode 1
		.amdhsa_fp16_overflow 0
		.amdhsa_tg_split 0
		.amdhsa_exception_fp_ieee_invalid_op 0
		.amdhsa_exception_fp_denorm_src 0
		.amdhsa_exception_fp_ieee_div_zero 0
		.amdhsa_exception_fp_ieee_overflow 0
		.amdhsa_exception_fp_ieee_underflow 0
		.amdhsa_exception_fp_ieee_inexact 0
		.amdhsa_exception_int_div_zero 0
	.end_amdhsa_kernel
	.section	.text._ZL15flash_attn_tileILi128ELi128ELi1ELi2ELb1EEvPKcS1_S1_S1_S1_PKiPfP15HIP_vector_typeIfLj2EEffffjfiS5_IjLj3EEiiiiiiiiiiiliiliiiiil,"axG",@progbits,_ZL15flash_attn_tileILi128ELi128ELi1ELi2ELb1EEvPKcS1_S1_S1_S1_PKiPfP15HIP_vector_typeIfLj2EEffffjfiS5_IjLj3EEiiiiiiiiiiiliiliiiiil,comdat
.Lfunc_end85:
	.size	_ZL15flash_attn_tileILi128ELi128ELi1ELi2ELb1EEvPKcS1_S1_S1_S1_PKiPfP15HIP_vector_typeIfLj2EEffffjfiS5_IjLj3EEiiiiiiiiiiiliiliiiiil, .Lfunc_end85-_ZL15flash_attn_tileILi128ELi128ELi1ELi2ELb1EEvPKcS1_S1_S1_S1_PKiPfP15HIP_vector_typeIfLj2EEffffjfiS5_IjLj3EEiiiiiiiiiiiliiliiiiil
                                        ; -- End function
	.section	.AMDGPU.csdata,"",@progbits
; Kernel info:
; codeLenInByte = 6280
; NumSgprs: 48
; NumVgprs: 142
; NumAgprs: 0
; TotalNumVgprs: 142
; ScratchSize: 0
; MemoryBound: 0
; FloatMode: 240
; IeeeMode: 1
; LDSByteSize: 19488 bytes/workgroup (compile time only)
; SGPRBlocks: 5
; VGPRBlocks: 17
; NumSGPRsForWavesPerEU: 48
; NumVGPRsForWavesPerEU: 142
; AccumOffset: 144
; Occupancy: 3
; WaveLimiterHint : 1
; COMPUTE_PGM_RSRC2:SCRATCH_EN: 0
; COMPUTE_PGM_RSRC2:USER_SGPR: 6
; COMPUTE_PGM_RSRC2:TRAP_HANDLER: 0
; COMPUTE_PGM_RSRC2:TGID_X_EN: 1
; COMPUTE_PGM_RSRC2:TGID_Y_EN: 1
; COMPUTE_PGM_RSRC2:TGID_Z_EN: 1
; COMPUTE_PGM_RSRC2:TIDIG_COMP_CNT: 1
; COMPUTE_PGM_RSRC3_GFX90A:ACCUM_OFFSET: 35
; COMPUTE_PGM_RSRC3_GFX90A:TG_SPLIT: 0
	.section	.text._ZL15flash_attn_tileILi128ELi128ELi64ELi1ELb1EEvPKcS1_S1_S1_S1_PKiPfP15HIP_vector_typeIfLj2EEffffjfiS5_IjLj3EEiiiiiiiiiiiliiliiiiil,"axG",@progbits,_ZL15flash_attn_tileILi128ELi128ELi64ELi1ELb1EEvPKcS1_S1_S1_S1_PKiPfP15HIP_vector_typeIfLj2EEffffjfiS5_IjLj3EEiiiiiiiiiiiliiliiiiil,comdat
	.globl	_ZL15flash_attn_tileILi128ELi128ELi64ELi1ELb1EEvPKcS1_S1_S1_S1_PKiPfP15HIP_vector_typeIfLj2EEffffjfiS5_IjLj3EEiiiiiiiiiiiliiliiiiil ; -- Begin function _ZL15flash_attn_tileILi128ELi128ELi64ELi1ELb1EEvPKcS1_S1_S1_S1_PKiPfP15HIP_vector_typeIfLj2EEffffjfiS5_IjLj3EEiiiiiiiiiiiliiliiiiil
	.p2align	8
	.type	_ZL15flash_attn_tileILi128ELi128ELi64ELi1ELb1EEvPKcS1_S1_S1_S1_PKiPfP15HIP_vector_typeIfLj2EEffffjfiS5_IjLj3EEiiiiiiiiiiiliiliiiiil,@function
_ZL15flash_attn_tileILi128ELi128ELi64ELi1ELb1EEvPKcS1_S1_S1_S1_PKiPfP15HIP_vector_typeIfLj2EEffffjfiS5_IjLj3EEiiiiiiiiiiiliiliiiiil: ; @_ZL15flash_attn_tileILi128ELi128ELi64ELi1ELb1EEvPKcS1_S1_S1_S1_PKiPfP15HIP_vector_typeIfLj2EEffffjfiS5_IjLj3EEiiiiiiiiiiiliiliiiiil
; %bb.0:
	s_load_dwordx4 s[36:39], s[4:5], 0x5c
	s_load_dwordx2 s[44:45], s[4:5], 0x80
	s_add_u32 flat_scratch_lo, s6, s11
	s_addc_u32 flat_scratch_hi, s7, 0
	s_add_u32 s0, s0, s11
	s_waitcnt lgkmcnt(0)
	v_cvt_f32_u32_e32 v1, s39
	s_addc_u32 s1, s1, 0
	s_sub_i32 s6, 0, s39
	s_load_dwordx16 s[16:31], s[4:5], 0x0
	v_rcp_iflag_f32_e32 v1, v1
	s_load_dwordx2 s[46:47], s[4:5], 0xb8
	s_mov_b64 s[14:15], 0
	v_mul_f32_e32 v1, 0x4f7ffffe, v1
	v_cvt_u32_f32_e32 v1, v1
	v_readfirstlane_b32 s7, v1
	s_mul_i32 s6, s6, s7
	s_mul_hi_u32 s6, s7, s6
	s_add_i32 s7, s7, s6
	s_mul_hi_u32 s6, s10, s7
	s_mul_i32 s7, s6, s39
	s_sub_i32 s7, s10, s7
	s_add_i32 s11, s6, 1
	s_sub_i32 s12, s7, s39
	s_cmp_ge_u32 s7, s39
	s_cselect_b32 s6, s11, s6
	s_cselect_b32 s7, s12, s7
	s_add_i32 s11, s6, 1
	s_cmp_ge_u32 s7, s39
	s_cselect_b32 s33, s11, s6
	s_abs_i32 s6, s45
	v_cvt_f32_u32_e32 v1, s6
	s_mul_i32 s12, s33, s39
	s_sub_i32 s13, 0, s6
	s_sub_i32 s34, s10, s12
	v_rcp_iflag_f32_e32 v1, v1
	s_abs_i32 s11, s39
	s_xor_b32 s7, s39, s45
	s_ashr_i32 s7, s7, 31
	v_mul_f32_e32 v1, 0x4f7ffffe, v1
	v_cvt_u32_f32_e32 v1, v1
	v_readfirstlane_b32 s10, v1
	s_mul_i32 s13, s13, s10
	s_mul_hi_u32 s12, s10, s13
	s_add_i32 s10, s10, s12
	s_mul_hi_u32 s10, s11, s10
	s_mul_i32 s12, s10, s6
	s_sub_i32 s11, s11, s12
	s_add_i32 s13, s10, 1
	s_sub_i32 s12, s11, s6
	s_cmp_ge_u32 s11, s6
	s_cselect_b32 s10, s13, s10
	s_cselect_b32 s11, s12, s11
	s_add_i32 s12, s10, 1
	s_cmp_ge_u32 s11, s6
	s_cselect_b32 s6, s12, s10
	s_xor_b32 s6, s6, s7
	s_sub_i32 s49, s6, s7
	s_abs_i32 s45, s49
	v_cvt_f32_u32_e32 v1, s45
	s_sub_i32 s6, 0, s45
	s_abs_i32 s48, s34
	v_rcp_iflag_f32_e32 v1, v1
	v_mul_f32_e32 v1, 0x4f7ffffe, v1
	v_cvt_u32_f32_e32 v1, v1
	v_readfirstlane_b32 s7, v1
	s_mul_i32 s6, s6, s7
	s_mul_hi_u32 s6, s7, s6
	s_add_i32 s6, s7, s6
	s_waitcnt lgkmcnt(0)
	s_cmp_eq_u64 s[22:23], 0
	s_cbranch_scc1 .LBB86_2
; %bb.1:
	s_abs_i32 s7, s46
	v_cvt_f32_u32_e32 v1, s7
	s_sub_i32 s14, 0, s7
	s_abs_i32 s13, s33
	s_ashr_i32 s12, s33, 31
	v_rcp_iflag_f32_e32 v1, v1
	s_load_dwordx2 s[10:11], s[4:5], 0xc8
	v_mul_f32_e32 v1, 0x4f7ffffe, v1
	v_cvt_u32_f32_e32 v1, v1
	v_readfirstlane_b32 s15, v1
	s_mul_i32 s14, s14, s15
	s_mul_hi_u32 s14, s15, s14
	s_add_i32 s15, s15, s14
	s_mul_hi_u32 s14, s13, s15
	s_mul_i32 s14, s14, s7
	s_sub_i32 s13, s13, s14
	s_sub_i32 s14, s13, s7
	s_cmp_ge_u32 s13, s7
	s_cselect_b32 s13, s14, s13
	s_sub_i32 s14, s13, s7
	s_cmp_ge_u32 s13, s7
	s_cselect_b32 s7, s14, s13
	s_xor_b32 s7, s7, s12
	s_sub_i32 s7, s7, s12
	s_ashr_i32 s12, s7, 31
	s_waitcnt lgkmcnt(0)
	s_mul_i32 s11, s7, s11
	s_mul_hi_u32 s13, s7, s10
	s_add_i32 s11, s13, s11
	s_mul_i32 s12, s12, s10
	s_add_i32 s11, s11, s12
	s_mul_i32 s7, s7, s10
	s_add_u32 s14, s22, s7
	s_addc_u32 s15, s23, s11
.LBB86_2:
	s_load_dwordx4 s[40:43], s[4:5], 0x40
	s_load_dwordx2 s[22:23], s[4:5], 0x50
	s_mul_hi_u32 s46, s48, s6
	v_mov_b32_e32 v62, 1.0
	s_waitcnt lgkmcnt(0)
	v_cmp_le_f32_e64 s[6:7], s41, 0
	s_and_b64 vcc, exec, s[6:7]
	s_cbranch_vccnz .LBB86_4
; %bb.3:
	s_sub_i32 s6, s34, s22
	s_lshl_b32 s6, s6, 1
	s_add_i32 s10, s34, 1
	s_or_b32 s11, s6, 1
	s_cmp_lt_u32 s34, s22
	s_cselect_b64 vcc, -1, 0
	s_and_b64 s[6:7], vcc, exec
	v_mov_b32_e32 v1, s43
	v_mov_b32_e32 v2, s42
	s_cselect_b32 s6, s10, s11
	v_cndmask_b32_e32 v18, v1, v2, vcc
	v_cvt_f32_i32_e32 v1, s6
	v_cmp_neq_f32_e32 vcc, 1.0, v18
	s_mov_b32 s6, 0x3f2aaaab
	s_movk_i32 s10, 0x204
	v_cndmask_b32_e32 v19, 1.0, v1, vcc
	v_cmp_eq_f32_e32 vcc, 0, v19
	v_cndmask_b32_e64 v20, |v18|, 1.0, vcc
	v_frexp_mant_f32_e32 v1, v20
	v_cmp_gt_f32_e64 s[6:7], s6, v1
	v_cndmask_b32_e64 v2, 1.0, 2.0, s[6:7]
	v_mul_f32_e32 v1, v1, v2
	v_add_f32_e32 v2, 1.0, v1
	v_rcp_f32_e32 v10, v2
	v_add_f32_e32 v3, -1.0, v2
	v_sub_f32_e32 v5, v1, v3
	v_add_f32_e32 v3, -1.0, v1
	v_mul_f32_e32 v1, v3, v10
	v_mul_f32_e32 v4, v2, v1
	v_fma_f32 v6, v1, v2, -v4
	v_fmac_f32_e32 v6, v1, v5
	v_add_f32_e32 v2, v4, v6
	v_sub_f32_e32 v5, v3, v2
	v_pk_add_f32 v[8:9], v[2:3], v[4:5] neg_lo:[0,1] neg_hi:[0,1]
	v_mov_b32_e32 v7, v2
	v_pk_add_f32 v[2:3], v[8:9], v[6:7] neg_lo:[0,1] neg_hi:[0,1]
	v_add_f32_e32 v2, v2, v3
	v_add_f32_e32 v2, v5, v2
	v_mul_f32_e32 v3, v10, v2
	v_add_f32_e32 v2, v1, v3
	v_sub_f32_e32 v1, v2, v1
	v_sub_f32_e32 v1, v3, v1
	v_mul_f32_e32 v3, v2, v2
	v_fma_f32 v5, v2, v2, -v3
	v_add_f32_e32 v4, v1, v1
	v_fmac_f32_e32 v5, v2, v4
	v_add_f32_e32 v4, v3, v5
	v_mov_b32_e32 v6, 0x3e91f4c4
	v_fmac_f32_e32 v6, 0x3e76c4e1, v4
	v_mov_b32_e32 v7, 0x3ecccdef
	v_fmac_f32_e32 v7, v4, v6
	v_sub_f32_e32 v3, v4, v3
	v_sub_f32_e32 v12, v5, v3
	v_mul_f32_e32 v3, v4, v7
	v_fma_f32 v5, v4, v7, -v3
	v_fmac_f32_e32 v5, v12, v7
	v_add_f32_e32 v6, v3, v5
	v_add_f32_e32 v7, 0x3f2aaaaa, v6
	v_sub_f32_e32 v3, v6, v3
	v_sub_f32_e32 v3, v5, v3
	v_add_f32_e32 v5, 0xbf2aaaaa, v7
	v_add_f32_e32 v3, 0x31739010, v3
	v_sub_f32_e32 v5, v6, v5
	v_pk_mul_f32 v[8:9], v[2:3], v[4:5]
	v_fma_f32 v6, v4, v2, -v8
	v_pk_add_f32 v[10:11], v[2:3], v[4:5]
	v_fmac_f32_e32 v6, v4, v1
	v_mov_b32_e32 v9, v11
	v_fmac_f32_e32 v6, v12, v2
	v_pk_add_f32 v[4:5], v[8:9], v[6:7]
	v_sub_f32_e32 v3, v4, v8
	v_sub_f32_e32 v3, v6, v3
	v_sub_f32_e32 v6, v7, v5
	v_add_f32_e32 v9, v11, v6
	v_mov_b32_e32 v6, v5
	v_pk_mul_f32 v[6:7], v[4:5], v[6:7]
	v_cvt_f64_f32_e32 v[10:11], v20
	v_frexp_exp_i32_f64_e32 v7, v[10:11]
	v_subbrev_co_u32_e64 v7, s[6:7], 0, v7, s[6:7]
	v_cvt_f32_i32_e32 v7, v7
	v_fma_f32 v8, v4, v5, -v6
	v_fmac_f32_e32 v8, v4, v9
	s_mov_b32 s6, 0x3f317218
	v_mul_f32_e32 v4, 0x3f317218, v7
	v_fmac_f32_e32 v8, v3, v5
	v_fma_f32 v10, v7, s6, -v4
	v_fmac_f32_e32 v10, 0xb102e308, v7
	v_ldexp_f32 v11, v2, 1
	v_add_f32_e32 v5, v6, v8
	v_pk_add_f32 v[2:3], v[4:5], v[10:11]
	v_mov_b32_e32 v12, v5
	v_mov_b32_e32 v13, v3
	;; [unrolled: 1-line block ×3, first 2 shown]
	v_pk_add_f32 v[6:7], v[12:13], v[6:7] neg_lo:[0,1] neg_hi:[0,1]
	v_mov_b32_e32 v9, v5
	v_ldexp_f32 v1, v1, 1
	v_pk_add_f32 v[6:7], v[8:9], v[6:7] neg_lo:[0,1] neg_hi:[0,1]
	v_add_f32_e32 v1, v1, v6
	v_add_f32_e32 v5, v1, v7
	v_pk_add_f32 v[6:7], v[2:3], v[4:5] neg_lo:[0,1] neg_hi:[0,1]
	v_pk_add_f32 v[8:9], v[2:3], v[4:5]
	v_mov_b32_e32 v12, v6
	v_mov_b32_e32 v13, v9
	;; [unrolled: 1-line block ×3, first 2 shown]
	v_pk_add_f32 v[12:13], v[10:11], v[12:13]
	v_mov_b32_e32 v4, v13
	v_pk_add_f32 v[14:15], v[4:5], v[2:3] neg_lo:[0,1] neg_hi:[0,1]
	v_mov_b32_e32 v1, v14
	v_mov_b32_e32 v12, v9
	;; [unrolled: 1-line block ×4, first 2 shown]
	v_pk_add_f32 v[6:7], v[10:11], v[6:7] neg_lo:[0,1] neg_hi:[0,1]
	v_pk_add_f32 v[16:17], v[8:9], v[0:1] neg_lo:[0,1] neg_hi:[0,1]
	;; [unrolled: 1-line block ×3, first 2 shown]
	v_mov_b32_e32 v10, v5
	v_pk_add_f32 v[2:3], v[10:11], v[2:3] neg_lo:[0,1] neg_hi:[0,1]
	v_mov_b32_e32 v16, v6
	v_pk_add_f32 v[8:9], v[16:17], v[2:3]
	v_mov_b32_e32 v10, v9
	v_pk_add_f32 v[10:11], v[8:9], v[10:11]
	v_pk_add_f32 v[4:5], v[4:5], v[10:11]
	v_mov_b32_e32 v7, v13
	v_mov_b32_e32 v9, v4
	v_pk_add_f32 v[12:13], v[8:9], v[6:7] neg_lo:[0,1] neg_hi:[0,1]
	v_mov_b32_e32 v3, v10
	v_sub_f32_e32 v1, v8, v12
	v_pk_add_f32 v[2:3], v[2:3], v[12:13] neg_lo:[0,1] neg_hi:[0,1]
	v_sub_f32_e32 v1, v6, v1
	v_add_f32_e32 v1, v2, v1
	v_add_f32_e32 v1, v1, v3
	;; [unrolled: 1-line block ×3, first 2 shown]
	v_sub_f32_e32 v3, v2, v4
	v_sub_f32_e32 v1, v1, v3
	v_mul_f32_e32 v3, v19, v2
	v_fma_f32 v2, v19, v2, -v3
	v_fmac_f32_e32 v2, v19, v1
	v_add_f32_e32 v1, v3, v2
	v_cmp_class_f32_e64 s[6:7], v3, s10
	v_sub_f32_e32 v4, v1, v3
	v_cndmask_b32_e64 v1, v1, v3, s[6:7]
	s_mov_b32 s12, 0x42b17218
	v_mov_b32_e32 v3, 0x37000000
	v_cmp_eq_f32_e64 s[6:7], s12, v1
	v_cndmask_b32_e64 v3, 0, v3, s[6:7]
	v_sub_f32_e32 v2, v2, v4
	v_sub_f32_e32 v4, v1, v3
	s_mov_b32 s6, 0x3fb8aa3b
	v_mul_f32_e32 v5, 0x3fb8aa3b, v4
	v_fma_f32 v6, v4, s6, -v5
	v_rndne_f32_e32 v7, v5
	v_fmac_f32_e32 v6, 0x32a5705f, v4
	v_sub_f32_e32 v5, v5, v7
	v_add_f32_e32 v5, v5, v6
	v_exp_f32_e32 v5, v5
	v_cvt_i32_f32_e32 v6, v7
	s_mov_b32 s11, 0x7f800000
	v_cmp_neq_f32_e64 s[6:7], |v1|, s11
	v_cndmask_b32_e64 v1, 0, v2, s[6:7]
	s_mov_b32 s6, 0xc2ce8ed0
	v_ldexp_f32 v2, v5, v6
	v_cmp_ngt_f32_e64 s[6:7], s6, v4
	v_add_f32_e32 v1, v3, v1
	v_cndmask_b32_e64 v2, 0, v2, s[6:7]
	v_mov_b32_e32 v3, 0x7f800000
	v_cmp_nlt_f32_e64 s[6:7], s12, v4
	v_cndmask_b32_e64 v2, v3, v2, s[6:7]
	v_fma_f32 v1, v2, v1, v2
	v_cmp_class_f32_e64 s[6:7], v2, s10
	v_trunc_f32_e32 v4, v19
	v_cndmask_b32_e64 v1, v1, v2, s[6:7]
	v_cndmask_b32_e64 v2, v18, 1.0, vcc
	v_cmp_eq_f32_e32 vcc, v4, v19
	v_mul_f32_e32 v4, 0.5, v19
	v_trunc_f32_e32 v6, v4
	v_cmp_neq_f32_e64 s[6:7], v6, v4
	s_and_b64 s[6:7], vcc, s[6:7]
	v_cndmask_b32_e64 v4, 1.0, v2, s[6:7]
	s_brev_b32 s22, -2
	v_mov_b32_e32 v5, 0x7fc00000
	v_bfi_b32 v1, s22, v1, v4
	v_cndmask_b32_e32 v4, v5, v1, vcc
	v_cmp_gt_f32_e32 vcc, 0, v2
	v_cndmask_b32_e32 v1, v1, v4, vcc
	v_cmp_eq_f32_e32 vcc, s11, v20
	v_cmp_eq_f32_e64 s[10:11], 0, v2
	v_cmp_gt_f32_e64 s[12:13], 0, v19
	s_xor_b64 s[12:13], s[12:13], s[10:11]
	v_cndmask_b32_e64 v3, v3, 0, s[12:13]
	v_cndmask_b32_e64 v4, 0, v2, s[6:7]
	v_bfi_b32 v3, s22, v3, v4
	s_or_b64 vcc, vcc, s[10:11]
	v_cndmask_b32_e32 v1, v1, v3, vcc
	v_cmp_o_f32_e32 vcc, v2, v2
	v_cndmask_b32_e32 v62, v5, v1, vcc
.LBB86_4:
	s_load_dwordx4 s[52:55], s[4:5], 0x70
	s_ashr_i32 s35, s34, 31
	s_ashr_i32 s6, s49, 31
	s_lshl_b32 s42, s8, 6
	v_bfe_u32 v59, v0, 10, 10
	s_waitcnt lgkmcnt(0)
	s_mul_i32 s7, s33, s54
	s_ashr_i32 s11, s7, 31
	s_mul_i32 s10, s34, s53
	s_add_u32 s7, s16, s7
	s_addc_u32 s11, s17, s11
	s_ashr_i32 s12, s10, 31
	s_add_u32 s7, s7, s10
	v_and_b32_e32 v56, 0x3ff, v0
	s_addc_u32 s10, s11, s12
	v_lshlrev_b32_e32 v55, 3, v59
	v_lshlrev_b32_e32 v0, 4, v56
	v_mov_b32_e32 v1, s10
	v_add_co_u32_e32 v34, vcc, s7, v0
	v_add_u32_e32 v57, s42, v55
	v_addc_co_u32_e32 v35, vcc, 0, v1, vcc
	v_mul_hi_u32 v1, v57, s36
	v_add_u32_e32 v1, v57, v1
	v_lshrrev_b32_e32 v1, s37, v1
	s_ashr_i32 s12, s52, 31
	v_mul_lo_u32 v1, v1, s38
	v_mov_b32_e32 v2, s52
	v_sub_u32_e32 v1, v57, v1
	v_alignbit_b32 v30, s12, v2, 2
	v_mad_u64_u32 v[2:3], s[10:11], v30, v1, 0
	v_mov_b32_e32 v4, v3
	s_lshr_b32 s7, s12, 2
	v_mad_u64_u32 v[4:5], s[10:11], s7, v1, v[4:5]
	v_mov_b32_e32 v3, v4
	v_or_b32_e32 v53, 1, v55
	v_lshlrev_b64 v[2:3], 2, v[2:3]
	v_add_u32_e32 v54, s42, v53
	v_add_co_u32_e32 v10, vcc, v34, v2
	v_mul_hi_u32 v2, v54, s36
	v_add_u32_e32 v2, v54, v2
	v_lshrrev_b32_e32 v2, s37, v2
	v_mul_lo_u32 v2, v2, s38
	v_sub_u32_e32 v5, v54, v2
	v_addc_co_u32_e32 v11, vcc, v35, v3, vcc
	v_mad_u64_u32 v[2:3], s[10:11], v30, v5, 0
	v_mov_b32_e32 v4, v3
	v_mad_u64_u32 v[4:5], s[10:11], s7, v5, v[4:5]
	v_mov_b32_e32 v3, v4
	v_lshlrev_b64 v[2:3], 2, v[2:3]
	v_or_b32_e32 v51, 2, v55
	v_add_co_u32_e32 v12, vcc, v34, v2
	v_add_u32_e32 v52, s42, v51
	v_addc_co_u32_e32 v13, vcc, v35, v3, vcc
	global_load_dwordx4 v[2:5], v[10:11], off
	global_load_dwordx4 v[6:9], v[12:13], off
	v_mul_hi_u32 v10, v52, s36
	v_add_u32_e32 v10, v52, v10
	v_lshrrev_b32_e32 v10, s37, v10
	v_mul_lo_u32 v10, v10, s38
	v_sub_u32_e32 v13, v52, v10
	v_mad_u64_u32 v[10:11], s[10:11], v30, v13, 0
	v_mov_b32_e32 v12, v11
	v_mad_u64_u32 v[12:13], s[10:11], s7, v13, v[12:13]
	v_mov_b32_e32 v11, v12
	v_or_b32_e32 v49, 3, v55
	v_lshlrev_b64 v[10:11], 2, v[10:11]
	v_add_u32_e32 v50, s42, v49
	v_add_co_u32_e32 v18, vcc, v34, v10
	v_mul_hi_u32 v10, v50, s36
	v_add_u32_e32 v10, v50, v10
	v_lshrrev_b32_e32 v10, s37, v10
	v_mul_lo_u32 v10, v10, s38
	v_sub_u32_e32 v13, v50, v10
	v_addc_co_u32_e32 v19, vcc, v35, v11, vcc
	v_mad_u64_u32 v[10:11], s[10:11], v30, v13, 0
	v_mov_b32_e32 v12, v11
	v_mad_u64_u32 v[12:13], s[10:11], s7, v13, v[12:13]
	v_mov_b32_e32 v11, v12
	v_lshlrev_b64 v[10:11], 2, v[10:11]
	v_or_b32_e32 v47, 4, v55
	v_add_co_u32_e32 v20, vcc, v34, v10
	v_add_u32_e32 v48, s42, v47
	v_addc_co_u32_e32 v21, vcc, v35, v11, vcc
	global_load_dwordx4 v[10:13], v[18:19], off
	global_load_dwordx4 v[14:17], v[20:21], off
	v_mul_hi_u32 v18, v48, s36
	v_add_u32_e32 v18, v48, v18
	v_lshrrev_b32_e32 v18, s37, v18
	v_mul_lo_u32 v18, v18, s38
	v_sub_u32_e32 v21, v48, v18
	v_mad_u64_u32 v[18:19], s[10:11], v30, v21, 0
	v_mov_b32_e32 v20, v19
	v_mad_u64_u32 v[20:21], s[10:11], s7, v21, v[20:21]
	v_mov_b32_e32 v19, v20
	v_or_b32_e32 v44, 5, v55
	v_lshlrev_b64 v[18:19], 2, v[18:19]
	v_add_u32_e32 v46, s42, v44
	v_add_co_u32_e32 v26, vcc, v34, v18
	v_mul_hi_u32 v18, v46, s36
	v_add_u32_e32 v18, v46, v18
	v_lshrrev_b32_e32 v18, s37, v18
	v_mul_lo_u32 v18, v18, s38
	v_sub_u32_e32 v21, v46, v18
	v_addc_co_u32_e32 v27, vcc, v35, v19, vcc
	v_mad_u64_u32 v[18:19], s[10:11], v30, v21, 0
	v_mov_b32_e32 v20, v19
	v_mad_u64_u32 v[20:21], s[10:11], s7, v21, v[20:21]
	v_mov_b32_e32 v19, v20
	v_lshlrev_b64 v[18:19], 2, v[18:19]
	v_or_b32_e32 v42, 6, v55
	v_add_co_u32_e32 v28, vcc, v34, v18
	v_add_u32_e32 v43, s42, v42
	v_addc_co_u32_e32 v29, vcc, v35, v19, vcc
	global_load_dwordx4 v[18:21], v[26:27], off
	global_load_dwordx4 v[22:25], v[28:29], off
	v_mul_hi_u32 v26, v43, s36
	v_add_u32_e32 v26, v43, v26
	v_lshrrev_b32_e32 v26, s37, v26
	v_mul_lo_u32 v26, v26, s38
	v_sub_u32_e32 v29, v43, v26
	v_or_b32_e32 v40, 7, v55
	v_mad_u64_u32 v[26:27], s[10:11], v30, v29, 0
	v_add_u32_e32 v41, s42, v40
	v_mov_b32_e32 v28, v27
	v_mul_hi_u32 v31, v41, s36
	v_mad_u64_u32 v[28:29], s[10:11], s7, v29, v[28:29]
	v_add_u32_e32 v31, v41, v31
	v_mov_b32_e32 v27, v28
	v_lshrrev_b32_e32 v31, s37, v31
	v_lshlrev_b64 v[26:27], 2, v[26:27]
	v_mul_lo_u32 v31, v31, s38
	v_add_co_u32_e32 v26, vcc, v34, v26
	v_sub_u32_e32 v33, v41, v31
	v_addc_co_u32_e32 v27, vcc, v35, v27, vcc
	v_mad_u64_u32 v[30:31], s[10:11], v30, v33, 0
	global_load_dwordx4 v[26:29], v[26:27], off
	v_mov_b32_e32 v32, v31
	v_mad_u64_u32 v[32:33], s[10:11], s7, v33, v[32:33]
	v_mov_b32_e32 v31, v32
	v_lshlrev_b64 v[30:31], 2, v[30:31]
	v_add_co_u32_e32 v30, vcc, v34, v30
	v_addc_co_u32_e32 v31, vcc, v35, v31, vcc
	global_load_dwordx4 v[30:33], v[30:31], off
	s_waitcnt vmcnt(7)
	v_pk_mul_f32 v[2:3], v[2:3], s[40:41] op_sel_hi:[1,0]
	v_pk_mul_f32 v[4:5], v[4:5], s[40:41] op_sel_hi:[1,0]
	v_cvt_f16_f32_e32 v35, v3
	v_cvt_f16_f32_e32 v3, v5
	;; [unrolled: 1-line block ×4, first 2 shown]
	v_lshlrev_b32_e32 v58, 3, v56
	v_lshl_or_b32 v5, v59, 11, v58
	v_pack_b32_f16 v3, v4, v3
	v_pack_b32_f16 v2, v2, v35
	ds_write_b64 v5, v[2:3]
	s_waitcnt vmcnt(6)
	v_pk_mul_f32 v[2:3], v[6:7], s[40:41] op_sel_hi:[1,0]
	v_pk_mul_f32 v[4:5], v[8:9], s[40:41] op_sel_hi:[1,0]
	v_cvt_f16_f32_e32 v6, v3
	v_cvt_f16_f32_e32 v3, v5
	v_cvt_f16_f32_e32 v4, v4
	v_cvt_f16_f32_e32 v2, v2
	v_lshlrev_b32_e32 v34, 1, v56
	v_lshlrev_b32_e32 v5, 6, v53
	v_add_lshl_u32 v5, v5, v34, 2
	v_pack_b32_f16 v3, v4, v3
	v_pack_b32_f16 v2, v2, v6
	ds_write_b64 v5, v[2:3]
	s_waitcnt vmcnt(5)
	v_pk_mul_f32 v[2:3], v[10:11], s[40:41] op_sel_hi:[1,0]
	v_pk_mul_f32 v[4:5], v[12:13], s[40:41] op_sel_hi:[1,0]
	v_cvt_f16_f32_e32 v6, v3
	v_cvt_f16_f32_e32 v3, v5
	v_cvt_f16_f32_e32 v4, v4
	v_cvt_f16_f32_e32 v2, v2
	v_lshlrev_b32_e32 v5, 6, v51
	v_add_lshl_u32 v5, v5, v34, 2
	v_pack_b32_f16 v3, v4, v3
	v_pack_b32_f16 v2, v2, v6
	ds_write_b64 v5, v[2:3]
	s_waitcnt vmcnt(4)
	v_pk_mul_f32 v[2:3], v[14:15], s[40:41] op_sel_hi:[1,0]
	v_pk_mul_f32 v[4:5], v[16:17], s[40:41] op_sel_hi:[1,0]
	v_cvt_f16_f32_e32 v6, v3
	v_cvt_f16_f32_e32 v3, v5
	v_cvt_f16_f32_e32 v4, v4
	v_cvt_f16_f32_e32 v2, v2
	;; [unrolled: 12-line block ×4, first 2 shown]
	v_lshlrev_b32_e32 v5, 6, v44
	v_add_lshl_u32 v5, v5, v34, 2
	v_pack_b32_f16 v3, v4, v3
	v_pack_b32_f16 v2, v2, v6
	ds_write_b64 v5, v[2:3]
	s_cmp_eq_u64 s[26:27], 0
	s_waitcnt vmcnt(1)
	v_pk_mul_f32 v[2:3], v[26:27], s[40:41] op_sel_hi:[1,0]
	v_pk_mul_f32 v[4:5], v[28:29], s[40:41] op_sel_hi:[1,0]
	v_cvt_f16_f32_e32 v6, v3
	v_cvt_f16_f32_e32 v3, v5
	;; [unrolled: 1-line block ×4, first 2 shown]
	v_lshlrev_b32_e32 v5, 6, v42
	v_add_lshl_u32 v5, v5, v34, 2
	v_pack_b32_f16 v3, v4, v3
	v_pack_b32_f16 v2, v2, v6
	ds_write_b64 v5, v[2:3]
	s_waitcnt vmcnt(0)
	v_pk_mul_f32 v[2:3], v[30:31], s[40:41] op_sel_hi:[1,0]
	v_pk_mul_f32 v[4:5], v[32:33], s[40:41] op_sel_hi:[1,0]
	v_cvt_f16_f32_e32 v6, v3
	v_cvt_f16_f32_e32 v3, v5
	;; [unrolled: 1-line block ×4, first 2 shown]
	v_lshlrev_b32_e32 v5, 6, v40
	v_add_lshl_u32 v5, v5, v34, 2
	v_pack_b32_f16 v3, v4, v3
	v_pack_b32_f16 v2, v2, v6
	ds_write_b64 v5, v[2:3]
	s_waitcnt lgkmcnt(0)
	s_barrier
	s_cbranch_scc1 .LBB86_6
; %bb.5:
	s_load_dword s7, s[4:5], 0xd0
	s_mov_b32 s11, 0
	s_waitcnt lgkmcnt(0)
	s_mul_i32 s7, s7, s33
	s_add_i32 s10, s7, s8
	s_lshl_b64 s[10:11], s[10:11], 2
	s_add_u32 s10, s26, s10
	s_addc_u32 s11, s27, s11
	s_load_dword s44, s[10:11], 0x0
.LBB86_6:
	s_nop 0
	s_load_dwordx2 s[10:11], s[4:5], 0x8c
	s_load_dwordx4 s[52:55], s[4:5], 0x98
	s_ashr_i32 s7, s33, 31
	s_ashr_i32 s26, s47, 1
	s_mul_i32 s17, s46, s45
	s_waitcnt lgkmcnt(0)
	s_ashr_i32 s27, s10, 2
	s_mul_i32 s10, s33, s53
	s_mul_hi_u32 s16, s33, s52
	s_add_i32 s10, s16, s10
	s_mul_i32 s16, s7, s52
	s_ashr_i32 s8, s54, 2
	s_add_i32 s10, s10, s16
	s_mul_i32 s16, s33, s52
	s_add_u32 s16, s18, s16
	s_addc_u32 s10, s19, s10
	s_sub_i32 s17, s48, s17
	s_xor_b32 s6, s35, s6
	s_add_i32 s18, s46, 1
	s_sub_i32 s19, s17, s45
	s_cmp_ge_u32 s17, s45
	s_cselect_b32 s18, s18, s46
	s_cselect_b32 s17, s19, s17
	s_add_i32 s19, s18, 1
	s_cmp_ge_u32 s17, s45
	s_cselect_b32 s17, s19, s18
	s_load_dwordx2 s[12:13], s[4:5], 0xa8
	s_xor_b32 s17, s17, s6
	s_sub_i32 s6, s17, s6
	s_mul_i32 s11, s6, s11
	s_ashr_i32 s17, s11, 31
	s_add_u32 s40, s16, s11
	s_addc_u32 s41, s10, s17
	s_waitcnt lgkmcnt(0)
	s_mul_i32 s10, s33, s13
	s_mul_hi_u32 s11, s33, s12
	s_add_i32 s10, s11, s10
	s_mul_i32 s7, s7, s12
	s_add_i32 s10, s10, s7
	s_mul_i32 s7, s33, s12
	s_add_u32 s7, s20, s7
	s_mul_i32 s6, s6, s55
	s_addc_u32 s10, s21, s10
	s_ashr_i32 s11, s6, 31
	s_add_u32 s19, s7, s6
	v_lshlrev_b32_e32 v45, 2, v56
	s_addc_u32 s20, s10, s11
	s_lshl_b32 s18, s9, 6
	s_sub_i32 s21, s44, 64
	s_mov_b32 s48, 0xfeffffff
	s_cmp_ge_i32 s18, s21
	v_mov_b32_e32 v23, 0
	v_mov_b32_e32 v82, 0
	v_mul_lo_u32 v32, v1, s26
	v_lshrrev_b32_e32 v35, 2, v56
	v_and_b32_e32 v34, 12, v45
	v_lshlrev_b32_e32 v33, 11, v59
	v_or_b32_e32 v85, 1, v57
	v_or_b32_e32 v84, 2, v57
	v_or_b32_e32 v81, 3, v57
	v_or_b32_e32 v78, 4, v57
	v_or_b32_e32 v75, 5, v57
	v_or_b32_e32 v74, 6, v57
	v_or_b32_e32 v67, 7, v57
	v_lshrrev_b32_e32 v61, 4, v56
	v_and_b32_e32 v60, 60, v45
	v_mbcnt_lo_u32_b32 v86, -1, 0
	s_cbranch_scc1 .LBB86_114
; %bb.7:
	v_add_u32_e32 v1, v55, v35
	v_mul_u32_u24_e32 v2, 0x50, v1
	v_lshlrev_b32_e32 v4, 2, v34
	s_movk_i32 s6, 0x6000
	v_add3_u32 v36, v2, v4, s6
	v_mul_lo_u32 v2, s27, v1
	v_ashrrev_i32_e32 v3, 31, v2
	v_lshlrev_b64 v[2:3], 2, v[2:3]
	v_mov_b32_e32 v1, s41
	v_add_co_u32_e32 v2, vcc, s40, v2
	v_addc_co_u32_e32 v1, vcc, v1, v3, vcc
	v_add_co_u32_e32 v37, vcc, v2, v4
	v_addc_co_u32_e32 v38, vcc, 0, v1, vcc
	v_mul_hi_u32 v1, s36, v85
	v_add_u32_e32 v1, v85, v1
	v_lshrrev_b32_e32 v1, s37, v1
	v_mul_lo_u32 v1, v1, s38
	v_sub_u32_e32 v1, v85, v1
	v_mul_lo_u32 v87, v1, s26
	v_mul_hi_u32 v1, s36, v84
	v_add_u32_e32 v1, v84, v1
	v_lshrrev_b32_e32 v1, s37, v1
	v_mul_lo_u32 v1, v1, s38
	v_sub_u32_e32 v1, v84, v1
	v_mul_lo_u32 v88, v1, s26
	;; [unrolled: 6-line block ×7, first 2 shown]
	v_mov_b32_e32 v1, 0x4000
	v_lshl_add_u32 v94, v59, 10, v1
	v_lshl_add_u32 v1, v59, 1, v61
	v_lshlrev_b32_e32 v4, 2, v60
	v_lshl_or_b32 v2, v1, 8, v4
	v_add_u32_e32 v95, 0x6000, v2
	v_mul_lo_u32 v2, s8, v1
	v_ashrrev_i32_e32 v3, 31, v2
	v_lshlrev_b64 v[2:3], 2, v[2:3]
	s_cmp_lg_u64 s[14:15], 0
	v_mov_b32_e32 v1, s20
	v_add_co_u32_e32 v2, vcc, s19, v2
	s_cselect_b64 s[10:11], -1, 0
	v_addc_co_u32_e32 v1, vcc, v1, v3, vcc
	s_add_u32 s12, s4, 0xd0
	v_add_co_u32_e32 v96, vcc, v2, v4
	s_addc_u32 s13, s5, 0
	v_addc_co_u32_e32 v97, vcc, 0, v1, vcc
	v_mov_b32_e32 v1, 0x6000
	s_add_u32 s43, s14, 64
	v_mov_b32_e32 v4, 0xfeffffff
	v_mov_b32_e32 v16, 0
	v_mul_u32_u24_e32 v39, 0x50, v56
	v_lshl_or_b32 v98, v56, 3, v1
	s_mov_b32 s22, s23
	s_addc_u32 s45, s15, 0
	v_mov_b32_e32 v68, 0
	s_mov_b32 s46, 0x3f200000
	s_mov_b32 s47, 0x3fb8aa3b
	;; [unrolled: 1-line block ×4, first 2 shown]
	v_mov_b32_e32 v99, 0xbd5c1c4e
	v_mov_b32_e32 v100, 0x3e088382
	;; [unrolled: 1-line block ×3, first 2 shown]
	s_brev_b32 s50, -2
	v_mbcnt_hi_u32_b32 v102, -1, v86
	v_add_u32_e32 v103, v94, v0
	v_mov_b32_e32 v104, 0x7f800000
	v_mov_b32_e32 v69, 0
	;; [unrolled: 1-line block ×30, first 2 shown]
.LBB86_8:                               ; =>This Inner Loop Header: Depth=1
	s_mul_hi_i32 s7, s18, s27
	s_mul_i32 s6, s18, s27
	s_lshl_b64 s[6:7], s[6:7], 2
	v_mov_b32_e32 v9, s7
	v_add_co_u32_e32 v8, vcc, s6, v37
	v_addc_co_u32_e32 v9, vcc, v38, v9, vcc
	global_load_dwordx4 v[108:111], v[8:9], off
	v_mov_b32_e32 v10, 0
	v_mov_b32_e32 v105, 0
	;; [unrolled: 1-line block ×16, first 2 shown]
	s_waitcnt vmcnt(0)
	ds_write_b128 v36, v[108:111]
	s_waitcnt lgkmcnt(0)
	s_barrier
	ds_read_b128 v[108:111], v39 offset:24576
	ds_read_b128 v[112:115], v39 offset:27136
	ds_read_b128 v[116:119], v33
	ds_read_b128 v[120:123], v33 offset:256
	ds_read_b128 v[124:127], v33 offset:512
	;; [unrolled: 1-line block ×7, first 2 shown]
	s_waitcnt lgkmcnt(7)
	;;#ASMSTART
	v_dot2_f32_f16 v10, v108, v116, v10
	;;#ASMEND
	;;#ASMSTART
	v_dot2_f32_f16 v10, v109, v117, v10
	;;#ASMEND
	;;#ASMSTART
	v_dot2_f32_f16 v10, v110, v118, v10
	;;#ASMEND
	;;#ASMSTART
	v_dot2_f32_f16 v10, v111, v119, v10
	;;#ASMEND
	s_waitcnt lgkmcnt(6)
	;;#ASMSTART
	v_dot2_f32_f16 v105, v108, v120, v105
	;;#ASMEND
	;;#ASMSTART
	v_dot2_f32_f16 v105, v109, v121, v105
	;;#ASMEND
	;;#ASMSTART
	v_dot2_f32_f16 v105, v110, v122, v105
	;;#ASMEND
	;;#ASMSTART
	v_dot2_f32_f16 v105, v111, v123, v105
	;;#ASMEND
	;; [unrolled: 13-line block ×8, first 2 shown]
	;;#ASMSTART
	v_dot2_f32_f16 v11, v112, v116, v11
	;;#ASMEND
	;;#ASMSTART
	v_dot2_f32_f16 v11, v113, v117, v11
	;;#ASMEND
	;; [unrolled: 3-line block ×32, first 2 shown]
	ds_read_b128 v[108:111], v39 offset:24592
	ds_read_b128 v[112:115], v39 offset:27152
	;; [unrolled: 1-line block ×10, first 2 shown]
	s_waitcnt lgkmcnt(7)
	;;#ASMSTART
	v_dot2_f32_f16 v10, v108, v116, v10
	;;#ASMEND
	;;#ASMSTART
	v_dot2_f32_f16 v10, v109, v117, v10
	;;#ASMEND
	;;#ASMSTART
	v_dot2_f32_f16 v10, v110, v118, v10
	;;#ASMEND
	;;#ASMSTART
	v_dot2_f32_f16 v10, v111, v119, v10
	;;#ASMEND
	s_waitcnt lgkmcnt(6)
	;;#ASMSTART
	v_dot2_f32_f16 v105, v108, v120, v105
	;;#ASMEND
	;;#ASMSTART
	v_dot2_f32_f16 v105, v109, v121, v105
	;;#ASMEND
	;;#ASMSTART
	v_dot2_f32_f16 v105, v110, v122, v105
	;;#ASMEND
	;;#ASMSTART
	v_dot2_f32_f16 v105, v111, v123, v105
	;;#ASMEND
	;; [unrolled: 13-line block ×8, first 2 shown]
	;;#ASMSTART
	v_dot2_f32_f16 v11, v112, v116, v11
	;;#ASMEND
	;;#ASMSTART
	v_dot2_f32_f16 v11, v113, v117, v11
	;;#ASMEND
	;; [unrolled: 3-line block ×32, first 2 shown]
	ds_read_b128 v[108:111], v39 offset:24608
	ds_read_b128 v[112:115], v39 offset:27168
	;; [unrolled: 1-line block ×10, first 2 shown]
	s_waitcnt lgkmcnt(7)
	;;#ASMSTART
	v_dot2_f32_f16 v10, v108, v116, v10
	;;#ASMEND
	;;#ASMSTART
	v_dot2_f32_f16 v10, v109, v117, v10
	;;#ASMEND
	;;#ASMSTART
	v_dot2_f32_f16 v10, v110, v118, v10
	;;#ASMEND
	;;#ASMSTART
	v_dot2_f32_f16 v10, v111, v119, v10
	;;#ASMEND
	s_waitcnt lgkmcnt(6)
	;;#ASMSTART
	v_dot2_f32_f16 v105, v108, v120, v105
	;;#ASMEND
	;;#ASMSTART
	v_dot2_f32_f16 v105, v109, v121, v105
	;;#ASMEND
	;;#ASMSTART
	v_dot2_f32_f16 v105, v110, v122, v105
	;;#ASMEND
	;;#ASMSTART
	v_dot2_f32_f16 v105, v111, v123, v105
	;;#ASMEND
	;; [unrolled: 13-line block ×8, first 2 shown]
	;;#ASMSTART
	v_dot2_f32_f16 v11, v112, v116, v11
	;;#ASMEND
	;;#ASMSTART
	v_dot2_f32_f16 v11, v113, v117, v11
	;;#ASMEND
	;;#ASMSTART
	v_dot2_f32_f16 v11, v114, v118, v11
	;;#ASMEND
	;;#ASMSTART
	v_dot2_f32_f16 v11, v115, v119, v11
	;;#ASMEND
	;;#ASMSTART
	v_dot2_f32_f16 v106, v112, v120, v106
	;;#ASMEND
	;;#ASMSTART
	v_dot2_f32_f16 v106, v113, v121, v106
	;;#ASMEND
	;;#ASMSTART
	v_dot2_f32_f16 v106, v114, v122, v106
	;;#ASMEND
	;;#ASMSTART
	v_dot2_f32_f16 v106, v115, v123, v106
	;;#ASMEND
	;;#ASMSTART
	v_dot2_f32_f16 v13, v112, v124, v13
	;;#ASMEND
	;;#ASMSTART
	v_dot2_f32_f16 v13, v113, v125, v13
	;;#ASMEND
	;;#ASMSTART
	v_dot2_f32_f16 v13, v114, v126, v13
	;;#ASMEND
	;;#ASMSTART
	v_dot2_f32_f16 v13, v115, v127, v13
	;;#ASMEND
	;;#ASMSTART
	v_dot2_f32_f16 v25, v112, v128, v25
	;;#ASMEND
	;;#ASMSTART
	v_dot2_f32_f16 v25, v113, v129, v25
	;;#ASMEND
	;;#ASMSTART
	v_dot2_f32_f16 v25, v114, v130, v25
	;;#ASMEND
	;;#ASMSTART
	v_dot2_f32_f16 v25, v115, v131, v25
	;;#ASMEND
	;;#ASMSTART
	v_dot2_f32_f16 v24, v112, v132, v24
	;;#ASMEND
	;;#ASMSTART
	v_dot2_f32_f16 v24, v113, v133, v24
	;;#ASMEND
	;;#ASMSTART
	v_dot2_f32_f16 v24, v114, v134, v24
	;;#ASMEND
	;;#ASMSTART
	v_dot2_f32_f16 v24, v115, v135, v24
	;;#ASMEND
	;;#ASMSTART
	v_dot2_f32_f16 v31, v112, v136, v31
	;;#ASMEND
	;;#ASMSTART
	v_dot2_f32_f16 v31, v113, v137, v31
	;;#ASMEND
	;;#ASMSTART
	v_dot2_f32_f16 v31, v114, v138, v31
	;;#ASMEND
	;;#ASMSTART
	v_dot2_f32_f16 v31, v115, v139, v31
	;;#ASMEND
	;;#ASMSTART
	v_dot2_f32_f16 v27, v112, v140, v27
	;;#ASMEND
	;;#ASMSTART
	v_dot2_f32_f16 v27, v113, v141, v27
	;;#ASMEND
	;;#ASMSTART
	v_dot2_f32_f16 v27, v114, v142, v27
	;;#ASMEND
	;;#ASMSTART
	v_dot2_f32_f16 v27, v115, v143, v27
	;;#ASMEND
	;;#ASMSTART
	v_dot2_f32_f16 v29, v112, v144, v29
	;;#ASMEND
	;;#ASMSTART
	v_dot2_f32_f16 v29, v113, v145, v29
	;;#ASMEND
	;;#ASMSTART
	v_dot2_f32_f16 v29, v114, v146, v29
	;;#ASMEND
	;;#ASMSTART
	v_dot2_f32_f16 v29, v115, v147, v29
	;;#ASMEND
	ds_read_b128 v[108:111], v39 offset:24624
	ds_read_b128 v[112:115], v39 offset:27184
	;; [unrolled: 1-line block ×10, first 2 shown]
	s_waitcnt lgkmcnt(7)
	;;#ASMSTART
	v_dot2_f32_f16 v10, v108, v116, v10
	;;#ASMEND
	;;#ASMSTART
	v_dot2_f32_f16 v10, v109, v117, v10
	;;#ASMEND
	;;#ASMSTART
	v_dot2_f32_f16 v10, v110, v118, v10
	;;#ASMEND
	;;#ASMSTART
	v_dot2_f32_f16 v10, v111, v119, v10
	;;#ASMEND
	s_waitcnt lgkmcnt(6)
	;;#ASMSTART
	v_dot2_f32_f16 v105, v108, v120, v105
	;;#ASMEND
	;;#ASMSTART
	v_dot2_f32_f16 v105, v109, v121, v105
	;;#ASMEND
	;;#ASMSTART
	v_dot2_f32_f16 v105, v110, v122, v105
	;;#ASMEND
	;;#ASMSTART
	v_dot2_f32_f16 v105, v111, v123, v105
	;;#ASMEND
	;; [unrolled: 13-line block ×8, first 2 shown]
	;;#ASMSTART
	v_dot2_f32_f16 v11, v112, v116, v11
	;;#ASMEND
	;;#ASMSTART
	v_dot2_f32_f16 v11, v113, v117, v11
	;;#ASMEND
	;; [unrolled: 3-line block ×32, first 2 shown]
	s_barrier
	global_load_dwordx4 v[108:111], v[8:9], off offset:64
	s_waitcnt vmcnt(0)
	ds_write_b128 v36, v[108:111]
	s_waitcnt lgkmcnt(0)
	s_barrier
	ds_read_b128 v[108:111], v39 offset:24576
	ds_read_b128 v[112:115], v39 offset:27136
	ds_read_b128 v[116:119], v33 offset:64
	ds_read_b128 v[120:123], v33 offset:320
	ds_read_b128 v[124:127], v33 offset:576
	ds_read_b128 v[128:131], v33 offset:832
	ds_read_b128 v[132:135], v33 offset:1088
	ds_read_b128 v[136:139], v33 offset:1344
	ds_read_b128 v[140:143], v33 offset:1600
	ds_read_b128 v[144:147], v33 offset:1856
	s_waitcnt lgkmcnt(7)
	;;#ASMSTART
	v_dot2_f32_f16 v10, v108, v116, v10
	;;#ASMEND
	;;#ASMSTART
	v_dot2_f32_f16 v10, v109, v117, v10
	;;#ASMEND
	;;#ASMSTART
	v_dot2_f32_f16 v10, v110, v118, v10
	;;#ASMEND
	;;#ASMSTART
	v_dot2_f32_f16 v10, v111, v119, v10
	;;#ASMEND
	s_waitcnt lgkmcnt(6)
	;;#ASMSTART
	v_dot2_f32_f16 v105, v108, v120, v105
	;;#ASMEND
	;;#ASMSTART
	v_dot2_f32_f16 v105, v109, v121, v105
	;;#ASMEND
	;;#ASMSTART
	v_dot2_f32_f16 v105, v110, v122, v105
	;;#ASMEND
	;;#ASMSTART
	v_dot2_f32_f16 v105, v111, v123, v105
	;;#ASMEND
	;; [unrolled: 13-line block ×8, first 2 shown]
	;;#ASMSTART
	v_dot2_f32_f16 v11, v112, v116, v11
	;;#ASMEND
	;;#ASMSTART
	v_dot2_f32_f16 v11, v113, v117, v11
	;;#ASMEND
	;; [unrolled: 3-line block ×32, first 2 shown]
	ds_read_b128 v[108:111], v39 offset:24592
	ds_read_b128 v[112:115], v39 offset:27152
	;; [unrolled: 1-line block ×10, first 2 shown]
	s_waitcnt lgkmcnt(7)
	;;#ASMSTART
	v_dot2_f32_f16 v10, v108, v116, v10
	;;#ASMEND
	;;#ASMSTART
	v_dot2_f32_f16 v10, v109, v117, v10
	;;#ASMEND
	;;#ASMSTART
	v_dot2_f32_f16 v10, v110, v118, v10
	;;#ASMEND
	;;#ASMSTART
	v_dot2_f32_f16 v10, v111, v119, v10
	;;#ASMEND
	s_waitcnt lgkmcnt(6)
	;;#ASMSTART
	v_dot2_f32_f16 v105, v108, v120, v105
	;;#ASMEND
	;;#ASMSTART
	v_dot2_f32_f16 v105, v109, v121, v105
	;;#ASMEND
	;;#ASMSTART
	v_dot2_f32_f16 v105, v110, v122, v105
	;;#ASMEND
	;;#ASMSTART
	v_dot2_f32_f16 v105, v111, v123, v105
	;;#ASMEND
	;; [unrolled: 13-line block ×8, first 2 shown]
	;;#ASMSTART
	v_dot2_f32_f16 v11, v112, v116, v11
	;;#ASMEND
	;;#ASMSTART
	v_dot2_f32_f16 v11, v113, v117, v11
	;;#ASMEND
	;; [unrolled: 3-line block ×32, first 2 shown]
	ds_read_b128 v[108:111], v39 offset:24608
	ds_read_b128 v[112:115], v39 offset:27168
	;; [unrolled: 1-line block ×10, first 2 shown]
	s_waitcnt lgkmcnt(7)
	;;#ASMSTART
	v_dot2_f32_f16 v10, v108, v116, v10
	;;#ASMEND
	;;#ASMSTART
	v_dot2_f32_f16 v10, v109, v117, v10
	;;#ASMEND
	;;#ASMSTART
	v_dot2_f32_f16 v10, v110, v118, v10
	;;#ASMEND
	;;#ASMSTART
	v_dot2_f32_f16 v10, v111, v119, v10
	;;#ASMEND
	s_waitcnt lgkmcnt(6)
	;;#ASMSTART
	v_dot2_f32_f16 v105, v108, v120, v105
	;;#ASMEND
	;;#ASMSTART
	v_dot2_f32_f16 v105, v109, v121, v105
	;;#ASMEND
	;;#ASMSTART
	v_dot2_f32_f16 v105, v110, v122, v105
	;;#ASMEND
	;;#ASMSTART
	v_dot2_f32_f16 v105, v111, v123, v105
	;;#ASMEND
	;; [unrolled: 13-line block ×8, first 2 shown]
	;;#ASMSTART
	v_dot2_f32_f16 v11, v112, v116, v11
	;;#ASMEND
	;;#ASMSTART
	v_dot2_f32_f16 v11, v113, v117, v11
	;;#ASMEND
	;; [unrolled: 3-line block ×32, first 2 shown]
	ds_read_b128 v[108:111], v39 offset:24624
	ds_read_b128 v[112:115], v39 offset:27184
	;; [unrolled: 1-line block ×10, first 2 shown]
	s_waitcnt lgkmcnt(7)
	;;#ASMSTART
	v_dot2_f32_f16 v10, v108, v116, v10
	;;#ASMEND
	;;#ASMSTART
	v_dot2_f32_f16 v10, v109, v117, v10
	;;#ASMEND
	;;#ASMSTART
	v_dot2_f32_f16 v10, v110, v118, v10
	;;#ASMEND
	;;#ASMSTART
	v_dot2_f32_f16 v10, v111, v119, v10
	;;#ASMEND
	s_waitcnt lgkmcnt(6)
	;;#ASMSTART
	v_dot2_f32_f16 v105, v108, v120, v105
	;;#ASMEND
	;;#ASMSTART
	v_dot2_f32_f16 v105, v109, v121, v105
	;;#ASMEND
	;;#ASMSTART
	v_dot2_f32_f16 v105, v110, v122, v105
	;;#ASMEND
	;;#ASMSTART
	v_dot2_f32_f16 v105, v111, v123, v105
	;;#ASMEND
	;; [unrolled: 13-line block ×8, first 2 shown]
	;;#ASMSTART
	v_dot2_f32_f16 v11, v112, v116, v11
	;;#ASMEND
	;;#ASMSTART
	v_dot2_f32_f16 v11, v113, v117, v11
	;;#ASMEND
	;; [unrolled: 3-line block ×32, first 2 shown]
	s_barrier
	global_load_dwordx4 v[108:111], v[8:9], off offset:128
	s_waitcnt vmcnt(0)
	ds_write_b128 v36, v[108:111]
	s_waitcnt lgkmcnt(0)
	s_barrier
	ds_read_b128 v[108:111], v39 offset:24576
	ds_read_b128 v[112:115], v39 offset:27136
	;; [unrolled: 1-line block ×10, first 2 shown]
	s_waitcnt lgkmcnt(7)
	;;#ASMSTART
	v_dot2_f32_f16 v10, v108, v116, v10
	;;#ASMEND
	;;#ASMSTART
	v_dot2_f32_f16 v10, v109, v117, v10
	;;#ASMEND
	;;#ASMSTART
	v_dot2_f32_f16 v10, v110, v118, v10
	;;#ASMEND
	;;#ASMSTART
	v_dot2_f32_f16 v10, v111, v119, v10
	;;#ASMEND
	s_waitcnt lgkmcnt(6)
	;;#ASMSTART
	v_dot2_f32_f16 v105, v108, v120, v105
	;;#ASMEND
	;;#ASMSTART
	v_dot2_f32_f16 v105, v109, v121, v105
	;;#ASMEND
	;;#ASMSTART
	v_dot2_f32_f16 v105, v110, v122, v105
	;;#ASMEND
	;;#ASMSTART
	v_dot2_f32_f16 v105, v111, v123, v105
	;;#ASMEND
	;; [unrolled: 13-line block ×8, first 2 shown]
	;;#ASMSTART
	v_dot2_f32_f16 v11, v112, v116, v11
	;;#ASMEND
	;;#ASMSTART
	v_dot2_f32_f16 v11, v113, v117, v11
	;;#ASMEND
	;; [unrolled: 3-line block ×32, first 2 shown]
	ds_read_b128 v[108:111], v39 offset:24592
	ds_read_b128 v[112:115], v39 offset:27152
	;; [unrolled: 1-line block ×10, first 2 shown]
	s_waitcnt lgkmcnt(7)
	;;#ASMSTART
	v_dot2_f32_f16 v10, v108, v116, v10
	;;#ASMEND
	;;#ASMSTART
	v_dot2_f32_f16 v10, v109, v117, v10
	;;#ASMEND
	;;#ASMSTART
	v_dot2_f32_f16 v10, v110, v118, v10
	;;#ASMEND
	;;#ASMSTART
	v_dot2_f32_f16 v10, v111, v119, v10
	;;#ASMEND
	s_waitcnt lgkmcnt(6)
	;;#ASMSTART
	v_dot2_f32_f16 v105, v108, v120, v105
	;;#ASMEND
	;;#ASMSTART
	v_dot2_f32_f16 v105, v109, v121, v105
	;;#ASMEND
	;;#ASMSTART
	v_dot2_f32_f16 v105, v110, v122, v105
	;;#ASMEND
	;;#ASMSTART
	v_dot2_f32_f16 v105, v111, v123, v105
	;;#ASMEND
	;; [unrolled: 13-line block ×8, first 2 shown]
	;;#ASMSTART
	v_dot2_f32_f16 v11, v112, v116, v11
	;;#ASMEND
	;;#ASMSTART
	v_dot2_f32_f16 v11, v113, v117, v11
	;;#ASMEND
	;; [unrolled: 3-line block ×32, first 2 shown]
	ds_read_b128 v[108:111], v39 offset:24608
	ds_read_b128 v[112:115], v39 offset:27168
	;; [unrolled: 1-line block ×10, first 2 shown]
	s_waitcnt lgkmcnt(7)
	;;#ASMSTART
	v_dot2_f32_f16 v10, v108, v116, v10
	;;#ASMEND
	;;#ASMSTART
	v_dot2_f32_f16 v10, v109, v117, v10
	;;#ASMEND
	;;#ASMSTART
	v_dot2_f32_f16 v10, v110, v118, v10
	;;#ASMEND
	;;#ASMSTART
	v_dot2_f32_f16 v10, v111, v119, v10
	;;#ASMEND
	s_waitcnt lgkmcnt(6)
	;;#ASMSTART
	v_dot2_f32_f16 v105, v108, v120, v105
	;;#ASMEND
	;;#ASMSTART
	v_dot2_f32_f16 v105, v109, v121, v105
	;;#ASMEND
	;;#ASMSTART
	v_dot2_f32_f16 v105, v110, v122, v105
	;;#ASMEND
	;;#ASMSTART
	v_dot2_f32_f16 v105, v111, v123, v105
	;;#ASMEND
	;; [unrolled: 13-line block ×8, first 2 shown]
	;;#ASMSTART
	v_dot2_f32_f16 v11, v112, v116, v11
	;;#ASMEND
	;;#ASMSTART
	v_dot2_f32_f16 v11, v113, v117, v11
	;;#ASMEND
	;; [unrolled: 3-line block ×32, first 2 shown]
	ds_read_b128 v[108:111], v39 offset:24624
	ds_read_b128 v[112:115], v39 offset:27184
	;; [unrolled: 1-line block ×10, first 2 shown]
	s_waitcnt lgkmcnt(7)
	;;#ASMSTART
	v_dot2_f32_f16 v10, v108, v116, v10
	;;#ASMEND
	;;#ASMSTART
	v_dot2_f32_f16 v10, v109, v117, v10
	;;#ASMEND
	;;#ASMSTART
	v_dot2_f32_f16 v10, v110, v118, v10
	;;#ASMEND
	;;#ASMSTART
	v_dot2_f32_f16 v10, v111, v119, v10
	;;#ASMEND
	s_waitcnt lgkmcnt(6)
	;;#ASMSTART
	v_dot2_f32_f16 v105, v108, v120, v105
	;;#ASMEND
	;;#ASMSTART
	v_dot2_f32_f16 v105, v109, v121, v105
	;;#ASMEND
	;;#ASMSTART
	v_dot2_f32_f16 v105, v110, v122, v105
	;;#ASMEND
	;;#ASMSTART
	v_dot2_f32_f16 v105, v111, v123, v105
	;;#ASMEND
	;; [unrolled: 13-line block ×8, first 2 shown]
	;;#ASMSTART
	v_dot2_f32_f16 v11, v112, v116, v11
	;;#ASMEND
	;;#ASMSTART
	v_dot2_f32_f16 v11, v113, v117, v11
	;;#ASMEND
	;; [unrolled: 3-line block ×32, first 2 shown]
	s_barrier
	global_load_dwordx4 v[108:111], v[8:9], off offset:192
	s_waitcnt vmcnt(0)
	ds_write_b128 v36, v[108:111]
	s_waitcnt lgkmcnt(0)
	s_barrier
	ds_read_b128 v[108:111], v39 offset:24576
	ds_read_b128 v[112:115], v39 offset:27136
	ds_read_b128 v[116:119], v33 offset:192
	ds_read_b128 v[120:123], v33 offset:448
	ds_read_b128 v[124:127], v33 offset:704
	ds_read_b128 v[128:131], v33 offset:960
	ds_read_b128 v[132:135], v33 offset:1216
	ds_read_b128 v[136:139], v33 offset:1472
	ds_read_b128 v[140:143], v33 offset:1728
	ds_read_b128 v[144:147], v33 offset:1984
	s_waitcnt lgkmcnt(7)
	;;#ASMSTART
	v_dot2_f32_f16 v10, v108, v116, v10
	;;#ASMEND
	;;#ASMSTART
	v_dot2_f32_f16 v10, v109, v117, v10
	;;#ASMEND
	;;#ASMSTART
	v_dot2_f32_f16 v10, v110, v118, v10
	;;#ASMEND
	;;#ASMSTART
	v_dot2_f32_f16 v10, v111, v119, v10
	;;#ASMEND
	s_waitcnt lgkmcnt(6)
	;;#ASMSTART
	v_dot2_f32_f16 v105, v108, v120, v105
	;;#ASMEND
	;;#ASMSTART
	v_dot2_f32_f16 v105, v109, v121, v105
	;;#ASMEND
	;;#ASMSTART
	v_dot2_f32_f16 v105, v110, v122, v105
	;;#ASMEND
	;;#ASMSTART
	v_dot2_f32_f16 v105, v111, v123, v105
	;;#ASMEND
	;; [unrolled: 13-line block ×8, first 2 shown]
	;;#ASMSTART
	v_dot2_f32_f16 v11, v112, v116, v11
	;;#ASMEND
	;;#ASMSTART
	v_dot2_f32_f16 v11, v113, v117, v11
	;;#ASMEND
	;; [unrolled: 3-line block ×32, first 2 shown]
	ds_read_b128 v[108:111], v39 offset:24592
	ds_read_b128 v[112:115], v39 offset:27152
	;; [unrolled: 1-line block ×10, first 2 shown]
	s_waitcnt lgkmcnt(7)
	;;#ASMSTART
	v_dot2_f32_f16 v10, v108, v116, v10
	;;#ASMEND
	;;#ASMSTART
	v_dot2_f32_f16 v10, v109, v117, v10
	;;#ASMEND
	;;#ASMSTART
	v_dot2_f32_f16 v10, v110, v118, v10
	;;#ASMEND
	;;#ASMSTART
	v_dot2_f32_f16 v10, v111, v119, v10
	;;#ASMEND
	s_waitcnt lgkmcnt(6)
	;;#ASMSTART
	v_dot2_f32_f16 v105, v108, v120, v105
	;;#ASMEND
	;;#ASMSTART
	v_dot2_f32_f16 v105, v109, v121, v105
	;;#ASMEND
	;;#ASMSTART
	v_dot2_f32_f16 v105, v110, v122, v105
	;;#ASMEND
	;;#ASMSTART
	v_dot2_f32_f16 v105, v111, v123, v105
	;;#ASMEND
	s_waitcnt lgkmcnt(5)
	;;#ASMSTART
	v_dot2_f32_f16 v12, v108, v124, v12
	;;#ASMEND
	;;#ASMSTART
	v_dot2_f32_f16 v12, v109, v125, v12
	;;#ASMEND
	;;#ASMSTART
	v_dot2_f32_f16 v12, v110, v126, v12
	;;#ASMEND
	;;#ASMSTART
	v_dot2_f32_f16 v12, v111, v127, v12
	;;#ASMEND
	s_waitcnt lgkmcnt(4)
	;;#ASMSTART
	v_dot2_f32_f16 v14, v108, v128, v14
	;;#ASMEND
	;;#ASMSTART
	v_dot2_f32_f16 v14, v109, v129, v14
	;;#ASMEND
	;;#ASMSTART
	v_dot2_f32_f16 v14, v110, v130, v14
	;;#ASMEND
	;;#ASMSTART
	v_dot2_f32_f16 v14, v111, v131, v14
	;;#ASMEND
	s_waitcnt lgkmcnt(3)
	;;#ASMSTART
	v_dot2_f32_f16 v15, v108, v132, v15
	;;#ASMEND
	;;#ASMSTART
	v_dot2_f32_f16 v15, v109, v133, v15
	;;#ASMEND
	;;#ASMSTART
	v_dot2_f32_f16 v15, v110, v134, v15
	;;#ASMEND
	;;#ASMSTART
	v_dot2_f32_f16 v15, v111, v135, v15
	;;#ASMEND
	s_waitcnt lgkmcnt(2)
	;;#ASMSTART
	v_dot2_f32_f16 v30, v108, v136, v30
	;;#ASMEND
	;;#ASMSTART
	v_dot2_f32_f16 v30, v109, v137, v30
	;;#ASMEND
	;;#ASMSTART
	v_dot2_f32_f16 v30, v110, v138, v30
	;;#ASMEND
	;;#ASMSTART
	v_dot2_f32_f16 v30, v111, v139, v30
	;;#ASMEND
	s_waitcnt lgkmcnt(1)
	;;#ASMSTART
	v_dot2_f32_f16 v26, v108, v140, v26
	;;#ASMEND
	;;#ASMSTART
	v_dot2_f32_f16 v26, v109, v141, v26
	;;#ASMEND
	;;#ASMSTART
	v_dot2_f32_f16 v26, v110, v142, v26
	;;#ASMEND
	;;#ASMSTART
	v_dot2_f32_f16 v26, v111, v143, v26
	;;#ASMEND
	s_waitcnt lgkmcnt(0)
	;;#ASMSTART
	v_dot2_f32_f16 v28, v108, v144, v28
	;;#ASMEND
	;;#ASMSTART
	v_dot2_f32_f16 v28, v109, v145, v28
	;;#ASMEND
	;;#ASMSTART
	v_dot2_f32_f16 v28, v110, v146, v28
	;;#ASMEND
	;;#ASMSTART
	v_dot2_f32_f16 v28, v111, v147, v28
	;;#ASMEND
	;;#ASMSTART
	v_dot2_f32_f16 v11, v112, v116, v11
	;;#ASMEND
	;;#ASMSTART
	v_dot2_f32_f16 v11, v113, v117, v11
	;;#ASMEND
	;; [unrolled: 3-line block ×32, first 2 shown]
	ds_read_b128 v[108:111], v39 offset:24608
	ds_read_b128 v[112:115], v39 offset:27168
	;; [unrolled: 1-line block ×10, first 2 shown]
	s_waitcnt lgkmcnt(7)
	;;#ASMSTART
	v_dot2_f32_f16 v10, v108, v116, v10
	;;#ASMEND
	;;#ASMSTART
	v_dot2_f32_f16 v10, v109, v117, v10
	;;#ASMEND
	;;#ASMSTART
	v_dot2_f32_f16 v10, v110, v118, v10
	;;#ASMEND
	;;#ASMSTART
	v_dot2_f32_f16 v10, v111, v119, v10
	;;#ASMEND
	s_waitcnt lgkmcnt(6)
	;;#ASMSTART
	v_dot2_f32_f16 v105, v108, v120, v105
	;;#ASMEND
	;;#ASMSTART
	v_dot2_f32_f16 v105, v109, v121, v105
	;;#ASMEND
	;;#ASMSTART
	v_dot2_f32_f16 v105, v110, v122, v105
	;;#ASMEND
	;;#ASMSTART
	v_dot2_f32_f16 v105, v111, v123, v105
	;;#ASMEND
	;; [unrolled: 13-line block ×8, first 2 shown]
	;;#ASMSTART
	v_dot2_f32_f16 v11, v112, v116, v11
	;;#ASMEND
	;;#ASMSTART
	v_dot2_f32_f16 v11, v113, v117, v11
	;;#ASMEND
	;; [unrolled: 3-line block ×32, first 2 shown]
	ds_read_b128 v[108:111], v39 offset:24624
	ds_read_b128 v[112:115], v39 offset:27184
	;; [unrolled: 1-line block ×10, first 2 shown]
	s_waitcnt lgkmcnt(7)
	;;#ASMSTART
	v_dot2_f32_f16 v10, v108, v116, v10
	;;#ASMEND
	;;#ASMSTART
	v_dot2_f32_f16 v10, v109, v117, v10
	;;#ASMEND
	;;#ASMSTART
	v_dot2_f32_f16 v10, v110, v118, v10
	;;#ASMEND
	;;#ASMSTART
	v_dot2_f32_f16 v10, v111, v119, v10
	;;#ASMEND
	s_waitcnt lgkmcnt(6)
	;;#ASMSTART
	v_dot2_f32_f16 v105, v108, v120, v105
	;;#ASMEND
	;;#ASMSTART
	v_dot2_f32_f16 v105, v109, v121, v105
	;;#ASMEND
	;;#ASMSTART
	v_dot2_f32_f16 v105, v110, v122, v105
	;;#ASMEND
	;;#ASMSTART
	v_dot2_f32_f16 v105, v111, v123, v105
	;;#ASMEND
	;; [unrolled: 13-line block ×8, first 2 shown]
	;;#ASMSTART
	v_dot2_f32_f16 v11, v112, v116, v11
	;;#ASMEND
	;;#ASMSTART
	v_dot2_f32_f16 v11, v113, v117, v11
	;;#ASMEND
	;; [unrolled: 3-line block ×31, first 2 shown]
	v_cmp_nlt_f32_e64 s[6:7], |v10|, s46
	;;#ASMSTART
	v_dot2_f32_f16 v29, v115, v147, v29
	;;#ASMEND
                                        ; implicit-def: $vgpr108
	s_and_saveexec_b64 s[16:17], s[6:7]
	s_xor_b64 s[6:7], exec, s[16:17]
	s_cbranch_execz .LBB86_10
; %bb.9:                                ;   in Loop: Header=BB86_8 Depth=1
	v_add_f32_e64 v8, |v10|, |v10|
	v_mul_f32_e32 v9, 0x3fb8aa3b, v8
	v_rndne_f32_e32 v107, v9
	v_sub_f32_e32 v108, v9, v107
	v_fma_f32 v9, v8, s47, -v9
	v_fmac_f32_e32 v9, 0x32a5705f, v8
	v_add_f32_e32 v9, v108, v9
	v_cvt_i32_f32_e32 v107, v107
	v_exp_f32_e32 v9, v9
	v_cmp_ngt_f32_e32 vcc, s48, v8
	v_ldexp_f32 v9, v9, v107
	v_cndmask_b32_e32 v9, 0, v9, vcc
	v_cmp_nlt_f32_e32 vcc, s49, v8
	v_cndmask_b32_e32 v8, v104, v9, vcc
	v_add_f32_e32 v8, 1.0, v8
	v_rcp_f32_e32 v8, v8
	v_fma_f32 v108, v8, -2.0, 1.0
.LBB86_10:                              ;   in Loop: Header=BB86_8 Depth=1
	s_andn2_saveexec_b64 s[6:7], s[6:7]
; %bb.11:                               ;   in Loop: Header=BB86_8 Depth=1
	v_mul_f32_e32 v8, v10, v10
	v_mov_b32_e32 v9, 0x3ca908c9
	v_fmac_f32_e32 v9, 0xbbbac73d, v8
	v_fma_f32 v9, v8, v9, v99
	v_fma_f32 v9, v8, v9, v100
	;; [unrolled: 1-line block ×3, first 2 shown]
	v_mul_f32_e64 v9, |v10|, v9
	v_fma_f32 v108, v8, v9, |v10|
; %bb.12:                               ;   in Loop: Header=BB86_8 Depth=1
	s_or_b64 exec, exec, s[6:7]
	v_add_u32_e32 v112, s18, v56
	v_add_u32_e32 v8, v112, v32
	v_cndmask_b32_e64 v9, 0, 1, s[10:11]
	v_cmp_ne_u32_e64 s[6:7], 1, v9
	s_andn2_b64 vcc, exec, s[10:11]
	v_ashrrev_i32_e32 v9, 31, v8
	s_cbranch_vccnz .LBB86_106
; %bb.13:                               ;   in Loop: Header=BB86_8 Depth=1
	v_lshlrev_b64 v[110:111], 1, v[8:9]
	v_mov_b32_e32 v107, s15
	v_add_co_u32_e32 v110, vcc, s14, v110
	v_addc_co_u32_e32 v111, vcc, v107, v111, vcc
	flat_load_ushort v107, v[110:111]
	s_waitcnt vmcnt(0) lgkmcnt(0)
	v_cvt_f32_f16_e32 v107, v107
	v_mul_f32_e32 v107, v62, v107
	v_cmp_nlt_f32_e64 s[16:17], |v11|, s46
                                        ; implicit-def: $vgpr109
	s_and_saveexec_b64 s[52:53], s[16:17]
	s_xor_b64 s[16:17], exec, s[52:53]
	s_cbranch_execz .LBB86_15
.LBB86_14:                              ;   in Loop: Header=BB86_8 Depth=1
	v_add_f32_e64 v109, |v11|, |v11|
	v_mul_f32_e32 v110, 0x3fb8aa3b, v109
	v_rndne_f32_e32 v111, v110
	v_sub_f32_e32 v113, v110, v111
	v_fma_f32 v110, v109, s47, -v110
	v_fmac_f32_e32 v110, 0x32a5705f, v109
	v_add_f32_e32 v110, v113, v110
	v_cvt_i32_f32_e32 v111, v111
	v_exp_f32_e32 v110, v110
	v_cmp_ngt_f32_e32 vcc, s48, v109
	v_ldexp_f32 v110, v110, v111
	v_cndmask_b32_e32 v110, 0, v110, vcc
	v_cmp_nlt_f32_e32 vcc, s49, v109
	v_cndmask_b32_e32 v109, v104, v110, vcc
	v_add_f32_e32 v109, 1.0, v109
	v_rcp_f32_e32 v109, v109
	v_fma_f32 v109, v109, -2.0, 1.0
.LBB86_15:                              ;   in Loop: Header=BB86_8 Depth=1
	s_andn2_saveexec_b64 s[16:17], s[16:17]
	s_cbranch_execz .LBB86_18
; %bb.16:                               ;   in Loop: Header=BB86_8 Depth=1
	v_mul_f32_e32 v109, v11, v11
	v_mov_b32_e32 v110, 0x3ca908c9
	v_fmac_f32_e32 v110, 0xbbbac73d, v109
	v_fma_f32 v110, v109, v110, v99
	v_fma_f32 v110, v109, v110, v100
	;; [unrolled: 1-line block ×3, first 2 shown]
	v_mul_f32_e64 v110, |v11|, v110
	v_fma_f32 v109, v109, v110, |v11|
	s_or_b64 exec, exec, s[16:17]
	s_and_b64 vcc, exec, s[6:7]
	s_cbranch_vccz .LBB86_19
.LBB86_17:                              ;   in Loop: Header=BB86_8 Depth=1
	v_mov_b32_e32 v8, 0
	s_branch .LBB86_20
.LBB86_18:                              ;   in Loop: Header=BB86_8 Depth=1
	s_or_b64 exec, exec, s[16:17]
	s_and_b64 vcc, exec, s[6:7]
	s_cbranch_vccnz .LBB86_17
.LBB86_19:                              ;   in Loop: Header=BB86_8 Depth=1
	v_lshlrev_b64 v[8:9], 1, v[8:9]
	v_mov_b32_e32 v110, s45
	v_add_co_u32_e32 v8, vcc, s43, v8
	v_addc_co_u32_e32 v9, vcc, v110, v9, vcc
	flat_load_ushort v8, v[8:9]
	s_waitcnt vmcnt(0) lgkmcnt(0)
	v_cvt_f32_f16_e32 v8, v8
	v_mul_f32_e32 v8, v62, v8
.LBB86_20:                              ;   in Loop: Header=BB86_8 Depth=1
	v_bfi_b32 v9, s50, v109, v11
	v_and_b32_e32 v11, 0x60, v102
	v_bfi_b32 v10, s50, v108, v10
	v_add_u32_e32 v11, 32, v11
	v_xor_b32_e32 v108, 16, v102
	v_fmac_f32_e32 v107, s23, v10
	v_cmp_lt_i32_e32 vcc, v108, v11
	v_fmac_f32_e32 v8, s23, v9
	v_add_f32_e32 v10, 0x40051340, v107
	v_cndmask_b32_e32 v108, v102, v108, vcc
	v_add_f32_e32 v9, 0x40051340, v8
	v_lshlrev_b32_e32 v111, 2, v108
	v_max3_f32 v9, v4, v10, v9
	ds_bpermute_b32 v10, v111, v9
	v_xor_b32_e32 v108, 8, v102
	v_cmp_lt_i32_e32 vcc, v108, v11
	v_cndmask_b32_e32 v108, v102, v108, vcc
	v_lshlrev_b32_e32 v116, 2, v108
	s_waitcnt lgkmcnt(0)
	v_max_f32_e32 v10, v10, v10
	v_max_f32_e32 v9, v9, v10
	ds_bpermute_b32 v10, v116, v9
	v_xor_b32_e32 v108, 4, v102
	v_cmp_lt_i32_e32 vcc, v108, v11
	v_cndmask_b32_e32 v108, v102, v108, vcc
	v_lshlrev_b32_e32 v115, 2, v108
	s_waitcnt lgkmcnt(0)
	v_max_f32_e32 v10, v10, v10
	v_max_f32_e32 v9, v9, v10
	;; [unrolled: 8-line block ×4, first 2 shown]
	ds_bpermute_b32 v109, v113, v108
	v_cmp_nlt_f32_e64 s[16:17], |v105|, s46
                                        ; implicit-def: $vgpr117
	s_and_saveexec_b64 s[52:53], s[16:17]
	s_xor_b64 s[16:17], exec, s[52:53]
	s_cbranch_execz .LBB86_22
; %bb.21:                               ;   in Loop: Header=BB86_8 Depth=1
	v_add_f32_e64 v9, |v105|, |v105|
	v_mul_f32_e32 v10, 0x3fb8aa3b, v9
	v_rndne_f32_e32 v11, v10
	v_sub_f32_e32 v110, v10, v11
	v_fma_f32 v10, v9, s47, -v10
	v_fmac_f32_e32 v10, 0x32a5705f, v9
	v_add_f32_e32 v10, v110, v10
	v_cvt_i32_f32_e32 v11, v11
	v_exp_f32_e32 v10, v10
	v_cmp_ngt_f32_e32 vcc, s48, v9
	v_ldexp_f32 v10, v10, v11
	v_cndmask_b32_e32 v10, 0, v10, vcc
	v_cmp_nlt_f32_e32 vcc, s49, v9
	v_cndmask_b32_e32 v9, v104, v10, vcc
	v_add_f32_e32 v9, 1.0, v9
	v_rcp_f32_e32 v9, v9
	v_fma_f32 v117, v9, -2.0, 1.0
.LBB86_22:                              ;   in Loop: Header=BB86_8 Depth=1
	s_andn2_saveexec_b64 s[16:17], s[16:17]
; %bb.23:                               ;   in Loop: Header=BB86_8 Depth=1
	v_mul_f32_e32 v9, v105, v105
	v_mov_b32_e32 v10, 0x3ca908c9
	v_fmac_f32_e32 v10, 0xbbbac73d, v9
	v_fma_f32 v10, v9, v10, v99
	v_fma_f32 v10, v9, v10, v100
	v_fma_f32 v10, v9, v10, v101
	v_mul_f32_e64 v10, |v105|, v10
	v_fma_f32 v117, v9, v10, |v105|
; %bb.24:                               ;   in Loop: Header=BB86_8 Depth=1
	s_or_b64 exec, exec, s[16:17]
	v_add_u32_e32 v10, v112, v87
	s_and_b64 vcc, exec, s[6:7]
	v_ashrrev_i32_e32 v11, 31, v10
	s_cbranch_vccnz .LBB86_107
; %bb.25:                               ;   in Loop: Header=BB86_8 Depth=1
	v_lshlrev_b64 v[118:119], 1, v[10:11]
	v_mov_b32_e32 v9, s15
	v_add_co_u32_e32 v118, vcc, s14, v118
	v_addc_co_u32_e32 v119, vcc, v9, v119, vcc
	flat_load_ushort v9, v[118:119]
	s_waitcnt vmcnt(0) lgkmcnt(0)
	v_cvt_f32_f16_e32 v9, v9
	v_mul_f32_e32 v110, v62, v9
	v_cmp_nlt_f32_e64 s[16:17], |v106|, s46
                                        ; implicit-def: $vgpr118
	s_and_saveexec_b64 s[52:53], s[16:17]
	s_xor_b64 s[16:17], exec, s[52:53]
	s_cbranch_execz .LBB86_27
.LBB86_26:                              ;   in Loop: Header=BB86_8 Depth=1
	v_add_f32_e64 v9, |v106|, |v106|
	v_mul_f32_e32 v118, 0x3fb8aa3b, v9
	v_rndne_f32_e32 v119, v118
	v_sub_f32_e32 v120, v118, v119
	v_fma_f32 v118, v9, s47, -v118
	v_fmac_f32_e32 v118, 0x32a5705f, v9
	v_add_f32_e32 v118, v120, v118
	v_cvt_i32_f32_e32 v119, v119
	v_exp_f32_e32 v118, v118
	v_cmp_ngt_f32_e32 vcc, s48, v9
	v_ldexp_f32 v118, v118, v119
	v_cndmask_b32_e32 v118, 0, v118, vcc
	v_cmp_nlt_f32_e32 vcc, s49, v9
	v_cndmask_b32_e32 v9, v104, v118, vcc
	v_add_f32_e32 v9, 1.0, v9
	v_rcp_f32_e32 v9, v9
	v_fma_f32 v118, v9, -2.0, 1.0
.LBB86_27:                              ;   in Loop: Header=BB86_8 Depth=1
	s_andn2_saveexec_b64 s[16:17], s[16:17]
	s_cbranch_execz .LBB86_30
; %bb.28:                               ;   in Loop: Header=BB86_8 Depth=1
	v_mul_f32_e32 v9, v106, v106
	v_mov_b32_e32 v118, 0x3ca908c9
	v_fmac_f32_e32 v118, 0xbbbac73d, v9
	v_fma_f32 v118, v9, v118, v99
	v_fma_f32 v118, v9, v118, v100
	;; [unrolled: 1-line block ×3, first 2 shown]
	v_mul_f32_e64 v118, |v106|, v118
	v_fma_f32 v118, v9, v118, |v106|
	s_or_b64 exec, exec, s[16:17]
	s_and_b64 vcc, exec, s[6:7]
	s_cbranch_vccz .LBB86_31
.LBB86_29:                              ;   in Loop: Header=BB86_8 Depth=1
	v_mov_b32_e32 v9, 0
	s_branch .LBB86_32
.LBB86_30:                              ;   in Loop: Header=BB86_8 Depth=1
	s_or_b64 exec, exec, s[16:17]
	s_and_b64 vcc, exec, s[6:7]
	s_cbranch_vccnz .LBB86_29
.LBB86_31:                              ;   in Loop: Header=BB86_8 Depth=1
	v_lshlrev_b64 v[10:11], 1, v[10:11]
	v_mov_b32_e32 v9, s45
	v_add_co_u32_e32 v10, vcc, s43, v10
	v_addc_co_u32_e32 v11, vcc, v9, v11, vcc
	flat_load_ushort v9, v[10:11]
	s_waitcnt vmcnt(0) lgkmcnt(0)
	v_cvt_f32_f16_e32 v9, v9
	v_mul_f32_e32 v9, v62, v9
.LBB86_32:                              ;   in Loop: Header=BB86_8 Depth=1
	v_bfi_b32 v10, s50, v118, v106
	v_bfi_b32 v11, s50, v117, v105
	v_fmac_f32_e32 v110, s23, v11
	v_fmac_f32_e32 v9, s23, v10
	v_add_f32_e32 v11, 0x40051340, v110
	v_add_f32_e32 v10, 0x40051340, v9
	v_max3_f32 v10, v5, v11, v10
	ds_bpermute_b32 v11, v111, v10
	v_cmp_nlt_f32_e64 s[16:17], |v12|, s46
                                        ; implicit-def: $vgpr118
	s_waitcnt lgkmcnt(0)
	v_max_f32_e32 v11, v11, v11
	v_max_f32_e32 v10, v10, v11
	ds_bpermute_b32 v11, v116, v10
	s_waitcnt lgkmcnt(0)
	v_max_f32_e32 v11, v11, v11
	v_max_f32_e32 v10, v10, v11
	ds_bpermute_b32 v11, v115, v10
	;; [unrolled: 4-line block ×4, first 2 shown]
	s_and_saveexec_b64 s[52:53], s[16:17]
	s_xor_b64 s[16:17], exec, s[52:53]
	s_cbranch_execz .LBB86_34
; %bb.33:                               ;   in Loop: Header=BB86_8 Depth=1
	v_add_f32_e64 v10, |v12|, |v12|
	v_mul_f32_e32 v11, 0x3fb8aa3b, v10
	v_rndne_f32_e32 v117, v11
	v_sub_f32_e32 v118, v11, v117
	v_fma_f32 v11, v10, s47, -v11
	v_fmac_f32_e32 v11, 0x32a5705f, v10
	v_add_f32_e32 v11, v118, v11
	v_cvt_i32_f32_e32 v117, v117
	v_exp_f32_e32 v11, v11
	v_cmp_ngt_f32_e32 vcc, s48, v10
	v_ldexp_f32 v11, v11, v117
	v_cndmask_b32_e32 v11, 0, v11, vcc
	v_cmp_nlt_f32_e32 vcc, s49, v10
	v_cndmask_b32_e32 v10, v104, v11, vcc
	v_add_f32_e32 v10, 1.0, v10
	v_rcp_f32_e32 v10, v10
	v_fma_f32 v118, v10, -2.0, 1.0
.LBB86_34:                              ;   in Loop: Header=BB86_8 Depth=1
	s_andn2_saveexec_b64 s[16:17], s[16:17]
; %bb.35:                               ;   in Loop: Header=BB86_8 Depth=1
	v_mul_f32_e32 v10, v12, v12
	v_mov_b32_e32 v11, 0x3ca908c9
	v_fmac_f32_e32 v11, 0xbbbac73d, v10
	v_fma_f32 v11, v10, v11, v99
	v_fma_f32 v11, v10, v11, v100
	;; [unrolled: 1-line block ×3, first 2 shown]
	v_mul_f32_e64 v11, |v12|, v11
	v_fma_f32 v118, v10, v11, |v12|
; %bb.36:                               ;   in Loop: Header=BB86_8 Depth=1
	s_or_b64 exec, exec, s[16:17]
	v_add_u32_e32 v10, v112, v88
	s_and_b64 vcc, exec, s[6:7]
	v_ashrrev_i32_e32 v11, 31, v10
	s_cbranch_vccnz .LBB86_108
; %bb.37:                               ;   in Loop: Header=BB86_8 Depth=1
	v_lshlrev_b64 v[120:121], 1, v[10:11]
	v_mov_b32_e32 v117, s15
	v_add_co_u32_e32 v120, vcc, s14, v120
	v_addc_co_u32_e32 v121, vcc, v117, v121, vcc
	flat_load_ushort v117, v[120:121]
	s_waitcnt vmcnt(0) lgkmcnt(0)
	v_cvt_f32_f16_e32 v117, v117
	v_mul_f32_e32 v117, v62, v117
	v_cmp_nlt_f32_e64 s[16:17], |v13|, s46
                                        ; implicit-def: $vgpr119
	s_and_saveexec_b64 s[52:53], s[16:17]
	s_xor_b64 s[16:17], exec, s[52:53]
	s_cbranch_execz .LBB86_39
.LBB86_38:                              ;   in Loop: Header=BB86_8 Depth=1
	v_add_f32_e64 v119, |v13|, |v13|
	v_mul_f32_e32 v120, 0x3fb8aa3b, v119
	v_rndne_f32_e32 v121, v120
	v_sub_f32_e32 v122, v120, v121
	v_fma_f32 v120, v119, s47, -v120
	v_fmac_f32_e32 v120, 0x32a5705f, v119
	v_add_f32_e32 v120, v122, v120
	v_cvt_i32_f32_e32 v121, v121
	v_exp_f32_e32 v120, v120
	v_cmp_ngt_f32_e32 vcc, s48, v119
	v_ldexp_f32 v120, v120, v121
	v_cndmask_b32_e32 v120, 0, v120, vcc
	v_cmp_nlt_f32_e32 vcc, s49, v119
	v_cndmask_b32_e32 v119, v104, v120, vcc
	v_add_f32_e32 v119, 1.0, v119
	v_rcp_f32_e32 v119, v119
	v_fma_f32 v119, v119, -2.0, 1.0
.LBB86_39:                              ;   in Loop: Header=BB86_8 Depth=1
	s_andn2_saveexec_b64 s[16:17], s[16:17]
	s_cbranch_execz .LBB86_42
; %bb.40:                               ;   in Loop: Header=BB86_8 Depth=1
	v_mul_f32_e32 v119, v13, v13
	v_mov_b32_e32 v120, 0x3ca908c9
	v_fmac_f32_e32 v120, 0xbbbac73d, v119
	v_fma_f32 v120, v119, v120, v99
	v_fma_f32 v120, v119, v120, v100
	v_fma_f32 v120, v119, v120, v101
	v_mul_f32_e64 v120, |v13|, v120
	v_fma_f32 v119, v119, v120, |v13|
	s_or_b64 exec, exec, s[16:17]
	s_and_b64 vcc, exec, s[6:7]
	s_cbranch_vccz .LBB86_43
.LBB86_41:                              ;   in Loop: Header=BB86_8 Depth=1
	v_mov_b32_e32 v10, 0
	s_branch .LBB86_44
.LBB86_42:                              ;   in Loop: Header=BB86_8 Depth=1
	s_or_b64 exec, exec, s[16:17]
	s_and_b64 vcc, exec, s[6:7]
	s_cbranch_vccnz .LBB86_41
.LBB86_43:                              ;   in Loop: Header=BB86_8 Depth=1
	v_lshlrev_b64 v[10:11], 1, v[10:11]
	v_mov_b32_e32 v120, s45
	v_add_co_u32_e32 v10, vcc, s43, v10
	v_addc_co_u32_e32 v11, vcc, v120, v11, vcc
	flat_load_ushort v10, v[10:11]
	s_waitcnt vmcnt(0) lgkmcnt(0)
	v_cvt_f32_f16_e32 v10, v10
	v_mul_f32_e32 v10, v62, v10
.LBB86_44:                              ;   in Loop: Header=BB86_8 Depth=1
	v_bfi_b32 v11, s50, v119, v13
	v_bfi_b32 v12, s50, v118, v12
	v_fmac_f32_e32 v117, s23, v12
	v_fmac_f32_e32 v10, s23, v11
	v_add_f32_e32 v12, 0x40051340, v117
	v_add_f32_e32 v11, 0x40051340, v10
	v_max3_f32 v11, v2, v12, v11
	ds_bpermute_b32 v12, v111, v11
	v_cmp_nlt_f32_e64 s[16:17], |v14|, s46
                                        ; implicit-def: $vgpr121
	s_waitcnt lgkmcnt(0)
	v_max_f32_e32 v12, v12, v12
	v_max_f32_e32 v11, v11, v12
	ds_bpermute_b32 v12, v116, v11
	s_waitcnt lgkmcnt(0)
	v_max_f32_e32 v12, v12, v12
	v_max_f32_e32 v11, v11, v12
	ds_bpermute_b32 v12, v115, v11
	;; [unrolled: 4-line block ×4, first 2 shown]
	s_and_saveexec_b64 s[52:53], s[16:17]
	s_xor_b64 s[16:17], exec, s[52:53]
	s_cbranch_execz .LBB86_46
; %bb.45:                               ;   in Loop: Header=BB86_8 Depth=1
	v_add_f32_e64 v11, |v14|, |v14|
	v_mul_f32_e32 v12, 0x3fb8aa3b, v11
	v_rndne_f32_e32 v13, v12
	v_sub_f32_e32 v120, v12, v13
	v_fma_f32 v12, v11, s47, -v12
	v_fmac_f32_e32 v12, 0x32a5705f, v11
	v_add_f32_e32 v12, v120, v12
	v_cvt_i32_f32_e32 v13, v13
	v_exp_f32_e32 v12, v12
	v_cmp_ngt_f32_e32 vcc, s48, v11
	v_ldexp_f32 v12, v12, v13
	v_cndmask_b32_e32 v12, 0, v12, vcc
	v_cmp_nlt_f32_e32 vcc, s49, v11
	v_cndmask_b32_e32 v11, v104, v12, vcc
	v_add_f32_e32 v11, 1.0, v11
	v_rcp_f32_e32 v11, v11
	v_fma_f32 v121, v11, -2.0, 1.0
.LBB86_46:                              ;   in Loop: Header=BB86_8 Depth=1
	s_andn2_saveexec_b64 s[16:17], s[16:17]
; %bb.47:                               ;   in Loop: Header=BB86_8 Depth=1
	v_mul_f32_e32 v11, v14, v14
	v_mov_b32_e32 v12, 0x3ca908c9
	v_fmac_f32_e32 v12, 0xbbbac73d, v11
	v_fma_f32 v12, v11, v12, v99
	v_fma_f32 v12, v11, v12, v100
	;; [unrolled: 1-line block ×3, first 2 shown]
	v_mul_f32_e64 v12, |v14|, v12
	v_fma_f32 v121, v11, v12, |v14|
; %bb.48:                               ;   in Loop: Header=BB86_8 Depth=1
	s_or_b64 exec, exec, s[16:17]
	v_add_u32_e32 v12, v112, v89
	s_and_b64 vcc, exec, s[6:7]
	v_ashrrev_i32_e32 v13, 31, v12
	s_cbranch_vccnz .LBB86_109
; %bb.49:                               ;   in Loop: Header=BB86_8 Depth=1
	v_lshlrev_b64 v[122:123], 1, v[12:13]
	v_mov_b32_e32 v11, s15
	v_add_co_u32_e32 v122, vcc, s14, v122
	v_addc_co_u32_e32 v123, vcc, v11, v123, vcc
	flat_load_ushort v11, v[122:123]
	s_waitcnt vmcnt(0) lgkmcnt(0)
	v_cvt_f32_f16_e32 v11, v11
	v_mul_f32_e32 v120, v62, v11
	v_cmp_nlt_f32_e64 s[16:17], |v25|, s46
                                        ; implicit-def: $vgpr122
	s_and_saveexec_b64 s[52:53], s[16:17]
	s_xor_b64 s[16:17], exec, s[52:53]
	s_cbranch_execz .LBB86_51
.LBB86_50:                              ;   in Loop: Header=BB86_8 Depth=1
	v_add_f32_e64 v11, |v25|, |v25|
	v_mul_f32_e32 v122, 0x3fb8aa3b, v11
	v_rndne_f32_e32 v123, v122
	v_sub_f32_e32 v124, v122, v123
	v_fma_f32 v122, v11, s47, -v122
	v_fmac_f32_e32 v122, 0x32a5705f, v11
	v_add_f32_e32 v122, v124, v122
	v_cvt_i32_f32_e32 v123, v123
	v_exp_f32_e32 v122, v122
	v_cmp_ngt_f32_e32 vcc, s48, v11
	v_ldexp_f32 v122, v122, v123
	v_cndmask_b32_e32 v122, 0, v122, vcc
	v_cmp_nlt_f32_e32 vcc, s49, v11
	v_cndmask_b32_e32 v11, v104, v122, vcc
	v_add_f32_e32 v11, 1.0, v11
	v_rcp_f32_e32 v11, v11
	v_fma_f32 v122, v11, -2.0, 1.0
.LBB86_51:                              ;   in Loop: Header=BB86_8 Depth=1
	s_andn2_saveexec_b64 s[16:17], s[16:17]
	s_cbranch_execz .LBB86_54
; %bb.52:                               ;   in Loop: Header=BB86_8 Depth=1
	v_mul_f32_e32 v11, v25, v25
	v_mov_b32_e32 v122, 0x3ca908c9
	v_fmac_f32_e32 v122, 0xbbbac73d, v11
	v_fma_f32 v122, v11, v122, v99
	v_fma_f32 v122, v11, v122, v100
	;; [unrolled: 1-line block ×3, first 2 shown]
	v_mul_f32_e64 v122, |v25|, v122
	v_fma_f32 v122, v11, v122, |v25|
	s_or_b64 exec, exec, s[16:17]
	s_and_b64 vcc, exec, s[6:7]
	s_cbranch_vccz .LBB86_55
.LBB86_53:                              ;   in Loop: Header=BB86_8 Depth=1
	v_mov_b32_e32 v11, 0
	s_branch .LBB86_56
.LBB86_54:                              ;   in Loop: Header=BB86_8 Depth=1
	s_or_b64 exec, exec, s[16:17]
	s_and_b64 vcc, exec, s[6:7]
	s_cbranch_vccnz .LBB86_53
.LBB86_55:                              ;   in Loop: Header=BB86_8 Depth=1
	v_lshlrev_b64 v[12:13], 1, v[12:13]
	v_mov_b32_e32 v11, s45
	v_add_co_u32_e32 v12, vcc, s43, v12
	v_addc_co_u32_e32 v13, vcc, v11, v13, vcc
	flat_load_ushort v11, v[12:13]
	s_waitcnt vmcnt(0) lgkmcnt(0)
	v_cvt_f32_f16_e32 v11, v11
	v_mul_f32_e32 v11, v62, v11
.LBB86_56:                              ;   in Loop: Header=BB86_8 Depth=1
	v_bfi_b32 v12, s50, v122, v25
	v_bfi_b32 v13, s50, v121, v14
	v_fmac_f32_e32 v120, s23, v13
	v_fmac_f32_e32 v11, s23, v12
	v_add_f32_e32 v13, 0x40051340, v120
	v_add_f32_e32 v12, 0x40051340, v11
	v_max3_f32 v12, v3, v13, v12
	ds_bpermute_b32 v13, v111, v12
	v_cmp_nlt_f32_e64 s[16:17], |v15|, s46
                                        ; implicit-def: $vgpr25
	s_waitcnt lgkmcnt(0)
	v_max_f32_e32 v13, v13, v13
	v_max_f32_e32 v12, v12, v13
	ds_bpermute_b32 v13, v116, v12
	s_waitcnt lgkmcnt(0)
	v_max_f32_e32 v13, v13, v13
	v_max_f32_e32 v12, v12, v13
	ds_bpermute_b32 v13, v115, v12
	;; [unrolled: 4-line block ×4, first 2 shown]
	s_and_saveexec_b64 s[52:53], s[16:17]
	s_xor_b64 s[16:17], exec, s[52:53]
	s_cbranch_execz .LBB86_58
; %bb.57:                               ;   in Loop: Header=BB86_8 Depth=1
	v_add_f32_e64 v12, |v15|, |v15|
	v_mul_f32_e32 v13, 0x3fb8aa3b, v12
	v_rndne_f32_e32 v14, v13
	v_sub_f32_e32 v25, v13, v14
	v_fma_f32 v13, v12, s47, -v13
	v_fmac_f32_e32 v13, 0x32a5705f, v12
	v_add_f32_e32 v13, v25, v13
	v_cvt_i32_f32_e32 v14, v14
	v_exp_f32_e32 v13, v13
	v_cmp_ngt_f32_e32 vcc, s48, v12
	v_ldexp_f32 v13, v13, v14
	v_cndmask_b32_e32 v13, 0, v13, vcc
	v_cmp_nlt_f32_e32 vcc, s49, v12
	v_cndmask_b32_e32 v12, v104, v13, vcc
	v_add_f32_e32 v12, 1.0, v12
	v_rcp_f32_e32 v12, v12
	v_fma_f32 v25, v12, -2.0, 1.0
.LBB86_58:                              ;   in Loop: Header=BB86_8 Depth=1
	s_andn2_saveexec_b64 s[16:17], s[16:17]
; %bb.59:                               ;   in Loop: Header=BB86_8 Depth=1
	v_mul_f32_e32 v12, v15, v15
	v_mov_b32_e32 v13, 0x3ca908c9
	v_fmac_f32_e32 v13, 0xbbbac73d, v12
	v_fma_f32 v13, v12, v13, v99
	v_fma_f32 v13, v12, v13, v100
	;; [unrolled: 1-line block ×3, first 2 shown]
	v_mul_f32_e64 v13, |v15|, v13
	v_fma_f32 v25, v12, v13, |v15|
; %bb.60:                               ;   in Loop: Header=BB86_8 Depth=1
	s_or_b64 exec, exec, s[16:17]
	v_add_u32_e32 v12, v112, v90
	s_and_b64 vcc, exec, s[6:7]
	v_ashrrev_i32_e32 v13, 31, v12
	s_cbranch_vccnz .LBB86_110
; %bb.61:                               ;   in Loop: Header=BB86_8 Depth=1
	v_lshlrev_b64 v[126:127], 1, v[12:13]
	v_mov_b32_e32 v14, s15
	v_add_co_u32_e32 v126, vcc, s14, v126
	v_addc_co_u32_e32 v127, vcc, v14, v127, vcc
	flat_load_ushort v14, v[126:127]
	s_waitcnt vmcnt(0) lgkmcnt(0)
	v_cvt_f32_f16_e32 v14, v14
	v_mul_f32_e32 v14, v62, v14
	v_cmp_nlt_f32_e64 s[16:17], |v24|, s46
                                        ; implicit-def: $vgpr121
	s_and_saveexec_b64 s[52:53], s[16:17]
	s_xor_b64 s[16:17], exec, s[52:53]
	s_cbranch_execz .LBB86_63
.LBB86_62:                              ;   in Loop: Header=BB86_8 Depth=1
	v_add_f32_e64 v121, |v24|, |v24|
	v_mul_f32_e32 v122, 0x3fb8aa3b, v121
	v_rndne_f32_e32 v125, v122
	v_sub_f32_e32 v126, v122, v125
	v_fma_f32 v122, v121, s47, -v122
	v_fmac_f32_e32 v122, 0x32a5705f, v121
	v_add_f32_e32 v122, v126, v122
	v_cvt_i32_f32_e32 v125, v125
	v_exp_f32_e32 v122, v122
	v_cmp_ngt_f32_e32 vcc, s48, v121
	v_ldexp_f32 v122, v122, v125
	v_cndmask_b32_e32 v122, 0, v122, vcc
	v_cmp_nlt_f32_e32 vcc, s49, v121
	v_cndmask_b32_e32 v121, v104, v122, vcc
	v_add_f32_e32 v121, 1.0, v121
	v_rcp_f32_e32 v121, v121
	v_fma_f32 v121, v121, -2.0, 1.0
.LBB86_63:                              ;   in Loop: Header=BB86_8 Depth=1
	s_andn2_saveexec_b64 s[16:17], s[16:17]
	s_cbranch_execz .LBB86_66
; %bb.64:                               ;   in Loop: Header=BB86_8 Depth=1
	v_mul_f32_e32 v121, v24, v24
	v_mov_b32_e32 v122, 0x3ca908c9
	v_fmac_f32_e32 v122, 0xbbbac73d, v121
	v_fma_f32 v122, v121, v122, v99
	v_fma_f32 v122, v121, v122, v100
	;; [unrolled: 1-line block ×3, first 2 shown]
	v_mul_f32_e64 v122, |v24|, v122
	v_fma_f32 v121, v121, v122, |v24|
	s_or_b64 exec, exec, s[16:17]
	s_and_b64 vcc, exec, s[6:7]
	s_cbranch_vccz .LBB86_67
.LBB86_65:                              ;   in Loop: Header=BB86_8 Depth=1
	v_mov_b32_e32 v12, 0
	s_branch .LBB86_68
.LBB86_66:                              ;   in Loop: Header=BB86_8 Depth=1
	s_or_b64 exec, exec, s[16:17]
	s_and_b64 vcc, exec, s[6:7]
	s_cbranch_vccnz .LBB86_65
.LBB86_67:                              ;   in Loop: Header=BB86_8 Depth=1
	v_lshlrev_b64 v[12:13], 1, v[12:13]
	v_mov_b32_e32 v122, s45
	v_add_co_u32_e32 v12, vcc, s43, v12
	v_addc_co_u32_e32 v13, vcc, v122, v13, vcc
	flat_load_ushort v12, v[12:13]
	s_waitcnt vmcnt(0) lgkmcnt(0)
	v_cvt_f32_f16_e32 v12, v12
	v_mul_f32_e32 v12, v62, v12
.LBB86_68:                              ;   in Loop: Header=BB86_8 Depth=1
	v_bfi_b32 v13, s50, v121, v24
	v_bfi_b32 v15, s50, v25, v15
	v_fmac_f32_e32 v14, s23, v15
	v_fmac_f32_e32 v12, s23, v13
	v_add_f32_e32 v15, 0x40051340, v14
	v_add_f32_e32 v13, 0x40051340, v12
	v_max3_f32 v13, v0, v15, v13
	ds_bpermute_b32 v15, v111, v13
	v_cmp_nlt_f32_e64 s[16:17], |v30|, s46
                                        ; implicit-def: $vgpr125
	s_waitcnt lgkmcnt(0)
	v_max_f32_e32 v15, v15, v15
	v_max_f32_e32 v13, v13, v15
	ds_bpermute_b32 v15, v116, v13
	s_waitcnt lgkmcnt(0)
	v_max_f32_e32 v15, v15, v15
	v_max_f32_e32 v13, v13, v15
	ds_bpermute_b32 v15, v115, v13
	;; [unrolled: 4-line block ×4, first 2 shown]
	s_and_saveexec_b64 s[52:53], s[16:17]
	s_xor_b64 s[16:17], exec, s[52:53]
	s_cbranch_execz .LBB86_70
; %bb.69:                               ;   in Loop: Header=BB86_8 Depth=1
	v_add_f32_e64 v13, |v30|, |v30|
	v_mul_f32_e32 v15, 0x3fb8aa3b, v13
	v_rndne_f32_e32 v24, v15
	v_sub_f32_e32 v25, v15, v24
	v_fma_f32 v15, v13, s47, -v15
	v_fmac_f32_e32 v15, 0x32a5705f, v13
	v_add_f32_e32 v15, v25, v15
	v_cvt_i32_f32_e32 v24, v24
	v_exp_f32_e32 v15, v15
	v_cmp_ngt_f32_e32 vcc, s48, v13
	v_ldexp_f32 v15, v15, v24
	v_cndmask_b32_e32 v15, 0, v15, vcc
	v_cmp_nlt_f32_e32 vcc, s49, v13
	v_cndmask_b32_e32 v13, v104, v15, vcc
	v_add_f32_e32 v13, 1.0, v13
	v_rcp_f32_e32 v13, v13
	v_fma_f32 v125, v13, -2.0, 1.0
.LBB86_70:                              ;   in Loop: Header=BB86_8 Depth=1
	s_andn2_saveexec_b64 s[16:17], s[16:17]
; %bb.71:                               ;   in Loop: Header=BB86_8 Depth=1
	v_mul_f32_e32 v13, v30, v30
	v_mov_b32_e32 v15, 0x3ca908c9
	v_fmac_f32_e32 v15, 0xbbbac73d, v13
	v_fma_f32 v15, v13, v15, v99
	v_fma_f32 v15, v13, v15, v100
	;; [unrolled: 1-line block ×3, first 2 shown]
	v_mul_f32_e64 v15, |v30|, v15
	v_fma_f32 v125, v13, v15, |v30|
; %bb.72:                               ;   in Loop: Header=BB86_8 Depth=1
	s_or_b64 exec, exec, s[16:17]
	v_add_u32_e32 v24, v112, v91
	s_and_b64 vcc, exec, s[6:7]
	v_ashrrev_i32_e32 v25, 31, v24
	s_cbranch_vccnz .LBB86_111
; %bb.73:                               ;   in Loop: Header=BB86_8 Depth=1
	v_lshlrev_b64 v[126:127], 1, v[24:25]
	v_mov_b32_e32 v13, s15
	v_add_co_u32_e32 v126, vcc, s14, v126
	v_addc_co_u32_e32 v127, vcc, v13, v127, vcc
	flat_load_ushort v13, v[126:127]
	s_waitcnt vmcnt(0) lgkmcnt(0)
	v_cvt_f32_f16_e32 v13, v13
	v_mul_f32_e32 v15, v62, v13
	v_cmp_nlt_f32_e64 s[16:17], |v31|, s46
                                        ; implicit-def: $vgpr126
	s_and_saveexec_b64 s[52:53], s[16:17]
	s_xor_b64 s[16:17], exec, s[52:53]
	s_cbranch_execz .LBB86_75
.LBB86_74:                              ;   in Loop: Header=BB86_8 Depth=1
	v_add_f32_e64 v13, |v31|, |v31|
	v_mul_f32_e32 v126, 0x3fb8aa3b, v13
	v_rndne_f32_e32 v127, v126
	v_sub_f32_e32 v128, v126, v127
	v_fma_f32 v126, v13, s47, -v126
	v_fmac_f32_e32 v126, 0x32a5705f, v13
	v_add_f32_e32 v126, v128, v126
	v_cvt_i32_f32_e32 v127, v127
	v_exp_f32_e32 v126, v126
	v_cmp_ngt_f32_e32 vcc, s48, v13
	v_ldexp_f32 v126, v126, v127
	v_cndmask_b32_e32 v126, 0, v126, vcc
	v_cmp_nlt_f32_e32 vcc, s49, v13
	v_cndmask_b32_e32 v13, v104, v126, vcc
	v_add_f32_e32 v13, 1.0, v13
	v_rcp_f32_e32 v13, v13
	v_fma_f32 v126, v13, -2.0, 1.0
.LBB86_75:                              ;   in Loop: Header=BB86_8 Depth=1
	s_andn2_saveexec_b64 s[16:17], s[16:17]
	s_cbranch_execz .LBB86_78
; %bb.76:                               ;   in Loop: Header=BB86_8 Depth=1
	v_mul_f32_e32 v13, v31, v31
	v_mov_b32_e32 v126, 0x3ca908c9
	v_fmac_f32_e32 v126, 0xbbbac73d, v13
	v_fma_f32 v126, v13, v126, v99
	v_fma_f32 v126, v13, v126, v100
	;; [unrolled: 1-line block ×3, first 2 shown]
	v_mul_f32_e64 v126, |v31|, v126
	v_fma_f32 v126, v13, v126, |v31|
	s_or_b64 exec, exec, s[16:17]
	s_and_b64 vcc, exec, s[6:7]
	s_cbranch_vccz .LBB86_79
.LBB86_77:                              ;   in Loop: Header=BB86_8 Depth=1
	v_mov_b32_e32 v13, 0
	s_branch .LBB86_80
.LBB86_78:                              ;   in Loop: Header=BB86_8 Depth=1
	s_or_b64 exec, exec, s[16:17]
	s_and_b64 vcc, exec, s[6:7]
	s_cbranch_vccnz .LBB86_77
.LBB86_79:                              ;   in Loop: Header=BB86_8 Depth=1
	v_lshlrev_b64 v[24:25], 1, v[24:25]
	v_mov_b32_e32 v13, s45
	v_add_co_u32_e32 v24, vcc, s43, v24
	v_addc_co_u32_e32 v25, vcc, v13, v25, vcc
	flat_load_ushort v13, v[24:25]
	s_waitcnt vmcnt(0) lgkmcnt(0)
	v_cvt_f32_f16_e32 v13, v13
	v_mul_f32_e32 v13, v62, v13
.LBB86_80:                              ;   in Loop: Header=BB86_8 Depth=1
	v_bfi_b32 v24, s50, v126, v31
	v_bfi_b32 v25, s50, v125, v30
	v_fmac_f32_e32 v15, s23, v25
	v_fmac_f32_e32 v13, s23, v24
	v_add_f32_e32 v25, 0x40051340, v15
	v_add_f32_e32 v24, 0x40051340, v13
	v_max3_f32 v24, v1, v25, v24
	ds_bpermute_b32 v25, v111, v24
	v_cmp_nlt_f32_e64 s[16:17], |v26|, s46
                                        ; implicit-def: $vgpr30
	s_waitcnt lgkmcnt(0)
	v_max_f32_e32 v25, v25, v25
	v_max_f32_e32 v24, v24, v25
	ds_bpermute_b32 v25, v116, v24
	s_waitcnt lgkmcnt(0)
	v_max_f32_e32 v25, v25, v25
	v_max_f32_e32 v24, v24, v25
	ds_bpermute_b32 v25, v115, v24
	;; [unrolled: 4-line block ×4, first 2 shown]
	s_and_saveexec_b64 s[52:53], s[16:17]
	s_xor_b64 s[16:17], exec, s[52:53]
	s_cbranch_execz .LBB86_82
; %bb.81:                               ;   in Loop: Header=BB86_8 Depth=1
	v_add_f32_e64 v24, |v26|, |v26|
	v_mul_f32_e32 v25, 0x3fb8aa3b, v24
	v_rndne_f32_e32 v30, v25
	v_sub_f32_e32 v31, v25, v30
	v_fma_f32 v25, v24, s47, -v25
	v_fmac_f32_e32 v25, 0x32a5705f, v24
	v_add_f32_e32 v25, v31, v25
	v_cvt_i32_f32_e32 v30, v30
	v_exp_f32_e32 v25, v25
	v_cmp_ngt_f32_e32 vcc, s48, v24
	v_ldexp_f32 v25, v25, v30
	v_cndmask_b32_e32 v25, 0, v25, vcc
	v_cmp_nlt_f32_e32 vcc, s49, v24
	v_cndmask_b32_e32 v24, v104, v25, vcc
	v_add_f32_e32 v24, 1.0, v24
	v_rcp_f32_e32 v24, v24
	v_fma_f32 v30, v24, -2.0, 1.0
.LBB86_82:                              ;   in Loop: Header=BB86_8 Depth=1
	s_andn2_saveexec_b64 s[16:17], s[16:17]
; %bb.83:                               ;   in Loop: Header=BB86_8 Depth=1
	v_mul_f32_e32 v24, v26, v26
	v_mov_b32_e32 v25, 0x3ca908c9
	v_fmac_f32_e32 v25, 0xbbbac73d, v24
	v_fma_f32 v25, v24, v25, v99
	v_fma_f32 v25, v24, v25, v100
	;; [unrolled: 1-line block ×3, first 2 shown]
	v_mul_f32_e64 v25, |v26|, v25
	v_fma_f32 v30, v24, v25, |v26|
; %bb.84:                               ;   in Loop: Header=BB86_8 Depth=1
	s_or_b64 exec, exec, s[16:17]
	v_add_u32_e32 v24, v112, v92
	s_and_b64 vcc, exec, s[6:7]
	v_ashrrev_i32_e32 v25, 31, v24
	s_cbranch_vccnz .LBB86_112
; %bb.85:                               ;   in Loop: Header=BB86_8 Depth=1
	v_lshlrev_b64 v[128:129], 1, v[24:25]
	v_mov_b32_e32 v31, s15
	v_add_co_u32_e32 v128, vcc, s14, v128
	v_addc_co_u32_e32 v129, vcc, v31, v129, vcc
	flat_load_ushort v31, v[128:129]
	s_waitcnt vmcnt(0) lgkmcnt(0)
	v_cvt_f32_f16_e32 v31, v31
	v_mul_f32_e32 v31, v62, v31
	v_cmp_nlt_f32_e64 s[16:17], |v27|, s46
                                        ; implicit-def: $vgpr128
	s_and_saveexec_b64 s[52:53], s[16:17]
	s_xor_b64 s[16:17], exec, s[52:53]
	s_cbranch_execz .LBB86_87
.LBB86_86:                              ;   in Loop: Header=BB86_8 Depth=1
	v_add_f32_e64 v127, |v27|, |v27|
	v_mul_f32_e32 v128, 0x3fb8aa3b, v127
	v_rndne_f32_e32 v129, v128
	v_sub_f32_e32 v130, v128, v129
	v_fma_f32 v128, v127, s47, -v128
	v_fmac_f32_e32 v128, 0x32a5705f, v127
	v_add_f32_e32 v128, v130, v128
	v_cvt_i32_f32_e32 v129, v129
	v_exp_f32_e32 v128, v128
	v_cmp_ngt_f32_e32 vcc, s48, v127
	v_ldexp_f32 v128, v128, v129
	v_cndmask_b32_e32 v128, 0, v128, vcc
	v_cmp_nlt_f32_e32 vcc, s49, v127
	v_cndmask_b32_e32 v127, v104, v128, vcc
	v_add_f32_e32 v127, 1.0, v127
	v_rcp_f32_e32 v127, v127
	v_fma_f32 v128, v127, -2.0, 1.0
.LBB86_87:                              ;   in Loop: Header=BB86_8 Depth=1
	s_andn2_saveexec_b64 s[16:17], s[16:17]
	s_cbranch_execz .LBB86_90
; %bb.88:                               ;   in Loop: Header=BB86_8 Depth=1
	v_mul_f32_e32 v127, v27, v27
	v_mov_b32_e32 v128, 0x3ca908c9
	v_fmac_f32_e32 v128, 0xbbbac73d, v127
	v_fma_f32 v128, v127, v128, v99
	v_fma_f32 v128, v127, v128, v100
	;; [unrolled: 1-line block ×3, first 2 shown]
	v_mul_f32_e64 v128, |v27|, v128
	v_fma_f32 v128, v127, v128, |v27|
	s_or_b64 exec, exec, s[16:17]
	s_and_b64 vcc, exec, s[6:7]
	s_cbranch_vccz .LBB86_91
.LBB86_89:                              ;   in Loop: Header=BB86_8 Depth=1
	v_mov_b32_e32 v127, 0
	s_branch .LBB86_92
.LBB86_90:                              ;   in Loop: Header=BB86_8 Depth=1
	s_or_b64 exec, exec, s[16:17]
	s_and_b64 vcc, exec, s[6:7]
	s_cbranch_vccnz .LBB86_89
.LBB86_91:                              ;   in Loop: Header=BB86_8 Depth=1
	v_lshlrev_b64 v[24:25], 1, v[24:25]
	v_mov_b32_e32 v127, s45
	v_add_co_u32_e32 v24, vcc, s43, v24
	v_addc_co_u32_e32 v25, vcc, v127, v25, vcc
	flat_load_ushort v24, v[24:25]
	s_waitcnt vmcnt(0) lgkmcnt(0)
	v_cvt_f32_f16_e32 v24, v24
	v_mul_f32_e32 v127, v62, v24
.LBB86_92:                              ;   in Loop: Header=BB86_8 Depth=1
	v_bfi_b32 v24, s50, v128, v27
	v_bfi_b32 v25, s50, v30, v26
	v_fmac_f32_e32 v31, s23, v25
	v_fmac_f32_e32 v127, s23, v24
	v_add_f32_e32 v25, 0x40051340, v31
	v_add_f32_e32 v24, 0x40051340, v127
	v_max3_f32 v24, v6, v25, v24
	ds_bpermute_b32 v25, v111, v24
	v_cmp_nlt_f32_e64 s[16:17], |v28|, s46
                                        ; implicit-def: $vgpr129
	s_waitcnt lgkmcnt(0)
	v_max_f32_e32 v25, v25, v25
	v_max_f32_e32 v24, v24, v25
	ds_bpermute_b32 v25, v116, v24
	s_waitcnt lgkmcnt(0)
	v_max_f32_e32 v25, v25, v25
	v_max_f32_e32 v24, v24, v25
	ds_bpermute_b32 v25, v115, v24
	;; [unrolled: 4-line block ×4, first 2 shown]
	s_and_saveexec_b64 s[52:53], s[16:17]
	s_xor_b64 s[16:17], exec, s[52:53]
	s_cbranch_execz .LBB86_94
; %bb.93:                               ;   in Loop: Header=BB86_8 Depth=1
	v_add_f32_e64 v24, |v28|, |v28|
	v_mul_f32_e32 v25, 0x3fb8aa3b, v24
	v_rndne_f32_e32 v26, v25
	v_sub_f32_e32 v27, v25, v26
	v_fma_f32 v25, v24, s47, -v25
	v_fmac_f32_e32 v25, 0x32a5705f, v24
	v_add_f32_e32 v25, v27, v25
	v_cvt_i32_f32_e32 v26, v26
	v_exp_f32_e32 v25, v25
	v_cmp_ngt_f32_e32 vcc, s48, v24
	v_ldexp_f32 v25, v25, v26
	v_cndmask_b32_e32 v25, 0, v25, vcc
	v_cmp_nlt_f32_e32 vcc, s49, v24
	v_cndmask_b32_e32 v24, v104, v25, vcc
	v_add_f32_e32 v24, 1.0, v24
	v_rcp_f32_e32 v24, v24
	v_fma_f32 v129, v24, -2.0, 1.0
.LBB86_94:                              ;   in Loop: Header=BB86_8 Depth=1
	s_andn2_saveexec_b64 s[16:17], s[16:17]
; %bb.95:                               ;   in Loop: Header=BB86_8 Depth=1
	v_mul_f32_e32 v24, v28, v28
	v_mov_b32_e32 v25, 0x3ca908c9
	v_fmac_f32_e32 v25, 0xbbbac73d, v24
	v_fma_f32 v25, v24, v25, v99
	v_fma_f32 v25, v24, v25, v100
	;; [unrolled: 1-line block ×3, first 2 shown]
	v_mul_f32_e64 v25, |v28|, v25
	v_fma_f32 v129, v24, v25, |v28|
; %bb.96:                               ;   in Loop: Header=BB86_8 Depth=1
	s_or_b64 exec, exec, s[16:17]
	v_add_u32_e32 v26, v112, v93
	s_and_b64 vcc, exec, s[6:7]
	v_ashrrev_i32_e32 v27, 31, v26
	s_cbranch_vccnz .LBB86_113
; %bb.97:                               ;   in Loop: Header=BB86_8 Depth=1
	v_lshlrev_b64 v[24:25], 1, v[26:27]
	v_mov_b32_e32 v112, s15
	v_add_co_u32_e32 v24, vcc, s14, v24
	v_addc_co_u32_e32 v25, vcc, v112, v25, vcc
	flat_load_ushort v24, v[24:25]
	s_waitcnt vmcnt(0) lgkmcnt(0)
	v_cvt_f32_f16_e32 v24, v24
	v_mul_f32_e32 v24, v62, v24
	v_cmp_nlt_f32_e64 s[16:17], |v29|, s46
                                        ; implicit-def: $vgpr112
	s_and_saveexec_b64 s[52:53], s[16:17]
	s_xor_b64 s[16:17], exec, s[52:53]
	s_cbranch_execz .LBB86_99
.LBB86_98:                              ;   in Loop: Header=BB86_8 Depth=1
	v_add_f32_e64 v25, |v29|, |v29|
	v_mul_f32_e32 v112, 0x3fb8aa3b, v25
	v_rndne_f32_e32 v130, v112
	v_sub_f32_e32 v131, v112, v130
	v_fma_f32 v112, v25, s47, -v112
	v_fmac_f32_e32 v112, 0x32a5705f, v25
	v_add_f32_e32 v112, v131, v112
	v_cvt_i32_f32_e32 v130, v130
	v_exp_f32_e32 v112, v112
	v_cmp_ngt_f32_e32 vcc, s48, v25
	v_ldexp_f32 v112, v112, v130
	v_cndmask_b32_e32 v112, 0, v112, vcc
	v_cmp_nlt_f32_e32 vcc, s49, v25
	v_cndmask_b32_e32 v25, v104, v112, vcc
	v_add_f32_e32 v25, 1.0, v25
	v_rcp_f32_e32 v25, v25
	v_fma_f32 v112, v25, -2.0, 1.0
.LBB86_99:                              ;   in Loop: Header=BB86_8 Depth=1
	s_andn2_saveexec_b64 s[16:17], s[16:17]
	s_cbranch_execz .LBB86_102
; %bb.100:                              ;   in Loop: Header=BB86_8 Depth=1
	v_mul_f32_e32 v25, v29, v29
	v_mov_b32_e32 v112, 0x3ca908c9
	v_fmac_f32_e32 v112, 0xbbbac73d, v25
	v_fma_f32 v112, v25, v112, v99
	v_fma_f32 v112, v25, v112, v100
	v_fma_f32 v112, v25, v112, v101
	v_mul_f32_e64 v112, |v29|, v112
	v_fma_f32 v112, v25, v112, |v29|
	s_or_b64 exec, exec, s[16:17]
	s_and_b64 vcc, exec, s[6:7]
	s_cbranch_vccz .LBB86_103
.LBB86_101:                             ;   in Loop: Header=BB86_8 Depth=1
	v_mov_b32_e32 v25, 0
	s_branch .LBB86_104
.LBB86_102:                             ;   in Loop: Header=BB86_8 Depth=1
	s_or_b64 exec, exec, s[16:17]
	s_and_b64 vcc, exec, s[6:7]
	s_cbranch_vccnz .LBB86_101
.LBB86_103:                             ;   in Loop: Header=BB86_8 Depth=1
	v_lshlrev_b64 v[26:27], 1, v[26:27]
	v_mov_b32_e32 v25, s45
	v_add_co_u32_e32 v26, vcc, s43, v26
	v_addc_co_u32_e32 v27, vcc, v25, v27, vcc
	flat_load_ushort v25, v[26:27]
	s_waitcnt vmcnt(0) lgkmcnt(0)
	v_cvt_f32_f16_e32 v25, v25
	v_mul_f32_e32 v25, v62, v25
.LBB86_104:                             ;   in Loop: Header=BB86_8 Depth=1
	v_bfi_b32 v27, s50, v112, v29
	v_bfi_b32 v26, s50, v129, v28
	v_pk_fma_f32 v[24:25], v[26:27], s[22:23], v[24:25]
	v_add_f32_e32 v26, 0x40051340, v24
	v_add_f32_e32 v27, 0x40051340, v25
	v_max3_f32 v26, v7, v26, v27
	ds_bpermute_b32 v27, v111, v26
	s_waitcnt lgkmcnt(1)
	v_max_f32_e32 v28, v128, v128
	v_max_f32_e32 v29, v30, v30
	;; [unrolled: 1-line block ×3, first 2 shown]
	v_sub_f32_e32 v28, v31, v30
	s_waitcnt lgkmcnt(0)
	v_max_f32_e32 v27, v27, v27
	v_max_f32_e32 v26, v26, v27
	ds_bpermute_b32 v27, v116, v26
	v_mul_f32_e32 v29, 0x3fb8aa3b, v28
	v_fma_f32 v31, v28, s47, -v29
	v_rndne_f32_e32 v111, v29
	v_fmac_f32_e32 v31, 0x32a5705f, v28
	s_waitcnt lgkmcnt(0)
	v_max_f32_e32 v27, v27, v27
	v_max_f32_e32 v26, v26, v27
	ds_bpermute_b32 v27, v115, v26
	v_sub_f32_e32 v29, v29, v111
	v_add_f32_e32 v29, v29, v31
	v_cvt_i32_f32_e32 v111, v111
	v_exp_f32_e32 v29, v29
	s_waitcnt lgkmcnt(0)
	v_max_f32_e32 v27, v27, v27
	v_max_f32_e32 v26, v26, v27
	ds_bpermute_b32 v27, v114, v26
	v_ldexp_f32 v29, v29, v111
	v_cmp_ngt_f32_e32 vcc, s48, v28
	v_cndmask_b32_e32 v29, 0, v29, vcc
	v_cmp_nlt_f32_e32 vcc, s49, v28
	s_waitcnt lgkmcnt(0)
	v_max_f32_e32 v27, v27, v27
	v_max_f32_e32 v26, v26, v27
	ds_bpermute_b32 v27, v113, v26
	s_mul_hi_i32 s7, s18, s8
	s_mul_i32 s6, s18, s8
	s_lshl_b64 s[6:7], s[6:7], 2
	s_waitcnt lgkmcnt(0)
	v_max_f32_e32 v27, v27, v27
	v_max_f32_e32 v31, v26, v27
	v_sub_f32_e32 v27, v127, v30
	v_mul_f32_e32 v26, 0x3fb8aa3b, v27
	v_fma_f32 v111, v27, s47, -v26
	v_rndne_f32_e32 v112, v26
	v_fmac_f32_e32 v111, 0x32a5705f, v27
	v_sub_f32_e32 v26, v26, v112
	v_add_f32_e32 v26, v26, v111
	v_exp_f32_e32 v113, v26
	v_cvt_i32_f32_e32 v112, v112
	v_cndmask_b32_e32 v26, v104, v29, vcc
	v_cmp_ngt_f32_e32 vcc, s48, v27
	v_pk_add_f32 v[6:7], v[6:7], v[30:31] neg_lo:[0,1] neg_hi:[0,1]
	v_ldexp_f32 v28, v113, v112
	v_cndmask_b32_e32 v28, 0, v28, vcc
	v_cmp_nlt_f32_e32 vcc, s49, v27
	v_mul_f32_e32 v27, 0x3fb8aa3b, v7
	v_fma_f32 v29, v7, s47, -v27
	v_rndne_f32_e32 v113, v27
	v_fmac_f32_e32 v29, 0x32a5705f, v7
	v_sub_f32_e32 v27, v27, v113
	v_add_f32_e32 v27, v27, v29
	v_cvt_i32_f32_e32 v29, v113
	v_mul_f32_e32 v113, 0x3fb8aa3b, v6
	v_fma_f32 v114, v6, s47, -v113
	v_rndne_f32_e32 v115, v113
	v_fmac_f32_e32 v114, 0x32a5705f, v6
	v_sub_f32_e32 v113, v113, v115
	v_exp_f32_e32 v27, v27
	v_add_f32_e32 v113, v113, v114
	v_exp_f32_e32 v113, v113
	v_cvt_i32_f32_e32 v114, v115
	v_cndmask_b32_e32 v28, v104, v28, vcc
	v_ldexp_f32 v27, v27, v29
	v_cmp_ngt_f32_e32 vcc, s48, v7
	v_cndmask_b32_e32 v27, 0, v27, vcc
	v_ldexp_f32 v29, v113, v114
	v_cmp_ngt_f32_e32 vcc, s48, v6
	v_cndmask_b32_e32 v29, 0, v29, vcc
	v_cmp_nlt_f32_e32 vcc, s49, v6
	v_mov_b32_e32 v6, v31
	v_cndmask_b32_e32 v114, v104, v29, vcc
	v_pk_add_f32 v[24:25], v[24:25], v[6:7] op_sel_hi:[1,0] neg_lo:[0,1] neg_hi:[0,1]
	v_cvt_f16_f32_e32 v29, v114
	v_mul_f32_e32 v6, 0x3fb8aa3b, v25
	v_fma_f32 v113, v25, s47, -v6
	v_rndne_f32_e32 v115, v6
	v_fmac_f32_e32 v113, 0x32a5705f, v25
	v_sub_f32_e32 v6, v6, v115
	v_add_f32_e32 v6, v6, v113
	v_exp_f32_e32 v113, v6
	v_cmp_nlt_f32_e32 vcc, s49, v7
	v_pk_mul_f16 v7, v29, v72 op_sel_hi:[0,1]
	v_pk_mul_f16 v6, v29, v73 op_sel_hi:[0,1]
	v_mul_f32_e32 v29, 0x3fb8aa3b, v24
	v_fma_f32 v72, v24, s47, -v29
	v_rndne_f32_e32 v73, v29
	v_cvt_i32_f32_e32 v116, v115
	v_fmac_f32_e32 v72, 0x32a5705f, v24
	v_sub_f32_e32 v29, v29, v73
	v_add_f32_e32 v29, v29, v72
	v_exp_f32_e32 v72, v29
	v_cvt_i32_f32_e32 v73, v73
	v_cndmask_b32_e32 v115, v104, v27, vcc
	v_ldexp_f32 v27, v113, v116
	v_cmp_ngt_f32_e32 vcc, s48, v25
	v_cndmask_b32_e32 v27, 0, v27, vcc
	v_cmp_nlt_f32_e32 vcc, s49, v25
	v_cndmask_b32_e32 v29, v104, v27, vcc
	v_ldexp_f32 v25, v72, v73
	v_cmp_ngt_f32_e32 vcc, s48, v24
	v_cndmask_b32_e32 v25, 0, v25, vcc
	v_cmp_nlt_f32_e32 vcc, s49, v24
	v_cndmask_b32_e32 v27, v104, v25, vcc
	v_pk_add_f32 v[24:25], v[26:27], v[28:29]
	v_pk_fma_f32 v[22:23], v[22:23], v[114:115], v[24:25]
	v_max_f32_e32 v24, v119, v119
	v_max_f32_e32 v25, v118, v118
	v_cvt_f16_f32_e32 v111, v26
	v_max_f32_e32 v26, v25, v24
	v_max_f32_e32 v24, v124, v124
	v_max_f32_e32 v25, v123, v123
	v_cvt_f16_f32_e32 v72, v27
	v_max_f32_e32 v27, v25, v24
	;; [unrolled: 4-line block ×3, first 2 shown]
	v_max_f32_e32 v24, v109, v109
	v_max_f32_e32 v28, v108, v108
	;; [unrolled: 1-line block ×3, first 2 shown]
	v_sub_f32_e32 v28, v117, v26
	v_cvt_f16_f32_e32 v73, v29
	v_mul_f32_e32 v29, 0x3fb8aa3b, v28
	v_fma_f32 v105, v28, s47, -v29
	v_rndne_f32_e32 v106, v29
	v_fmac_f32_e32 v105, 0x32a5705f, v28
	v_sub_f32_e32 v29, v29, v106
	v_add_f32_e32 v29, v29, v105
	v_exp_f32_e32 v29, v29
	v_cvt_i32_f32_e32 v105, v106
	v_sub_f32_e32 v108, v120, v27
	v_sub_f32_e32 v106, v107, v24
	;; [unrolled: 1-line block ×3, first 2 shown]
	v_ldexp_f32 v29, v29, v105
	v_mul_f32_e32 v105, 0x3fb8aa3b, v108
	v_fma_f32 v109, v108, s47, -v105
	v_rndne_f32_e32 v110, v105
	v_fmac_f32_e32 v109, 0x32a5705f, v108
	v_sub_f32_e32 v105, v105, v110
	v_add_f32_e32 v105, v105, v109
	v_exp_f32_e32 v105, v105
	v_cvt_i32_f32_e32 v109, v110
	v_cmp_ngt_f32_e32 vcc, s48, v28
	v_cndmask_b32_e32 v29, 0, v29, vcc
	v_cmp_nlt_f32_e32 vcc, s49, v28
	v_cndmask_b32_e32 v28, v104, v29, vcc
	v_ldexp_f32 v29, v105, v109
	v_mul_f32_e32 v105, 0x3fb8aa3b, v107
	v_fma_f32 v109, v107, s47, -v105
	v_rndne_f32_e32 v110, v105
	v_fmac_f32_e32 v109, 0x32a5705f, v107
	v_sub_f32_e32 v105, v105, v110
	v_add_f32_e32 v105, v105, v109
	v_exp_f32_e32 v105, v105
	v_cvt_i32_f32_e32 v109, v110
	v_cmp_ngt_f32_e32 vcc, s48, v108
	v_cndmask_b32_e32 v29, 0, v29, vcc
	v_cmp_nlt_f32_e32 vcc, s49, v108
	v_mul_f32_e32 v108, 0x3fb8aa3b, v106
	v_ldexp_f32 v105, v105, v109
	v_fma_f32 v109, v106, s47, -v108
	v_rndne_f32_e32 v110, v108
	v_fmac_f32_e32 v109, 0x32a5705f, v106
	v_sub_f32_e32 v108, v108, v110
	v_add_f32_e32 v108, v108, v109
	v_exp_f32_e32 v108, v108
	v_cvt_i32_f32_e32 v109, v110
	v_cndmask_b32_e32 v29, v104, v29, vcc
	v_cmp_ngt_f32_e32 vcc, s48, v107
	v_cndmask_b32_e32 v105, 0, v105, vcc
	v_cmp_nlt_f32_e32 vcc, s49, v107
	v_pk_add_f32 v[8:9], v[8:9], v[24:25] neg_lo:[0,1] neg_hi:[0,1]
	v_cndmask_b32_e32 v107, v104, v105, vcc
	v_ldexp_f32 v105, v108, v109
	v_mul_f32_e32 v108, 0x3fb8aa3b, v9
	v_fma_f32 v109, v9, s47, -v108
	v_rndne_f32_e32 v110, v108
	v_fmac_f32_e32 v109, 0x32a5705f, v9
	v_sub_f32_e32 v108, v108, v110
	v_add_f32_e32 v108, v108, v109
	v_exp_f32_e32 v108, v108
	v_cvt_i32_f32_e32 v109, v110
	v_cmp_ngt_f32_e32 vcc, s48, v106
	v_cndmask_b32_e32 v105, 0, v105, vcc
	v_cmp_nlt_f32_e32 vcc, s49, v106
	v_cndmask_b32_e32 v106, v104, v105, vcc
	v_ldexp_f32 v105, v108, v109
	v_mul_f32_e32 v108, 0x3fb8aa3b, v8
	v_fma_f32 v109, v8, s47, -v108
	v_rndne_f32_e32 v110, v108
	v_fmac_f32_e32 v109, 0x32a5705f, v8
	v_sub_f32_e32 v108, v108, v110
	v_add_f32_e32 v108, v108, v109
	v_exp_f32_e32 v108, v108
	v_cvt_i32_f32_e32 v109, v110
	v_cmp_ngt_f32_e32 vcc, s48, v9
	v_cndmask_b32_e32 v105, 0, v105, vcc
	v_cmp_nlt_f32_e32 vcc, s49, v9
	v_cvt_f16_f32_e32 v113, v115
	v_cndmask_b32_e32 v9, v104, v105, vcc
	v_ldexp_f32 v105, v108, v109
	v_cmp_ngt_f32_e32 vcc, s48, v8
	v_cndmask_b32_e32 v105, 0, v105, vcc
	v_cmp_nlt_f32_e32 vcc, s49, v8
	v_cndmask_b32_e32 v8, v104, v105, vcc
	v_pk_add_f32 v[4:5], v[4:5], v[24:25] neg_lo:[0,1] neg_hi:[0,1]
	v_cvt_f16_f32_e32 v105, v8
	v_pk_add_f32 v[108:109], v[106:107], v[8:9]
	v_mul_f32_e32 v8, 0x3fb8aa3b, v5
	v_pk_mul_f16 v69, v113, v69 op_sel_hi:[0,1]
	v_pk_mul_f16 v68, v113, v68 op_sel_hi:[0,1]
	v_fma_f32 v110, v5, s47, -v8
	v_rndne_f32_e32 v113, v8
	v_fmac_f32_e32 v110, 0x32a5705f, v5
	v_sub_f32_e32 v8, v8, v113
	v_add_f32_e32 v8, v8, v110
	v_cvt_i32_f32_e32 v110, v113
	v_mul_f32_e32 v113, 0x3fb8aa3b, v4
	v_fma_f32 v114, v4, s47, -v113
	v_rndne_f32_e32 v115, v113
	v_fmac_f32_e32 v114, 0x32a5705f, v4
	v_sub_f32_e32 v113, v113, v115
	v_exp_f32_e32 v8, v8
	v_add_f32_e32 v113, v113, v114
	v_exp_f32_e32 v113, v113
	v_cvt_i32_f32_e32 v114, v115
	v_ldexp_f32 v8, v8, v110
	v_cmp_ngt_f32_e32 vcc, s48, v5
	v_cndmask_b32_e32 v8, 0, v8, vcc
	v_ldexp_f32 v110, v113, v114
	v_cmp_ngt_f32_e32 vcc, s48, v4
	v_cndmask_b32_e32 v110, 0, v110, vcc
	v_cmp_nlt_f32_e32 vcc, s49, v4
	v_cndmask_b32_e32 v4, v104, v110, vcc
	v_cmp_nlt_f32_e32 vcc, s49, v5
	v_cndmask_b32_e32 v5, v104, v8, vcc
	v_cvt_f16_f32_e32 v110, v4
	v_pk_fma_f32 v[16:17], v[16:17], v[4:5], v[108:109]
	v_cvt_f16_f32_e32 v4, v5
	v_cvt_f16_f32_e32 v108, v9
	v_pk_add_f32 v[2:3], v[2:3], v[26:27] neg_lo:[0,1] neg_hi:[0,1]
	v_pk_mul_f16 v82, v110, v82 op_sel_hi:[0,1]
	v_pk_mul_f16 v79, v4, v79 op_sel_hi:[0,1]
	;; [unrolled: 1-line block ×3, first 2 shown]
	v_pk_add_f32 v[4:5], v[10:11], v[26:27] neg_lo:[0,1] neg_hi:[0,1]
	v_mul_f32_e32 v8, 0x3fb8aa3b, v5
	v_fma_f32 v9, v5, s47, -v8
	v_rndne_f32_e32 v10, v8
	v_fmac_f32_e32 v9, 0x32a5705f, v5
	v_sub_f32_e32 v8, v8, v10
	v_add_f32_e32 v8, v8, v9
	v_exp_f32_e32 v8, v8
	v_cvt_i32_f32_e32 v9, v10
	v_cmp_ngt_f32_e32 vcc, s48, v5
	v_pk_mul_f16 v83, v110, v83 op_sel_hi:[0,1]
	v_cvt_f16_f32_e32 v109, v29
	v_ldexp_f32 v8, v8, v9
	v_mul_f32_e32 v9, 0x3fb8aa3b, v4
	v_fma_f32 v10, v4, s47, -v9
	v_rndne_f32_e32 v11, v9
	v_fmac_f32_e32 v10, 0x32a5705f, v4
	v_sub_f32_e32 v9, v9, v11
	v_add_f32_e32 v9, v9, v10
	v_exp_f32_e32 v9, v9
	v_cvt_i32_f32_e32 v10, v11
	v_cndmask_b32_e32 v8, 0, v8, vcc
	v_cmp_nlt_f32_e32 vcc, s49, v5
	v_cndmask_b32_e32 v5, v104, v8, vcc
	v_ldexp_f32 v8, v9, v10
	v_cmp_ngt_f32_e32 vcc, s48, v4
	v_cndmask_b32_e32 v8, 0, v8, vcc
	v_cmp_nlt_f32_e32 vcc, s49, v4
	v_cndmask_b32_e32 v4, v104, v8, vcc
	v_cvt_f16_f32_e32 v113, v4
	v_pk_add_f32 v[8:9], v[28:29], v[4:5]
	v_mul_f32_e32 v4, 0x3fb8aa3b, v3
	v_fma_f32 v10, v3, s47, -v4
	v_rndne_f32_e32 v11, v4
	v_fmac_f32_e32 v10, 0x32a5705f, v3
	v_sub_f32_e32 v4, v4, v11
	v_add_f32_e32 v4, v4, v10
	v_cvt_i32_f32_e32 v10, v11
	v_mul_f32_e32 v11, 0x3fb8aa3b, v2
	v_cvt_f16_f32_e32 v110, v28
	v_fma_f32 v28, v2, s47, -v11
	v_rndne_f32_e32 v29, v11
	v_fmac_f32_e32 v28, 0x32a5705f, v2
	v_sub_f32_e32 v11, v11, v29
	v_exp_f32_e32 v4, v4
	v_add_f32_e32 v11, v11, v28
	v_exp_f32_e32 v11, v11
	v_cvt_i32_f32_e32 v28, v29
	v_ldexp_f32 v4, v4, v10
	v_cmp_ngt_f32_e32 vcc, s48, v3
	v_cndmask_b32_e32 v4, 0, v4, vcc
	v_ldexp_f32 v10, v11, v28
	v_cmp_ngt_f32_e32 vcc, s48, v2
	v_cndmask_b32_e32 v10, 0, v10, vcc
	v_cmp_nlt_f32_e32 vcc, s49, v2
	v_cndmask_b32_e32 v2, v104, v10, vcc
	v_cmp_nlt_f32_e32 vcc, s49, v3
	v_cndmask_b32_e32 v3, v104, v4, vcc
	v_cvt_f16_f32_e32 v10, v2
	v_pk_fma_f32 v[18:19], v[18:19], v[2:3], v[8:9]
	v_cvt_f16_f32_e32 v2, v3
	v_max_f32_e32 v3, v126, v126
	v_max_f32_e32 v4, v125, v125
	;; [unrolled: 1-line block ×6, first 2 shown]
	v_pk_add_f32 v[8:9], v[14:15], v[28:29] neg_lo:[0,1] neg_hi:[0,1]
	v_mul_f32_e32 v3, 0x3fb8aa3b, v9
	v_pk_mul_f16 v76, v10, v76 op_sel_hi:[0,1]
	v_pk_mul_f16 v77, v10, v77 op_sel_hi:[0,1]
	v_fma_f32 v4, v9, s47, -v3
	v_rndne_f32_e32 v10, v3
	v_fmac_f32_e32 v4, 0x32a5705f, v9
	v_sub_f32_e32 v3, v3, v10
	v_add_f32_e32 v3, v3, v4
	v_exp_f32_e32 v3, v3
	v_cvt_i32_f32_e32 v4, v10
	v_pk_mul_f16 v114, v2, v70 op_sel_hi:[0,1]
	v_pk_mul_f16 v115, v2, v71 op_sel_hi:[0,1]
	v_cvt_f16_f32_e32 v14, v5
	v_ldexp_f32 v2, v3, v4
	v_mul_f32_e32 v3, 0x3fb8aa3b, v8
	v_fma_f32 v4, v8, s47, -v3
	v_rndne_f32_e32 v5, v3
	v_fmac_f32_e32 v4, 0x32a5705f, v8
	v_sub_f32_e32 v3, v3, v5
	v_add_f32_e32 v3, v3, v4
	v_exp_f32_e32 v3, v3
	v_cvt_i32_f32_e32 v4, v5
	v_cmp_ngt_f32_e32 vcc, s48, v9
	v_cndmask_b32_e32 v2, 0, v2, vcc
	v_cmp_nlt_f32_e32 vcc, s49, v9
	v_cndmask_b32_e32 v9, v104, v2, vcc
	v_ldexp_f32 v10, v3, v4
	v_mov_b32_e32 v3, s7
	v_add_co_u32_e32 v2, vcc, s6, v96
	v_addc_co_u32_e32 v3, vcc, v97, v3, vcc
	s_barrier
	global_load_dwordx4 v[2:5], v[2:3], off
	v_cmp_ngt_f32_e32 vcc, s48, v8
	v_cndmask_b32_e32 v15, 0, v10, vcc
	v_pk_add_f32 v[10:11], v[12:13], v[28:29] neg_lo:[0,1] neg_hi:[0,1]
	v_mul_f32_e32 v12, 0x3fb8aa3b, v11
	v_fma_f32 v13, v11, s47, -v12
	v_rndne_f32_e32 v70, v12
	v_fmac_f32_e32 v13, 0x32a5705f, v11
	v_sub_f32_e32 v12, v12, v70
	v_add_f32_e32 v12, v12, v13
	v_exp_f32_e32 v12, v12
	v_cvt_i32_f32_e32 v13, v70
	v_cmp_nlt_f32_e32 vcc, s49, v8
	v_cndmask_b32_e32 v8, v104, v15, vcc
	v_cmp_ngt_f32_e32 vcc, s48, v11
	v_ldexp_f32 v12, v12, v13
	v_mul_f32_e32 v13, 0x3fb8aa3b, v10
	v_fma_f32 v71, v10, s47, -v13
	v_rndne_f32_e32 v116, v13
	v_fmac_f32_e32 v71, 0x32a5705f, v10
	v_sub_f32_e32 v13, v13, v116
	v_add_f32_e32 v13, v13, v71
	v_exp_f32_e32 v13, v13
	v_cvt_i32_f32_e32 v71, v116
	v_cndmask_b32_e32 v12, 0, v12, vcc
	v_cmp_nlt_f32_e32 vcc, s49, v11
	v_pk_add_f32 v[0:1], v[0:1], v[28:29] neg_lo:[0,1] neg_hi:[0,1]
	v_cndmask_b32_e32 v11, v104, v12, vcc
	v_ldexp_f32 v12, v13, v71
	v_mul_f32_e32 v13, 0x3fb8aa3b, v1
	v_fma_f32 v71, v1, s47, -v13
	v_rndne_f32_e32 v116, v13
	v_fmac_f32_e32 v71, 0x32a5705f, v1
	v_sub_f32_e32 v13, v13, v116
	v_add_f32_e32 v13, v13, v71
	v_cvt_i32_f32_e32 v71, v116
	v_mul_f32_e32 v116, 0x3fb8aa3b, v0
	v_fma_f32 v117, v0, s47, -v116
	v_rndne_f32_e32 v118, v116
	v_fmac_f32_e32 v117, 0x32a5705f, v0
	v_sub_f32_e32 v116, v116, v118
	v_add_f32_e32 v116, v116, v117
	v_exp_f32_e32 v13, v13
	v_exp_f32_e32 v116, v116
	v_cvt_i32_f32_e32 v117, v118
	v_cmp_ngt_f32_e32 vcc, s48, v10
	v_cndmask_b32_e32 v12, 0, v12, vcc
	v_cmp_nlt_f32_e32 vcc, s49, v10
	v_cndmask_b32_e32 v10, v104, v12, vcc
	v_ldexp_f32 v13, v13, v71
	v_ldexp_f32 v71, v116, v117
	v_cmp_ngt_f32_e32 vcc, s48, v0
	v_cndmask_b32_e32 v71, 0, v71, vcc
	v_cmp_nlt_f32_e32 vcc, s49, v0
	v_cndmask_b32_e32 v0, v104, v71, vcc
	v_cvt_f16_f32_e32 v71, v0
	v_cvt_f16_f32_e32 v107, v107
	;; [unrolled: 1-line block ×6, first 2 shown]
	v_cmp_ngt_f32_e32 vcc, s48, v1
	v_pk_mul_f16 v65, v71, v65 op_sel_hi:[0,1]
	v_pk_mul_f16 v66, v71, v66 op_sel_hi:[0,1]
	v_cvt_f16_f32_e32 v71, v11
	v_cndmask_b32_e32 v13, 0, v13, vcc
	v_cmp_nlt_f32_e32 vcc, s49, v1
	v_cndmask_b32_e32 v1, v104, v13, vcc
	v_pk_add_f32 v[8:9], v[8:9], v[10:11]
	v_pk_fma_f32 v[20:21], v[20:21], v[0:1], v[8:9]
	v_pack_b32_f16 v11, v111, v72
	v_pack_b32_f16 v10, v70, v15
	;; [unrolled: 1-line block ×4, first 2 shown]
	v_cvt_f16_f32_e32 v13, v1
	ds_write_b128 v103, v[8:11]
	v_pack_b32_f16 v11, v112, v73
	v_pack_b32_f16 v10, v12, v71
	;; [unrolled: 1-line block ×4, first 2 shown]
	ds_write_b128 v103, v[8:11] offset:512
	s_waitcnt vmcnt(0)
	ds_write_b128 v95, v[2:5]
	s_waitcnt lgkmcnt(0)
	s_barrier
	ds_read2_b64 v[0:3], v98 offset1:32
	ds_read_b128 v[8:11], v94
	v_pk_mul_f16 v64, v13, v64 op_sel_hi:[0,1]
	v_pk_mul_f16 v4, v13, v63 op_sel_hi:[0,1]
	ds_read_b128 v[12:15], v94 offset:16
	ds_read_b128 v[70:73], v94 offset:32
	;; [unrolled: 1-line block ×3, first 2 shown]
	s_or_b32 s6, s18, 16
	s_waitcnt lgkmcnt(3)
	v_pk_fma_f16 v5, v0, v8, v82 op_sel_hi:[1,0,1]
	v_pk_fma_f16 v63, v0, v8, v79 op_sel:[0,1,0]
	v_pk_fma_f16 v76, v0, v9, v76 op_sel_hi:[1,0,1]
	v_pk_fma_f16 v79, v0, v9, v114 op_sel:[0,1,0]
	v_pk_fma_f16 v7, v0, v11, v7 op_sel_hi:[1,0,1]
	v_pk_fma_f16 v65, v0, v10, v65 op_sel_hi:[1,0,1]
	v_pk_fma_f16 v64, v0, v10, v64 op_sel:[0,1,0]
	v_pk_fma_f16 v0, v0, v11, v69 op_sel:[0,1,0]
	v_pk_fma_f16 v69, v1, v8, v83 op_sel_hi:[1,0,1]
	v_pk_fma_f16 v8, v1, v8, v80 op_sel:[0,1,0]
	v_pk_fma_f16 v77, v1, v9, v77 op_sel_hi:[1,0,1]
	;; [unrolled: 2-line block ×4, first 2 shown]
	v_pk_fma_f16 v1, v1, v11, v68 op_sel:[0,1,0]
	s_waitcnt lgkmcnt(2)
	v_pk_fma_f16 v11, v2, v12, v5 op_sel_hi:[1,0,1]
	v_pk_fma_f16 v68, v2, v13, v76 op_sel_hi:[1,0,1]
	v_pk_fma_f16 v76, v2, v13, v79 op_sel:[0,1,0]
	v_pk_fma_f16 v79, v2, v15, v7 op_sel_hi:[1,0,1]
	ds_read2_b64 v[4:7], v98 offset0:64 offset1:96
	v_pk_fma_f16 v63, v2, v12, v63 op_sel:[0,1,0]
	v_pk_fma_f16 v65, v2, v14, v65 op_sel_hi:[1,0,1]
	v_pk_fma_f16 v64, v2, v14, v64 op_sel:[0,1,0]
	v_pk_fma_f16 v0, v2, v15, v0 op_sel:[0,1,0]
	v_pk_fma_f16 v2, v3, v12, v69 op_sel_hi:[1,0,1]
	v_pk_fma_f16 v8, v3, v12, v8 op_sel:[0,1,0]
	v_pk_fma_f16 v12, v3, v13, v77 op_sel_hi:[1,0,1]
	;; [unrolled: 2-line block ×4, first 2 shown]
	v_pk_fma_f16 v1, v3, v15, v1 op_sel:[0,1,0]
	s_waitcnt lgkmcnt(0)
	v_pk_fma_f16 v3, v4, v70, v11 op_sel_hi:[1,0,1]
	v_pk_fma_f16 v11, v4, v70, v63 op_sel:[0,1,0]
	v_pk_fma_f16 v15, v4, v71, v68 op_sel_hi:[1,0,1]
	v_pk_fma_f16 v63, v4, v71, v76 op_sel:[0,1,0]
	;; [unrolled: 2-line block ×9, first 2 shown]
	v_pk_fma_f16 v70, v6, v109, v0 op_sel:[0,1,0]
	v_pk_fma_f16 v71, v7, v106, v2 op_sel_hi:[1,0,1]
	v_pk_fma_f16 v73, v7, v107, v8 op_sel_hi:[1,0,1]
	v_pk_fma_f16 v76, v7, v107, v9 op_sel:[0,1,0]
	ds_read2_b64 v[0:3], v98 offset0:128 offset1:160
	ds_read_b128 v[8:11], v94 offset:64
	v_pk_fma_f16 v15, v6, v107, v15 op_sel_hi:[1,0,1]
	v_pk_fma_f16 v63, v6, v107, v63 op_sel:[0,1,0]
	v_pk_fma_f16 v65, v6, v108, v65 op_sel_hi:[1,0,1]
	v_pk_fma_f16 v64, v6, v108, v64 op_sel:[0,1,0]
	;; [unrolled: 2-line block ×5, first 2 shown]
	ds_read_b128 v[4:7], v94 offset:80
	s_waitcnt lgkmcnt(1)
	v_pk_fma_f16 v68, v0, v8, v68 op_sel_hi:[1,0,1]
	v_pk_fma_f16 v69, v0, v8, v69 op_sel:[0,1,0]
	v_pk_fma_f16 v15, v0, v9, v15 op_sel_hi:[1,0,1]
	v_pk_fma_f16 v63, v0, v9, v63 op_sel:[0,1,0]
	;; [unrolled: 2-line block ×8, first 2 shown]
	s_waitcnt lgkmcnt(0)
	v_pk_fma_f16 v68, v2, v4, v68 op_sel_hi:[1,0,1]
	v_pk_fma_f16 v69, v2, v4, v69 op_sel:[0,1,0]
	v_pk_fma_f16 v76, v2, v5, v15 op_sel_hi:[1,0,1]
	v_pk_fma_f16 v63, v2, v5, v63 op_sel:[0,1,0]
	;; [unrolled: 2-line block ×4, first 2 shown]
	v_pk_fma_f16 v79, v3, v6, v12 op_sel_hi:[1,0,1]
	ds_read2_b64 v[8:11], v98 offset0:192 offset1:224
	ds_read_b128 v[12:15], v94 offset:96
	v_pk_fma_f16 v65, v2, v6, v65 op_sel_hi:[1,0,1]
	v_pk_fma_f16 v64, v2, v6, v64 op_sel:[0,1,0]
	v_pk_fma_f16 v66, v2, v7, v66 op_sel_hi:[1,0,1]
	v_pk_fma_f16 v77, v2, v7, v0 op_sel:[0,1,0]
	v_pk_fma_f16 v6, v3, v6, v72 op_sel:[0,1,0]
	v_pk_fma_f16 v72, v3, v7, v73 op_sel_hi:[1,0,1]
	v_pk_fma_f16 v7, v3, v7, v1 op_sel:[0,1,0]
	ds_read_b128 v[0:3], v94 offset:112
	s_waitcnt lgkmcnt(1)
	v_pk_fma_f16 v68, v8, v12, v68 op_sel_hi:[1,0,1]
	v_pk_fma_f16 v69, v8, v12, v69 op_sel:[0,1,0]
	v_pk_fma_f16 v70, v9, v12, v70 op_sel_hi:[1,0,1]
	v_pk_fma_f16 v4, v9, v12, v4 op_sel:[0,1,0]
	;; [unrolled: 2-line block ×6, first 2 shown]
	v_pk_fma_f16 v13, v9, v14, v79 op_sel_hi:[1,0,1]
	s_waitcnt lgkmcnt(0)
	v_pk_fma_f16 v68, v10, v0, v68 op_sel_hi:[1,0,1]
	v_pk_fma_f16 v69, v10, v0, v69 op_sel:[0,1,0]
	v_pk_fma_f16 v70, v11, v0, v70 op_sel_hi:[1,0,1]
	v_pk_fma_f16 v77, v11, v0, v4 op_sel:[0,1,0]
	v_add_u32_e32 v0, 0x800, v98
	v_pk_fma_f16 v71, v9, v14, v6 op_sel:[0,1,0]
	v_pk_fma_f16 v72, v9, v15, v72 op_sel_hi:[1,0,1]
	v_pk_fma_f16 v9, v9, v15, v7 op_sel:[0,1,0]
	v_pk_fma_f16 v73, v10, v1, v73 op_sel_hi:[1,0,1]
	;; [unrolled: 2-line block ×4, first 2 shown]
	ds_read2_b64 v[4:7], v0 offset1:32
	ds_read_b128 v[12:15], v94 offset:128
	v_pk_fma_f16 v65, v10, v2, v65 op_sel_hi:[1,0,1]
	v_pk_fma_f16 v64, v10, v2, v64 op_sel:[0,1,0]
	v_pk_fma_f16 v66, v10, v3, v66 op_sel_hi:[1,0,1]
	v_pk_fma_f16 v76, v10, v3, v8 op_sel:[0,1,0]
	v_pk_fma_f16 v2, v11, v2, v71 op_sel:[0,1,0]
	v_pk_fma_f16 v71, v11, v3, v72 op_sel_hi:[1,0,1]
	v_pk_fma_f16 v3, v11, v3, v9 op_sel:[0,1,0]
	ds_read_b128 v[8:11], v94 offset:144
	s_waitcnt lgkmcnt(1)
	v_pk_fma_f16 v68, v4, v12, v68 op_sel_hi:[1,0,1]
	v_pk_fma_f16 v69, v4, v12, v69 op_sel:[0,1,0]
	v_pk_fma_f16 v72, v4, v13, v73 op_sel_hi:[1,0,1]
	v_pk_fma_f16 v63, v4, v13, v63 op_sel:[0,1,0]
	;; [unrolled: 2-line block ×8, first 2 shown]
	s_waitcnt lgkmcnt(0)
	v_pk_fma_f16 v79, v6, v11, v4 op_sel:[0,1,0]
	v_pk_fma_f16 v80, v7, v8, v12 op_sel:[0,1,0]
	v_pk_fma_f16 v82, v7, v10, v13 op_sel_hi:[1,0,1]
	ds_read2_b64 v[2:5], v0 offset0:64 offset1:96
	ds_read_b128 v[12:15], v94 offset:160
	s_mul_hi_i32 s7, s6, s8
	s_mul_i32 s6, s6, s8
	v_pk_fma_f16 v68, v6, v8, v68 op_sel_hi:[1,0,1]
	v_pk_fma_f16 v69, v6, v8, v69 op_sel:[0,1,0]
	v_pk_fma_f16 v72, v6, v9, v72 op_sel_hi:[1,0,1]
	v_pk_fma_f16 v63, v6, v9, v63 op_sel:[0,1,0]
	v_pk_fma_f16 v65, v6, v10, v65 op_sel_hi:[1,0,1]
	v_pk_fma_f16 v64, v6, v10, v64 op_sel:[0,1,0]
	v_pk_fma_f16 v66, v6, v11, v66 op_sel_hi:[1,0,1]
	v_pk_fma_f16 v70, v7, v8, v70 op_sel_hi:[1,0,1]
	v_pk_fma_f16 v73, v7, v9, v73 op_sel_hi:[1,0,1]
	v_pk_fma_f16 v1, v7, v9, v1 op_sel:[0,1,0]
	v_pk_fma_f16 v10, v7, v10, v76 op_sel:[0,1,0]
	v_pk_fma_f16 v71, v7, v11, v71 op_sel_hi:[1,0,1]
	v_pk_fma_f16 v11, v7, v11, v77 op_sel:[0,1,0]
	s_lshl_b64 s[6:7], s[6:7], 2
	s_waitcnt lgkmcnt(0)
	v_pk_fma_f16 v76, v2, v12, v68 op_sel_hi:[1,0,1]
	v_pk_fma_f16 v77, v2, v12, v69 op_sel:[0,1,0]
	v_pk_fma_f16 v72, v2, v13, v72 op_sel_hi:[1,0,1]
	v_pk_fma_f16 v63, v2, v13, v63 op_sel:[0,1,0]
	;; [unrolled: 2-line block ×8, first 2 shown]
	v_mov_b32_e32 v3, s7
	v_add_co_u32_e32 v2, vcc, s6, v96
	v_addc_co_u32_e32 v3, vcc, v97, v3, vcc
	ds_read_b128 v[6:9], v94 offset:176
	ds_read2_b64 v[10:13], v0 offset0:128 offset1:160
	ds_read_b128 v[68:71], v94 offset:192
	ds_read_b128 v[106:109], v94 offset:208
	ds_read2_b64 v[110:113], v0 offset0:192 offset1:224
	ds_read_b128 v[114:117], v94 offset:224
	ds_read_b128 v[118:121], v94 offset:240
	s_waitcnt lgkmcnt(0)
	s_barrier
	global_load_dwordx4 v[122:125], v[2:3], off
	v_pk_fma_f16 v2, v4, v6, v76 op_sel_hi:[1,0,1]
	v_pk_fma_f16 v3, v4, v6, v77 op_sel:[0,1,0]
	v_pk_fma_f16 v72, v4, v7, v72 op_sel_hi:[1,0,1]
	v_pk_fma_f16 v63, v4, v7, v63 op_sel:[0,1,0]
	;; [unrolled: 2-line block ×10, first 2 shown]
	v_pk_fma_f16 v6, v11, v68, v6 op_sel:[0,1,0]
	v_pk_fma_f16 v7, v11, v70, v7 op_sel_hi:[1,0,1]
	v_pk_fma_f16 v8, v11, v70, v8 op_sel:[0,1,0]
	v_pk_fma_f16 v15, v10, v69, v63 op_sel:[0,1,0]
	v_pk_fma_f16 v63, v10, v70, v65 op_sel_hi:[1,0,1]
	v_pk_fma_f16 v64, v10, v70, v64 op_sel:[0,1,0]
	v_pk_fma_f16 v65, v10, v71, v66 op_sel_hi:[1,0,1]
	;; [unrolled: 2-line block ×4, first 2 shown]
	v_pk_fma_f16 v4, v12, v109, v4 op_sel:[0,1,0]
	v_pk_fma_f16 v6, v13, v106, v6 op_sel:[0,1,0]
	v_pk_fma_f16 v7, v13, v108, v7 op_sel_hi:[1,0,1]
	v_pk_fma_f16 v8, v13, v108, v8 op_sel:[0,1,0]
	v_pk_fma_f16 v10, v11, v68, v76 op_sel_hi:[1,0,1]
	v_pk_fma_f16 v66, v11, v69, v73 op_sel_hi:[1,0,1]
	v_pk_fma_f16 v1, v11, v69, v1 op_sel:[0,1,0]
	v_pk_fma_f16 v14, v11, v71, v14 op_sel_hi:[1,0,1]
	v_pk_fma_f16 v11, v12, v107, v15 op_sel:[0,1,0]
	;; [unrolled: 2-line block ×6, first 2 shown]
	v_pk_fma_f16 v6, v111, v114, v6 op_sel:[0,1,0]
	v_pk_fma_f16 v7, v111, v116, v7 op_sel_hi:[1,0,1]
	v_pk_fma_f16 v8, v111, v116, v8 op_sel:[0,1,0]
	v_pk_fma_f16 v10, v13, v106, v10 op_sel_hi:[1,0,1]
	v_pk_fma_f16 v12, v13, v107, v66 op_sel_hi:[1,0,1]
	v_pk_fma_f16 v1, v13, v107, v1 op_sel:[0,1,0]
	v_pk_fma_f16 v14, v13, v109, v14 op_sel_hi:[1,0,1]
	;; [unrolled: 3-line block ×3, first 2 shown]
	v_pk_fma_f16 v64, v111, v117, v5 op_sel:[0,1,0]
	v_pk_fma_f16 v65, v112, v118, v2 op_sel_hi:[1,0,1]
	v_pk_fma_f16 v66, v112, v118, v3 op_sel:[0,1,0]
	v_pk_fma_f16 v72, v112, v119, v9 op_sel_hi:[1,0,1]
	v_pk_fma_f16 v77, v112, v121, v4 op_sel:[0,1,0]
	v_pk_fma_f16 v80, v113, v118, v6 op_sel:[0,1,0]
	v_pk_fma_f16 v83, v113, v120, v7 op_sel_hi:[1,0,1]
	v_pk_fma_f16 v105, v113, v120, v8 op_sel:[0,1,0]
	v_pk_fma_f16 v11, v110, v115, v11 op_sel:[0,1,0]
	v_pk_fma_f16 v10, v111, v114, v10 op_sel_hi:[1,0,1]
	v_pk_fma_f16 v12, v111, v115, v12 op_sel_hi:[1,0,1]
	v_pk_fma_f16 v73, v112, v119, v11 op_sel:[0,1,0]
	v_pk_fma_f16 v76, v112, v120, v13 op_sel_hi:[1,0,1]
	v_pk_fma_f16 v79, v113, v118, v10 op_sel_hi:[1,0,1]
	v_pk_fma_f16 v82, v113, v119, v12 op_sel_hi:[1,0,1]
	v_pk_fma_f16 v1, v111, v115, v1 op_sel:[0,1,0]
	v_pk_fma_f16 v14, v111, v117, v14 op_sel_hi:[1,0,1]
	v_pk_fma_f16 v15, v112, v120, v15 op_sel:[0,1,0]
	v_pk_fma_f16 v63, v112, v121, v63 op_sel_hi:[1,0,1]
	;; [unrolled: 2-line block ×3, first 2 shown]
	s_waitcnt vmcnt(0)
	ds_write_b128 v95, v[122:125]
	s_waitcnt lgkmcnt(0)
	s_barrier
	ds_read2_b64 v[2:5], v98 offset1:32
	ds_read_b128 v[6:9], v94 offset:256
	ds_read_b128 v[10:13], v94 offset:272
	;; [unrolled: 1-line block ×4, first 2 shown]
	v_pk_fma_f16 v64, v113, v121, v64 op_sel:[0,1,0]
	s_or_b32 s6, s18, 32
	s_mul_hi_i32 s7, s6, s8
	s_waitcnt lgkmcnt(3)
	v_pk_fma_f16 v65, v2, v6, v65 op_sel_hi:[1,0,1]
	v_pk_fma_f16 v66, v2, v6, v66 op_sel:[0,1,0]
	v_pk_fma_f16 v72, v2, v7, v72 op_sel_hi:[1,0,1]
	v_pk_fma_f16 v73, v2, v7, v73 op_sel:[0,1,0]
	;; [unrolled: 2-line block ×8, first 2 shown]
	s_waitcnt lgkmcnt(2)
	v_pk_fma_f16 v64, v4, v10, v65 op_sel_hi:[1,0,1]
	v_pk_fma_f16 v65, v4, v10, v66 op_sel:[0,1,0]
	v_pk_fma_f16 v66, v4, v11, v72 op_sel_hi:[1,0,1]
	v_pk_fma_f16 v72, v4, v11, v73 op_sel:[0,1,0]
	;; [unrolled: 2-line block ×5, first 2 shown]
	ds_read2_b64 v[6:9], v98 offset0:64 offset1:96
	v_pk_fma_f16 v76, v5, v11, v79 op_sel_hi:[1,0,1]
	v_pk_fma_f16 v1, v5, v11, v1 op_sel:[0,1,0]
	v_pk_fma_f16 v11, v5, v12, v80 op_sel_hi:[1,0,1]
	v_pk_fma_f16 v12, v5, v12, v82 op_sel:[0,1,0]
	;; [unrolled: 2-line block ×3, first 2 shown]
	s_waitcnt lgkmcnt(0)
	v_pk_fma_f16 v5, v6, v68, v64 op_sel_hi:[1,0,1]
	v_pk_fma_f16 v13, v6, v68, v65 op_sel:[0,1,0]
	v_pk_fma_f16 v64, v6, v69, v66 op_sel_hi:[1,0,1]
	v_pk_fma_f16 v65, v6, v69, v72 op_sel:[0,1,0]
	;; [unrolled: 2-line block ×5, first 2 shown]
	v_pk_fma_f16 v10, v7, v69, v76 op_sel_hi:[1,0,1]
	v_pk_fma_f16 v11, v7, v70, v11 op_sel_hi:[1,0,1]
	v_pk_fma_f16 v1, v7, v69, v1 op_sel:[0,1,0]
	v_pk_fma_f16 v68, v7, v70, v12 op_sel:[0,1,0]
	v_pk_fma_f16 v14, v7, v71, v14 op_sel_hi:[1,0,1]
	v_pk_fma_f16 v7, v7, v71, v3 op_sel:[0,1,0]
	v_pk_fma_f16 v69, v8, v106, v5 op_sel_hi:[1,0,1]
	v_pk_fma_f16 v70, v8, v106, v13 op_sel:[0,1,0]
	v_pk_fma_f16 v71, v8, v109, v2 op_sel:[0,1,0]
	v_pk_fma_f16 v72, v9, v106, v4 op_sel_hi:[1,0,1]
	v_pk_fma_f16 v76, v9, v107, v10 op_sel_hi:[1,0,1]
	;; [unrolled: 1-line block ×3, first 2 shown]
	ds_read2_b64 v[2:5], v98 offset0:128 offset1:160
	ds_read_b128 v[10:13], v94 offset:320
	v_pk_fma_f16 v64, v8, v107, v64 op_sel_hi:[1,0,1]
	v_pk_fma_f16 v65, v8, v107, v65 op_sel:[0,1,0]
	v_pk_fma_f16 v66, v8, v108, v66 op_sel_hi:[1,0,1]
	v_pk_fma_f16 v15, v8, v108, v15 op_sel:[0,1,0]
	;; [unrolled: 2-line block ×3, first 2 shown]
	v_pk_fma_f16 v1, v9, v107, v1 op_sel:[0,1,0]
	v_pk_fma_f16 v68, v9, v108, v68 op_sel:[0,1,0]
	v_pk_fma_f16 v14, v9, v109, v14 op_sel_hi:[1,0,1]
	v_pk_fma_f16 v79, v9, v109, v7 op_sel:[0,1,0]
	ds_read_b128 v[6:9], v94 offset:336
	s_waitcnt lgkmcnt(1)
	v_pk_fma_f16 v69, v2, v10, v69 op_sel_hi:[1,0,1]
	v_pk_fma_f16 v70, v2, v10, v70 op_sel:[0,1,0]
	v_pk_fma_f16 v64, v2, v11, v64 op_sel_hi:[1,0,1]
	v_pk_fma_f16 v65, v2, v11, v65 op_sel:[0,1,0]
	v_pk_fma_f16 v66, v2, v12, v66 op_sel_hi:[1,0,1]
	v_pk_fma_f16 v15, v2, v12, v15 op_sel:[0,1,0]
	v_pk_fma_f16 v63, v2, v13, v63 op_sel_hi:[1,0,1]
	v_pk_fma_f16 v2, v2, v13, v71 op_sel:[0,1,0]
	v_pk_fma_f16 v71, v3, v10, v72 op_sel_hi:[1,0,1]
	v_pk_fma_f16 v10, v3, v10, v73 op_sel:[0,1,0]
	v_pk_fma_f16 v72, v3, v11, v76 op_sel_hi:[1,0,1]
	v_pk_fma_f16 v1, v3, v11, v1 op_sel:[0,1,0]
	v_pk_fma_f16 v11, v3, v12, v77 op_sel_hi:[1,0,1]
	v_pk_fma_f16 v73, v3, v12, v68 op_sel:[0,1,0]
	v_pk_fma_f16 v14, v3, v13, v14 op_sel_hi:[1,0,1]
	v_pk_fma_f16 v3, v3, v13, v79 op_sel:[0,1,0]
	s_waitcnt lgkmcnt(0)
	v_pk_fma_f16 v76, v4, v6, v69 op_sel_hi:[1,0,1]
	v_pk_fma_f16 v77, v4, v6, v70 op_sel:[0,1,0]
	v_pk_fma_f16 v64, v4, v7, v64 op_sel_hi:[1,0,1]
	v_pk_fma_f16 v65, v4, v7, v65 op_sel:[0,1,0]
	;; [unrolled: 2-line block ×4, first 2 shown]
	v_pk_fma_f16 v7, v5, v8, v11 op_sel_hi:[1,0,1]
	ds_read2_b64 v[10:13], v98 offset0:192 offset1:224
	ds_read_b128 v[68:71], v94 offset:352
	v_pk_fma_f16 v66, v4, v8, v66 op_sel_hi:[1,0,1]
	v_pk_fma_f16 v15, v4, v8, v15 op_sel:[0,1,0]
	v_pk_fma_f16 v63, v4, v9, v63 op_sel_hi:[1,0,1]
	v_pk_fma_f16 v79, v4, v9, v2 op_sel:[0,1,0]
	v_pk_fma_f16 v8, v5, v8, v73 op_sel:[0,1,0]
	v_pk_fma_f16 v14, v5, v9, v14 op_sel_hi:[1,0,1]
	v_pk_fma_f16 v9, v5, v9, v3 op_sel:[0,1,0]
	ds_read_b128 v[2:5], v94 offset:368
	s_waitcnt lgkmcnt(1)
	v_pk_fma_f16 v73, v10, v68, v76 op_sel_hi:[1,0,1]
	v_pk_fma_f16 v76, v10, v68, v77 op_sel:[0,1,0]
	v_pk_fma_f16 v64, v10, v69, v64 op_sel_hi:[1,0,1]
	v_pk_fma_f16 v65, v10, v69, v65 op_sel:[0,1,0]
	;; [unrolled: 2-line block ×5, first 2 shown]
	v_pk_fma_f16 v68, v11, v69, v72 op_sel_hi:[1,0,1]
	v_pk_fma_f16 v7, v11, v70, v7 op_sel_hi:[1,0,1]
	v_pk_fma_f16 v1, v11, v69, v1 op_sel:[0,1,0]
	v_pk_fma_f16 v72, v11, v70, v8 op_sel:[0,1,0]
	v_pk_fma_f16 v14, v11, v71, v14 op_sel_hi:[1,0,1]
	v_pk_fma_f16 v11, v11, v71, v9 op_sel:[0,1,0]
	s_waitcnt lgkmcnt(0)
	v_pk_fma_f16 v73, v12, v2, v73 op_sel_hi:[1,0,1]
	v_pk_fma_f16 v76, v12, v2, v76 op_sel:[0,1,0]
	v_pk_fma_f16 v64, v12, v3, v64 op_sel_hi:[1,0,1]
	v_pk_fma_f16 v65, v12, v3, v65 op_sel:[0,1,0]
	;; [unrolled: 2-line block ×5, first 2 shown]
	v_pk_fma_f16 v79, v13, v3, v68 op_sel_hi:[1,0,1]
	v_pk_fma_f16 v80, v13, v4, v7 op_sel_hi:[1,0,1]
	ds_read2_b64 v[6:9], v0 offset1:32
	ds_read_b128 v[68:71], v94 offset:384
	v_pk_fma_f16 v1, v13, v3, v1 op_sel:[0,1,0]
	v_pk_fma_f16 v72, v13, v4, v72 op_sel:[0,1,0]
	v_pk_fma_f16 v14, v13, v5, v14 op_sel_hi:[1,0,1]
	v_pk_fma_f16 v11, v13, v5, v11 op_sel:[0,1,0]
	ds_read_b128 v[2:5], v94 offset:400
	s_waitcnt lgkmcnt(1)
	v_pk_fma_f16 v13, v6, v68, v73 op_sel_hi:[1,0,1]
	v_pk_fma_f16 v73, v6, v68, v76 op_sel:[0,1,0]
	v_pk_fma_f16 v64, v6, v69, v64 op_sel_hi:[1,0,1]
	v_pk_fma_f16 v65, v6, v69, v65 op_sel:[0,1,0]
	;; [unrolled: 2-line block ×8, first 2 shown]
	s_waitcnt lgkmcnt(0)
	v_pk_fma_f16 v76, v8, v2, v13 op_sel_hi:[1,0,1]
	v_pk_fma_f16 v73, v8, v2, v73 op_sel:[0,1,0]
	v_pk_fma_f16 v64, v8, v3, v64 op_sel_hi:[1,0,1]
	v_pk_fma_f16 v65, v8, v3, v65 op_sel:[0,1,0]
	;; [unrolled: 2-line block ×5, first 2 shown]
	v_pk_fma_f16 v79, v9, v3, v68 op_sel_hi:[1,0,1]
	v_pk_fma_f16 v80, v9, v4, v69 op_sel_hi:[1,0,1]
	ds_read2_b64 v[10:13], v0 offset0:64 offset1:96
	ds_read_b128 v[68:71], v94 offset:416
	s_mul_i32 s6, s6, s8
	v_pk_fma_f16 v1, v9, v3, v1 op_sel:[0,1,0]
	v_pk_fma_f16 v72, v9, v4, v72 op_sel:[0,1,0]
	v_pk_fma_f16 v14, v9, v5, v14 op_sel_hi:[1,0,1]
	v_pk_fma_f16 v7, v9, v5, v7 op_sel:[0,1,0]
	s_lshl_b64 s[6:7], s[6:7], 2
	s_waitcnt lgkmcnt(0)
	v_pk_fma_f16 v76, v10, v68, v76 op_sel_hi:[1,0,1]
	v_pk_fma_f16 v73, v10, v68, v73 op_sel:[0,1,0]
	v_pk_fma_f16 v64, v10, v69, v64 op_sel_hi:[1,0,1]
	v_pk_fma_f16 v65, v10, v69, v65 op_sel:[0,1,0]
	;; [unrolled: 2-line block ×8, first 2 shown]
	v_mov_b32_e32 v11, s7
	v_add_co_u32_e32 v10, vcc, s6, v96
	v_addc_co_u32_e32 v11, vcc, v97, v11, vcc
	ds_read_b128 v[2:5], v94 offset:432
	ds_read2_b64 v[6:9], v0 offset0:128 offset1:160
	ds_read_b128 v[68:71], v94 offset:448
	ds_read_b128 v[106:109], v94 offset:464
	ds_read2_b64 v[110:113], v0 offset0:192 offset1:224
	ds_read_b128 v[114:117], v94 offset:480
	ds_read_b128 v[118:121], v94 offset:496
	s_waitcnt lgkmcnt(0)
	s_barrier
	global_load_dwordx4 v[122:125], v[10:11], off
	v_pk_fma_f16 v10, v12, v2, v76 op_sel_hi:[1,0,1]
	v_pk_fma_f16 v11, v12, v2, v73 op_sel:[0,1,0]
	v_pk_fma_f16 v64, v12, v3, v64 op_sel_hi:[1,0,1]
	v_pk_fma_f16 v65, v12, v3, v65 op_sel:[0,1,0]
	;; [unrolled: 2-line block ×25, first 2 shown]
	v_pk_fma_f16 v6, v110, v117, v6 op_sel:[0,1,0]
	v_pk_fma_f16 v8, v111, v114, v8 op_sel_hi:[1,0,1]
	v_pk_fma_f16 v2, v111, v114, v2 op_sel:[0,1,0]
	v_pk_fma_f16 v3, v111, v116, v3 op_sel_hi:[1,0,1]
	;; [unrolled: 2-line block ×5, first 2 shown]
	v_pk_fma_f16 v66, v112, v118, v9 op_sel:[0,1,0]
	v_pk_fma_f16 v77, v112, v121, v6 op_sel:[0,1,0]
	v_pk_fma_f16 v79, v113, v118, v8 op_sel_hi:[1,0,1]
	v_pk_fma_f16 v80, v113, v118, v2 op_sel:[0,1,0]
	v_pk_fma_f16 v83, v113, v120, v3 op_sel_hi:[1,0,1]
	;; [unrolled: 2-line block ×4, first 2 shown]
	v_pk_fma_f16 v72, v112, v119, v10 op_sel_hi:[1,0,1]
	v_pk_fma_f16 v73, v112, v119, v11 op_sel:[0,1,0]
	v_pk_fma_f16 v76, v112, v120, v13 op_sel_hi:[1,0,1]
	v_pk_fma_f16 v82, v113, v119, v12 op_sel_hi:[1,0,1]
	v_pk_fma_f16 v1, v111, v115, v1 op_sel:[0,1,0]
	v_pk_fma_f16 v14, v111, v117, v14 op_sel_hi:[1,0,1]
	v_pk_fma_f16 v15, v112, v120, v15 op_sel:[0,1,0]
	;; [unrolled: 2-line block ×3, first 2 shown]
	v_pk_fma_f16 v14, v113, v121, v14 op_sel_hi:[1,0,1]
	s_waitcnt vmcnt(0)
	ds_write_b128 v95, v[122:125]
	s_waitcnt lgkmcnt(0)
	s_barrier
	ds_read2_b64 v[2:5], v98 offset1:32
	ds_read_b128 v[6:9], v94 offset:512
	ds_read_b128 v[10:13], v94 offset:528
	;; [unrolled: 1-line block ×4, first 2 shown]
	v_pk_fma_f16 v64, v113, v121, v64 op_sel:[0,1,0]
	s_or_b32 s6, s18, 48
	s_mul_hi_i32 s7, s6, s8
	s_waitcnt lgkmcnt(3)
	v_pk_fma_f16 v65, v2, v6, v65 op_sel_hi:[1,0,1]
	v_pk_fma_f16 v66, v2, v6, v66 op_sel:[0,1,0]
	v_pk_fma_f16 v72, v2, v7, v72 op_sel_hi:[1,0,1]
	v_pk_fma_f16 v73, v2, v7, v73 op_sel:[0,1,0]
	;; [unrolled: 2-line block ×8, first 2 shown]
	s_waitcnt lgkmcnt(2)
	v_pk_fma_f16 v64, v4, v10, v65 op_sel_hi:[1,0,1]
	v_pk_fma_f16 v65, v4, v10, v66 op_sel:[0,1,0]
	v_pk_fma_f16 v66, v4, v11, v72 op_sel_hi:[1,0,1]
	v_pk_fma_f16 v72, v4, v11, v73 op_sel:[0,1,0]
	;; [unrolled: 2-line block ×5, first 2 shown]
	ds_read2_b64 v[6:9], v98 offset0:64 offset1:96
	v_pk_fma_f16 v76, v5, v11, v79 op_sel_hi:[1,0,1]
	v_pk_fma_f16 v1, v5, v11, v1 op_sel:[0,1,0]
	v_pk_fma_f16 v11, v5, v12, v80 op_sel_hi:[1,0,1]
	v_pk_fma_f16 v12, v5, v12, v82 op_sel:[0,1,0]
	;; [unrolled: 2-line block ×3, first 2 shown]
	s_waitcnt lgkmcnt(0)
	v_pk_fma_f16 v5, v6, v68, v64 op_sel_hi:[1,0,1]
	v_pk_fma_f16 v13, v6, v68, v65 op_sel:[0,1,0]
	v_pk_fma_f16 v64, v6, v69, v66 op_sel_hi:[1,0,1]
	v_pk_fma_f16 v65, v6, v69, v72 op_sel:[0,1,0]
	;; [unrolled: 2-line block ×5, first 2 shown]
	v_pk_fma_f16 v10, v7, v69, v76 op_sel_hi:[1,0,1]
	v_pk_fma_f16 v11, v7, v70, v11 op_sel_hi:[1,0,1]
	v_pk_fma_f16 v1, v7, v69, v1 op_sel:[0,1,0]
	v_pk_fma_f16 v68, v7, v70, v12 op_sel:[0,1,0]
	v_pk_fma_f16 v14, v7, v71, v14 op_sel_hi:[1,0,1]
	v_pk_fma_f16 v7, v7, v71, v3 op_sel:[0,1,0]
	v_pk_fma_f16 v69, v8, v106, v5 op_sel_hi:[1,0,1]
	v_pk_fma_f16 v70, v8, v106, v13 op_sel:[0,1,0]
	v_pk_fma_f16 v71, v8, v109, v2 op_sel:[0,1,0]
	v_pk_fma_f16 v72, v9, v106, v4 op_sel_hi:[1,0,1]
	v_pk_fma_f16 v76, v9, v107, v10 op_sel_hi:[1,0,1]
	;; [unrolled: 1-line block ×3, first 2 shown]
	ds_read2_b64 v[2:5], v98 offset0:128 offset1:160
	ds_read_b128 v[10:13], v94 offset:576
	v_pk_fma_f16 v64, v8, v107, v64 op_sel_hi:[1,0,1]
	v_pk_fma_f16 v65, v8, v107, v65 op_sel:[0,1,0]
	v_pk_fma_f16 v66, v8, v108, v66 op_sel_hi:[1,0,1]
	v_pk_fma_f16 v15, v8, v108, v15 op_sel:[0,1,0]
	;; [unrolled: 2-line block ×3, first 2 shown]
	v_pk_fma_f16 v1, v9, v107, v1 op_sel:[0,1,0]
	v_pk_fma_f16 v68, v9, v108, v68 op_sel:[0,1,0]
	v_pk_fma_f16 v14, v9, v109, v14 op_sel_hi:[1,0,1]
	v_pk_fma_f16 v79, v9, v109, v7 op_sel:[0,1,0]
	ds_read_b128 v[6:9], v94 offset:592
	s_waitcnt lgkmcnt(1)
	v_pk_fma_f16 v69, v2, v10, v69 op_sel_hi:[1,0,1]
	v_pk_fma_f16 v70, v2, v10, v70 op_sel:[0,1,0]
	v_pk_fma_f16 v64, v2, v11, v64 op_sel_hi:[1,0,1]
	v_pk_fma_f16 v65, v2, v11, v65 op_sel:[0,1,0]
	;; [unrolled: 2-line block ×8, first 2 shown]
	s_waitcnt lgkmcnt(0)
	v_pk_fma_f16 v76, v4, v6, v69 op_sel_hi:[1,0,1]
	v_pk_fma_f16 v77, v4, v6, v70 op_sel:[0,1,0]
	v_pk_fma_f16 v64, v4, v7, v64 op_sel_hi:[1,0,1]
	v_pk_fma_f16 v65, v4, v7, v65 op_sel:[0,1,0]
	;; [unrolled: 2-line block ×4, first 2 shown]
	v_pk_fma_f16 v7, v5, v8, v11 op_sel_hi:[1,0,1]
	ds_read2_b64 v[10:13], v98 offset0:192 offset1:224
	ds_read_b128 v[68:71], v94 offset:608
	v_pk_fma_f16 v66, v4, v8, v66 op_sel_hi:[1,0,1]
	v_pk_fma_f16 v15, v4, v8, v15 op_sel:[0,1,0]
	v_pk_fma_f16 v63, v4, v9, v63 op_sel_hi:[1,0,1]
	v_pk_fma_f16 v79, v4, v9, v2 op_sel:[0,1,0]
	v_pk_fma_f16 v8, v5, v8, v73 op_sel:[0,1,0]
	v_pk_fma_f16 v14, v5, v9, v14 op_sel_hi:[1,0,1]
	v_pk_fma_f16 v9, v5, v9, v3 op_sel:[0,1,0]
	ds_read_b128 v[2:5], v94 offset:624
	s_waitcnt lgkmcnt(1)
	v_pk_fma_f16 v73, v10, v68, v76 op_sel_hi:[1,0,1]
	v_pk_fma_f16 v76, v10, v68, v77 op_sel:[0,1,0]
	v_pk_fma_f16 v64, v10, v69, v64 op_sel_hi:[1,0,1]
	v_pk_fma_f16 v65, v10, v69, v65 op_sel:[0,1,0]
	;; [unrolled: 2-line block ×5, first 2 shown]
	v_pk_fma_f16 v68, v11, v69, v72 op_sel_hi:[1,0,1]
	v_pk_fma_f16 v7, v11, v70, v7 op_sel_hi:[1,0,1]
	v_pk_fma_f16 v1, v11, v69, v1 op_sel:[0,1,0]
	v_pk_fma_f16 v72, v11, v70, v8 op_sel:[0,1,0]
	v_pk_fma_f16 v14, v11, v71, v14 op_sel_hi:[1,0,1]
	v_pk_fma_f16 v11, v11, v71, v9 op_sel:[0,1,0]
	s_waitcnt lgkmcnt(0)
	v_pk_fma_f16 v73, v12, v2, v73 op_sel_hi:[1,0,1]
	v_pk_fma_f16 v76, v12, v2, v76 op_sel:[0,1,0]
	v_pk_fma_f16 v64, v12, v3, v64 op_sel_hi:[1,0,1]
	v_pk_fma_f16 v65, v12, v3, v65 op_sel:[0,1,0]
	;; [unrolled: 2-line block ×5, first 2 shown]
	v_pk_fma_f16 v79, v13, v3, v68 op_sel_hi:[1,0,1]
	v_pk_fma_f16 v80, v13, v4, v7 op_sel_hi:[1,0,1]
	ds_read2_b64 v[6:9], v0 offset1:32
	ds_read_b128 v[68:71], v94 offset:640
	v_pk_fma_f16 v1, v13, v3, v1 op_sel:[0,1,0]
	v_pk_fma_f16 v72, v13, v4, v72 op_sel:[0,1,0]
	v_pk_fma_f16 v14, v13, v5, v14 op_sel_hi:[1,0,1]
	v_pk_fma_f16 v11, v13, v5, v11 op_sel:[0,1,0]
	ds_read_b128 v[2:5], v94 offset:656
	s_waitcnt lgkmcnt(1)
	v_pk_fma_f16 v13, v6, v68, v73 op_sel_hi:[1,0,1]
	v_pk_fma_f16 v73, v6, v68, v76 op_sel:[0,1,0]
	v_pk_fma_f16 v64, v6, v69, v64 op_sel_hi:[1,0,1]
	v_pk_fma_f16 v65, v6, v69, v65 op_sel:[0,1,0]
	;; [unrolled: 2-line block ×8, first 2 shown]
	s_waitcnt lgkmcnt(0)
	v_pk_fma_f16 v76, v8, v2, v13 op_sel_hi:[1,0,1]
	v_pk_fma_f16 v73, v8, v2, v73 op_sel:[0,1,0]
	v_pk_fma_f16 v64, v8, v3, v64 op_sel_hi:[1,0,1]
	v_pk_fma_f16 v65, v8, v3, v65 op_sel:[0,1,0]
	;; [unrolled: 2-line block ×5, first 2 shown]
	v_pk_fma_f16 v79, v9, v3, v68 op_sel_hi:[1,0,1]
	v_pk_fma_f16 v80, v9, v4, v69 op_sel_hi:[1,0,1]
	ds_read2_b64 v[10:13], v0 offset0:64 offset1:96
	ds_read_b128 v[68:71], v94 offset:672
	s_mul_i32 s6, s6, s8
	v_pk_fma_f16 v1, v9, v3, v1 op_sel:[0,1,0]
	v_pk_fma_f16 v72, v9, v4, v72 op_sel:[0,1,0]
	v_pk_fma_f16 v14, v9, v5, v14 op_sel_hi:[1,0,1]
	v_pk_fma_f16 v7, v9, v5, v7 op_sel:[0,1,0]
	s_lshl_b64 s[6:7], s[6:7], 2
	s_waitcnt lgkmcnt(0)
	v_pk_fma_f16 v76, v10, v68, v76 op_sel_hi:[1,0,1]
	v_pk_fma_f16 v73, v10, v68, v73 op_sel:[0,1,0]
	v_pk_fma_f16 v64, v10, v69, v64 op_sel_hi:[1,0,1]
	v_pk_fma_f16 v65, v10, v69, v65 op_sel:[0,1,0]
	;; [unrolled: 2-line block ×8, first 2 shown]
	v_mov_b32_e32 v11, s7
	v_add_co_u32_e32 v10, vcc, s6, v96
	v_addc_co_u32_e32 v11, vcc, v97, v11, vcc
	ds_read_b128 v[2:5], v94 offset:688
	ds_read2_b64 v[6:9], v0 offset0:128 offset1:160
	ds_read_b128 v[68:71], v94 offset:704
	ds_read_b128 v[106:109], v94 offset:720
	ds_read2_b64 v[110:113], v0 offset0:192 offset1:224
	ds_read_b128 v[114:117], v94 offset:736
	ds_read_b128 v[118:121], v94 offset:752
	s_waitcnt lgkmcnt(0)
	s_barrier
	global_load_dwordx4 v[122:125], v[10:11], off
	v_pk_fma_f16 v10, v12, v2, v76 op_sel_hi:[1,0,1]
	v_pk_fma_f16 v11, v12, v2, v73 op_sel:[0,1,0]
	v_pk_fma_f16 v64, v12, v3, v64 op_sel_hi:[1,0,1]
	v_pk_fma_f16 v65, v12, v3, v65 op_sel:[0,1,0]
	;; [unrolled: 2-line block ×25, first 2 shown]
	v_pk_fma_f16 v6, v110, v117, v6 op_sel:[0,1,0]
	v_pk_fma_f16 v8, v111, v114, v8 op_sel_hi:[1,0,1]
	v_pk_fma_f16 v2, v111, v114, v2 op_sel:[0,1,0]
	v_pk_fma_f16 v3, v111, v116, v3 op_sel_hi:[1,0,1]
	;; [unrolled: 2-line block ×5, first 2 shown]
	v_pk_fma_f16 v66, v112, v118, v9 op_sel:[0,1,0]
	v_pk_fma_f16 v77, v112, v121, v6 op_sel:[0,1,0]
	v_pk_fma_f16 v79, v113, v118, v8 op_sel_hi:[1,0,1]
	v_pk_fma_f16 v80, v113, v118, v2 op_sel:[0,1,0]
	v_pk_fma_f16 v83, v113, v120, v3 op_sel_hi:[1,0,1]
	;; [unrolled: 2-line block ×4, first 2 shown]
	v_pk_fma_f16 v72, v112, v119, v10 op_sel_hi:[1,0,1]
	v_pk_fma_f16 v73, v112, v119, v11 op_sel:[0,1,0]
	v_pk_fma_f16 v76, v112, v120, v13 op_sel_hi:[1,0,1]
	v_pk_fma_f16 v82, v113, v119, v12 op_sel_hi:[1,0,1]
	v_pk_fma_f16 v1, v111, v115, v1 op_sel:[0,1,0]
	v_pk_fma_f16 v14, v111, v117, v14 op_sel_hi:[1,0,1]
	v_pk_fma_f16 v15, v112, v120, v15 op_sel:[0,1,0]
	;; [unrolled: 2-line block ×3, first 2 shown]
	v_pk_fma_f16 v14, v113, v121, v14 op_sel_hi:[1,0,1]
	s_waitcnt vmcnt(0)
	ds_write_b128 v95, v[122:125]
	s_waitcnt lgkmcnt(0)
	s_barrier
	ds_read2_b64 v[2:5], v98 offset1:32
	ds_read_b128 v[6:9], v94 offset:768
	ds_read_b128 v[10:13], v94 offset:784
	;; [unrolled: 1-line block ×4, first 2 shown]
	v_pk_fma_f16 v64, v113, v121, v64 op_sel:[0,1,0]
	s_waitcnt lgkmcnt(3)
	v_pk_fma_f16 v65, v2, v6, v65 op_sel_hi:[1,0,1]
	v_pk_fma_f16 v66, v2, v6, v66 op_sel:[0,1,0]
	v_pk_fma_f16 v72, v2, v7, v72 op_sel_hi:[1,0,1]
	v_pk_fma_f16 v73, v2, v7, v73 op_sel:[0,1,0]
	;; [unrolled: 2-line block ×8, first 2 shown]
	s_waitcnt lgkmcnt(2)
	v_pk_fma_f16 v64, v4, v10, v65 op_sel_hi:[1,0,1]
	v_pk_fma_f16 v65, v4, v10, v66 op_sel:[0,1,0]
	v_pk_fma_f16 v66, v4, v11, v72 op_sel_hi:[1,0,1]
	v_pk_fma_f16 v72, v4, v11, v73 op_sel:[0,1,0]
	v_pk_fma_f16 v73, v4, v12, v76 op_sel_hi:[1,0,1]
	v_pk_fma_f16 v15, v4, v12, v15 op_sel:[0,1,0]
	v_pk_fma_f16 v63, v4, v13, v63 op_sel_hi:[1,0,1]
	v_pk_fma_f16 v2, v4, v13, v2 op_sel:[0,1,0]
	v_pk_fma_f16 v4, v5, v10, v77 op_sel_hi:[1,0,1]
	v_pk_fma_f16 v10, v5, v10, v6 op_sel:[0,1,0]
	ds_read2_b64 v[6:9], v98 offset0:64 offset1:96
	v_pk_fma_f16 v76, v5, v11, v79 op_sel_hi:[1,0,1]
	v_pk_fma_f16 v1, v5, v11, v1 op_sel:[0,1,0]
	v_pk_fma_f16 v11, v5, v12, v80 op_sel_hi:[1,0,1]
	v_pk_fma_f16 v12, v5, v12, v82 op_sel:[0,1,0]
	;; [unrolled: 2-line block ×3, first 2 shown]
	s_waitcnt lgkmcnt(0)
	v_pk_fma_f16 v5, v6, v68, v64 op_sel_hi:[1,0,1]
	v_pk_fma_f16 v13, v6, v68, v65 op_sel:[0,1,0]
	v_pk_fma_f16 v64, v6, v69, v66 op_sel_hi:[1,0,1]
	v_pk_fma_f16 v65, v6, v69, v72 op_sel:[0,1,0]
	;; [unrolled: 2-line block ×5, first 2 shown]
	v_pk_fma_f16 v10, v7, v69, v76 op_sel_hi:[1,0,1]
	v_pk_fma_f16 v11, v7, v70, v11 op_sel_hi:[1,0,1]
	v_pk_fma_f16 v1, v7, v69, v1 op_sel:[0,1,0]
	v_pk_fma_f16 v68, v7, v70, v12 op_sel:[0,1,0]
	v_pk_fma_f16 v14, v7, v71, v14 op_sel_hi:[1,0,1]
	v_pk_fma_f16 v7, v7, v71, v3 op_sel:[0,1,0]
	v_pk_fma_f16 v69, v8, v106, v5 op_sel_hi:[1,0,1]
	v_pk_fma_f16 v70, v8, v106, v13 op_sel:[0,1,0]
	v_pk_fma_f16 v71, v8, v109, v2 op_sel:[0,1,0]
	v_pk_fma_f16 v72, v9, v106, v4 op_sel_hi:[1,0,1]
	v_pk_fma_f16 v76, v9, v107, v10 op_sel_hi:[1,0,1]
	;; [unrolled: 1-line block ×3, first 2 shown]
	ds_read2_b64 v[2:5], v98 offset0:128 offset1:160
	ds_read_b128 v[10:13], v94 offset:832
	v_pk_fma_f16 v64, v8, v107, v64 op_sel_hi:[1,0,1]
	v_pk_fma_f16 v65, v8, v107, v65 op_sel:[0,1,0]
	v_pk_fma_f16 v66, v8, v108, v66 op_sel_hi:[1,0,1]
	v_pk_fma_f16 v15, v8, v108, v15 op_sel:[0,1,0]
	;; [unrolled: 2-line block ×3, first 2 shown]
	v_pk_fma_f16 v1, v9, v107, v1 op_sel:[0,1,0]
	v_pk_fma_f16 v68, v9, v108, v68 op_sel:[0,1,0]
	v_pk_fma_f16 v14, v9, v109, v14 op_sel_hi:[1,0,1]
	v_pk_fma_f16 v79, v9, v109, v7 op_sel:[0,1,0]
	ds_read_b128 v[6:9], v94 offset:848
	s_waitcnt lgkmcnt(1)
	v_pk_fma_f16 v69, v2, v10, v69 op_sel_hi:[1,0,1]
	v_pk_fma_f16 v70, v2, v10, v70 op_sel:[0,1,0]
	v_pk_fma_f16 v64, v2, v11, v64 op_sel_hi:[1,0,1]
	v_pk_fma_f16 v65, v2, v11, v65 op_sel:[0,1,0]
	;; [unrolled: 2-line block ×8, first 2 shown]
	s_waitcnt lgkmcnt(0)
	v_pk_fma_f16 v76, v4, v6, v69 op_sel_hi:[1,0,1]
	v_pk_fma_f16 v77, v4, v6, v70 op_sel:[0,1,0]
	v_pk_fma_f16 v64, v4, v7, v64 op_sel_hi:[1,0,1]
	v_pk_fma_f16 v65, v4, v7, v65 op_sel:[0,1,0]
	v_pk_fma_f16 v80, v5, v6, v71 op_sel_hi:[1,0,1]
	v_pk_fma_f16 v6, v5, v6, v10 op_sel:[0,1,0]
	v_pk_fma_f16 v72, v5, v7, v72 op_sel_hi:[1,0,1]
	v_pk_fma_f16 v1, v5, v7, v1 op_sel:[0,1,0]
	v_pk_fma_f16 v7, v5, v8, v11 op_sel_hi:[1,0,1]
	ds_read2_b64 v[10:13], v98 offset0:192 offset1:224
	ds_read_b128 v[68:71], v94 offset:864
	v_pk_fma_f16 v66, v4, v8, v66 op_sel_hi:[1,0,1]
	v_pk_fma_f16 v15, v4, v8, v15 op_sel:[0,1,0]
	v_pk_fma_f16 v63, v4, v9, v63 op_sel_hi:[1,0,1]
	v_pk_fma_f16 v79, v4, v9, v2 op_sel:[0,1,0]
	v_pk_fma_f16 v8, v5, v8, v73 op_sel:[0,1,0]
	v_pk_fma_f16 v14, v5, v9, v14 op_sel_hi:[1,0,1]
	v_pk_fma_f16 v9, v5, v9, v3 op_sel:[0,1,0]
	ds_read_b128 v[2:5], v94 offset:880
	s_waitcnt lgkmcnt(1)
	v_pk_fma_f16 v73, v10, v68, v76 op_sel_hi:[1,0,1]
	v_pk_fma_f16 v76, v10, v68, v77 op_sel:[0,1,0]
	v_pk_fma_f16 v64, v10, v69, v64 op_sel_hi:[1,0,1]
	v_pk_fma_f16 v65, v10, v69, v65 op_sel:[0,1,0]
	;; [unrolled: 2-line block ×5, first 2 shown]
	v_pk_fma_f16 v68, v11, v69, v72 op_sel_hi:[1,0,1]
	v_pk_fma_f16 v7, v11, v70, v7 op_sel_hi:[1,0,1]
	v_pk_fma_f16 v1, v11, v69, v1 op_sel:[0,1,0]
	v_pk_fma_f16 v72, v11, v70, v8 op_sel:[0,1,0]
	v_pk_fma_f16 v14, v11, v71, v14 op_sel_hi:[1,0,1]
	v_pk_fma_f16 v11, v11, v71, v9 op_sel:[0,1,0]
	s_waitcnt lgkmcnt(0)
	v_pk_fma_f16 v73, v12, v2, v73 op_sel_hi:[1,0,1]
	v_pk_fma_f16 v76, v12, v2, v76 op_sel:[0,1,0]
	v_pk_fma_f16 v64, v12, v3, v64 op_sel_hi:[1,0,1]
	v_pk_fma_f16 v65, v12, v3, v65 op_sel:[0,1,0]
	;; [unrolled: 2-line block ×5, first 2 shown]
	v_pk_fma_f16 v79, v13, v3, v68 op_sel_hi:[1,0,1]
	v_pk_fma_f16 v80, v13, v4, v7 op_sel_hi:[1,0,1]
	ds_read2_b64 v[6:9], v0 offset1:32
	ds_read_b128 v[68:71], v94 offset:896
	v_pk_fma_f16 v1, v13, v3, v1 op_sel:[0,1,0]
	v_pk_fma_f16 v72, v13, v4, v72 op_sel:[0,1,0]
	v_pk_fma_f16 v14, v13, v5, v14 op_sel_hi:[1,0,1]
	v_pk_fma_f16 v11, v13, v5, v11 op_sel:[0,1,0]
	ds_read_b128 v[2:5], v94 offset:912
	s_waitcnt lgkmcnt(1)
	v_pk_fma_f16 v13, v6, v68, v73 op_sel_hi:[1,0,1]
	v_pk_fma_f16 v73, v6, v68, v76 op_sel:[0,1,0]
	v_pk_fma_f16 v64, v6, v69, v64 op_sel_hi:[1,0,1]
	v_pk_fma_f16 v65, v6, v69, v65 op_sel:[0,1,0]
	v_pk_fma_f16 v66, v6, v70, v66 op_sel_hi:[1,0,1]
	v_pk_fma_f16 v15, v6, v70, v15 op_sel:[0,1,0]
	v_pk_fma_f16 v63, v6, v71, v63 op_sel_hi:[1,0,1]
	v_pk_fma_f16 v6, v6, v71, v10 op_sel:[0,1,0]
	v_pk_fma_f16 v10, v7, v68, v12 op_sel_hi:[1,0,1]
	v_pk_fma_f16 v12, v7, v68, v77 op_sel:[0,1,0]
	v_pk_fma_f16 v68, v7, v69, v79 op_sel_hi:[1,0,1]
	v_pk_fma_f16 v1, v7, v69, v1 op_sel:[0,1,0]
	v_pk_fma_f16 v69, v7, v70, v80 op_sel_hi:[1,0,1]
	v_pk_fma_f16 v72, v7, v70, v72 op_sel:[0,1,0]
	v_pk_fma_f16 v14, v7, v71, v14 op_sel_hi:[1,0,1]
	v_pk_fma_f16 v7, v7, v71, v11 op_sel:[0,1,0]
	s_waitcnt lgkmcnt(0)
	v_pk_fma_f16 v76, v8, v2, v13 op_sel_hi:[1,0,1]
	v_pk_fma_f16 v73, v8, v2, v73 op_sel:[0,1,0]
	v_pk_fma_f16 v64, v8, v3, v64 op_sel_hi:[1,0,1]
	v_pk_fma_f16 v65, v8, v3, v65 op_sel:[0,1,0]
	;; [unrolled: 2-line block ×5, first 2 shown]
	v_pk_fma_f16 v79, v9, v3, v68 op_sel_hi:[1,0,1]
	v_pk_fma_f16 v80, v9, v4, v69 op_sel_hi:[1,0,1]
	ds_read2_b64 v[10:13], v0 offset0:64 offset1:96
	ds_read_b128 v[68:71], v94 offset:928
	v_pk_fma_f16 v1, v9, v3, v1 op_sel:[0,1,0]
	v_pk_fma_f16 v72, v9, v4, v72 op_sel:[0,1,0]
	v_pk_fma_f16 v14, v9, v5, v14 op_sel_hi:[1,0,1]
	v_pk_fma_f16 v7, v9, v5, v7 op_sel:[0,1,0]
	ds_read_b128 v[2:5], v94 offset:944
	s_waitcnt lgkmcnt(1)
	v_pk_fma_f16 v9, v10, v68, v76 op_sel_hi:[1,0,1]
	v_pk_fma_f16 v73, v10, v68, v73 op_sel:[0,1,0]
	v_pk_fma_f16 v64, v10, v69, v64 op_sel_hi:[1,0,1]
	v_pk_fma_f16 v65, v10, v69, v65 op_sel:[0,1,0]
	;; [unrolled: 2-line block ×8, first 2 shown]
	s_waitcnt lgkmcnt(0)
	v_pk_fma_f16 v76, v12, v2, v9 op_sel_hi:[1,0,1]
	v_pk_fma_f16 v73, v12, v2, v73 op_sel:[0,1,0]
	v_pk_fma_f16 v64, v12, v3, v64 op_sel_hi:[1,0,1]
	v_pk_fma_f16 v65, v12, v3, v65 op_sel:[0,1,0]
	;; [unrolled: 2-line block ×4, first 2 shown]
	v_pk_fma_f16 v77, v13, v2, v8 op_sel_hi:[1,0,1]
	v_pk_fma_f16 v79, v13, v3, v68 op_sel_hi:[1,0,1]
	;; [unrolled: 1-line block ×3, first 2 shown]
	ds_read2_b64 v[6:9], v0 offset0:128 offset1:160
	ds_read_b128 v[68:71], v94 offset:960
	v_pk_fma_f16 v10, v13, v2, v10 op_sel:[0,1,0]
	v_pk_fma_f16 v1, v13, v3, v1 op_sel:[0,1,0]
	;; [unrolled: 1-line block ×3, first 2 shown]
	v_pk_fma_f16 v14, v13, v5, v14 op_sel_hi:[1,0,1]
	v_pk_fma_f16 v11, v13, v5, v11 op_sel:[0,1,0]
	ds_read_b128 v[2:5], v94 offset:976
	s_waitcnt lgkmcnt(1)
	v_pk_fma_f16 v13, v6, v68, v76 op_sel_hi:[1,0,1]
	v_pk_fma_f16 v73, v6, v68, v73 op_sel:[0,1,0]
	v_pk_fma_f16 v64, v6, v69, v64 op_sel_hi:[1,0,1]
	v_pk_fma_f16 v65, v6, v69, v65 op_sel:[0,1,0]
	;; [unrolled: 2-line block ×8, first 2 shown]
	s_waitcnt lgkmcnt(0)
	v_pk_fma_f16 v71, v8, v2, v13 op_sel_hi:[1,0,1]
	v_pk_fma_f16 v72, v8, v2, v73 op_sel:[0,1,0]
	v_pk_fma_f16 v64, v8, v3, v64 op_sel_hi:[1,0,1]
	v_pk_fma_f16 v65, v8, v3, v65 op_sel:[0,1,0]
	v_pk_fma_f16 v66, v8, v4, v66 op_sel_hi:[1,0,1]
	v_pk_fma_f16 v15, v8, v4, v15 op_sel:[0,1,0]
	v_pk_fma_f16 v63, v8, v5, v63 op_sel_hi:[1,0,1]
	v_pk_fma_f16 v8, v8, v5, v6 op_sel:[0,1,0]
	v_pk_fma_f16 v73, v9, v2, v12 op_sel_hi:[1,0,1]
	v_pk_fma_f16 v76, v9, v2, v10 op_sel:[0,1,0]
	v_pk_fma_f16 v68, v9, v3, v68 op_sel_hi:[1,0,1]
	v_pk_fma_f16 v77, v9, v3, v1 op_sel:[0,1,0]
	v_pk_fma_f16 v69, v9, v4, v69 op_sel_hi:[1,0,1]
	ds_read2_b64 v[0:3], v0 offset0:192 offset1:224
	ds_read_b128 v[10:13], v94 offset:992
	v_pk_fma_f16 v70, v9, v4, v70 op_sel:[0,1,0]
	v_pk_fma_f16 v14, v9, v5, v14 op_sel_hi:[1,0,1]
	v_pk_fma_f16 v9, v9, v5, v7 op_sel:[0,1,0]
	ds_read_b128 v[4:7], v94 offset:1008
	s_waitcnt lgkmcnt(0)
	s_barrier
	s_load_dword s6, s[12:13], 0x4
	v_pk_fma_f16 v71, v0, v10, v71 op_sel_hi:[1,0,1]
	v_pk_fma_f16 v72, v0, v10, v72 op_sel:[0,1,0]
	v_pk_fma_f16 v64, v0, v11, v64 op_sel_hi:[1,0,1]
	v_pk_fma_f16 v65, v0, v11, v65 op_sel:[0,1,0]
	s_waitcnt lgkmcnt(0)
	s_lshl_b32 s6, s6, 6
	v_pk_fma_f16 v66, v0, v12, v66 op_sel_hi:[1,0,1]
	v_pk_fma_f16 v15, v0, v12, v15 op_sel:[0,1,0]
	v_pk_fma_f16 v63, v0, v13, v63 op_sel_hi:[1,0,1]
	v_pk_fma_f16 v0, v0, v13, v8 op_sel:[0,1,0]
	;; [unrolled: 2-line block ×6, first 2 shown]
	s_add_i32 s18, s6, s18
	v_pk_fma_f16 v82, v2, v4, v71 op_sel_hi:[1,0,1]
	v_pk_fma_f16 v79, v2, v4, v72 op_sel:[0,1,0]
	v_pk_fma_f16 v76, v2, v5, v64 op_sel_hi:[1,0,1]
	v_pk_fma_f16 v70, v2, v5, v65 op_sel:[0,1,0]
	;; [unrolled: 2-line block ×7, first 2 shown]
	v_pk_fma_f16 v73, v3, v7, v14 op_sel_hi:[1,0,1]
	s_cmp_lt_i32 s18, s21
	v_pk_fma_f16 v68, v3, v7, v1 op_sel:[0,1,0]
	s_cbranch_scc0 .LBB86_115
; %bb.105:                              ;   in Loop: Header=BB86_8 Depth=1
	v_mov_b32_e32 v4, v24
	v_mov_b32_e32 v5, v25
	;; [unrolled: 1-line block ×8, first 2 shown]
	s_branch .LBB86_8
.LBB86_106:                             ;   in Loop: Header=BB86_8 Depth=1
	v_mov_b32_e32 v107, 0
	v_cmp_nlt_f32_e64 s[16:17], |v11|, s46
                                        ; implicit-def: $vgpr109
	s_and_saveexec_b64 s[52:53], s[16:17]
	s_xor_b64 s[16:17], exec, s[52:53]
	s_cbranch_execz .LBB86_15
	s_branch .LBB86_14
.LBB86_107:                             ;   in Loop: Header=BB86_8 Depth=1
	v_mov_b32_e32 v110, 0
	v_cmp_nlt_f32_e64 s[16:17], |v106|, s46
                                        ; implicit-def: $vgpr118
	s_and_saveexec_b64 s[52:53], s[16:17]
	s_xor_b64 s[16:17], exec, s[52:53]
	s_cbranch_execz .LBB86_27
	s_branch .LBB86_26
.LBB86_108:                             ;   in Loop: Header=BB86_8 Depth=1
	v_mov_b32_e32 v117, 0
	v_cmp_nlt_f32_e64 s[16:17], |v13|, s46
                                        ; implicit-def: $vgpr119
	s_and_saveexec_b64 s[52:53], s[16:17]
	s_xor_b64 s[16:17], exec, s[52:53]
	s_cbranch_execz .LBB86_39
	s_branch .LBB86_38
.LBB86_109:                             ;   in Loop: Header=BB86_8 Depth=1
	v_mov_b32_e32 v120, 0
	v_cmp_nlt_f32_e64 s[16:17], |v25|, s46
                                        ; implicit-def: $vgpr122
	s_and_saveexec_b64 s[52:53], s[16:17]
	s_xor_b64 s[16:17], exec, s[52:53]
	s_cbranch_execz .LBB86_51
	s_branch .LBB86_50
.LBB86_110:                             ;   in Loop: Header=BB86_8 Depth=1
	v_mov_b32_e32 v14, 0
	v_cmp_nlt_f32_e64 s[16:17], |v24|, s46
                                        ; implicit-def: $vgpr121
	s_and_saveexec_b64 s[52:53], s[16:17]
	s_xor_b64 s[16:17], exec, s[52:53]
	s_cbranch_execz .LBB86_63
	s_branch .LBB86_62
.LBB86_111:                             ;   in Loop: Header=BB86_8 Depth=1
	v_mov_b32_e32 v15, 0
	v_cmp_nlt_f32_e64 s[16:17], |v31|, s46
                                        ; implicit-def: $vgpr126
	s_and_saveexec_b64 s[52:53], s[16:17]
	s_xor_b64 s[16:17], exec, s[52:53]
	s_cbranch_execz .LBB86_75
	s_branch .LBB86_74
.LBB86_112:                             ;   in Loop: Header=BB86_8 Depth=1
	v_mov_b32_e32 v31, 0
	v_cmp_nlt_f32_e64 s[16:17], |v27|, s46
                                        ; implicit-def: $vgpr128
	s_and_saveexec_b64 s[52:53], s[16:17]
	s_xor_b64 s[16:17], exec, s[52:53]
	s_cbranch_execz .LBB86_87
	s_branch .LBB86_86
.LBB86_113:                             ;   in Loop: Header=BB86_8 Depth=1
	v_mov_b32_e32 v24, 0
	v_cmp_nlt_f32_e64 s[16:17], |v29|, s46
                                        ; implicit-def: $vgpr112
	s_and_saveexec_b64 s[52:53], s[16:17]
	s_xor_b64 s[16:17], exec, s[52:53]
	s_cbranch_execz .LBB86_99
	s_branch .LBB86_98
.LBB86_114:
	s_mov_b32 s49, s48
	s_mov_b32 s50, s48
	;; [unrolled: 1-line block ×7, first 2 shown]
	v_pk_mov_b32 v[24:25], s[48:49], s[48:49] op_sel:[0,1]
	v_pk_mov_b32 v[26:27], s[50:51], s[50:51] op_sel:[0,1]
	;; [unrolled: 1-line block ×4, first 2 shown]
	v_mov_b32_e32 v22, v23
	v_mov_b32_e32 v21, v23
	;; [unrolled: 1-line block ×22, first 2 shown]
.LBB86_115:
	s_cmp_gt_i32 s44, s18
	s_cbranch_scc1 .LBB86_117
; %bb.116:
	v_mbcnt_hi_u32_b32 v87, -1, v86
	v_and_b32_e32 v0, 0x60, v87
	v_add_u32_e32 v88, 32, v0
	v_xor_b32_e32 v90, 16, v87
	v_xor_b32_e32 v93, 8, v87
	;; [unrolled: 1-line block ×5, first 2 shown]
	s_cbranch_execz .LBB86_118
	s_branch .LBB86_263
.LBB86_117:
                                        ; implicit-def: $vgpr87
                                        ; implicit-def: $vgpr88
                                        ; implicit-def: $vgpr90
                                        ; implicit-def: $vgpr93
                                        ; implicit-def: $vgpr91
                                        ; implicit-def: $vgpr92
                                        ; implicit-def: $vgpr89
.LBB86_118:
	s_mul_hi_i32 s7, s18, s27
	s_mul_i32 s6, s18, s27
	v_add_u32_e32 v14, v55, v35
	s_sub_i32 s21, s44, s18
	s_lshl_b64 s[6:7], s[6:7], 2
	v_mul_lo_u32 v0, s27, v14
	s_add_u32 s10, s40, s6
	v_ashrrev_i32_e32 v1, 31, v0
	s_addc_u32 s11, s41, s7
	v_lshlrev_b64 v[0:1], 2, v[0:1]
	v_mov_b32_e32 v2, s11
	v_add_co_u32_e32 v0, vcc, s10, v0
	v_addc_co_u32_e32 v1, vcc, v2, v1, vcc
	v_lshlrev_b32_e32 v15, 2, v34
	v_add_co_u32_e32 v35, vcc, v0, v15
	s_mov_b64 s[6:7], src_private_base
	v_addc_co_u32_e32 v36, vcc, 0, v1, vcc
	v_mov_b32_e32 v37, 0
	v_mov_b32_e32 v38, s7
	v_cmp_gt_i32_e32 vcc, s21, v14
	v_mov_b32_e32 v39, 0
	buffer_store_dword v37, off, s[0:3], 0
	buffer_store_dword v37, off, s[0:3], 0 offset:8
	buffer_store_dword v37, off, s[0:3], 0 offset:4
	buffer_store_dword v37, off, s[0:3], 0 offset:12
	v_cndmask_b32_e32 v1, v38, v36, vcc
	v_cndmask_b32_e32 v0, v39, v35, vcc
	flat_load_dwordx4 v[88:91], v[0:1]
	s_movk_i32 s6, 0x50
	v_mul_u32_u24_e32 v34, 0x50, v56
	v_mov_b32_e32 v0, 0
	v_mad_u32_u24 v87, v14, s6, v15
	v_mov_b32_e32 v1, 0
	v_mov_b32_e32 v2, 0
	;; [unrolled: 1-line block ×15, first 2 shown]
	s_waitcnt vmcnt(0) lgkmcnt(0)
	ds_write_b128 v87, v[88:91] offset:24576
	s_waitcnt lgkmcnt(0)
	s_barrier
	ds_read_b128 v[88:91], v34 offset:24576
	ds_read_b128 v[92:95], v34 offset:27136
	ds_read_b128 v[96:99], v33
	ds_read_b128 v[100:103], v33 offset:256
	ds_read_b128 v[104:107], v33 offset:512
	;; [unrolled: 1-line block ×7, first 2 shown]
	s_waitcnt lgkmcnt(7)
	;;#ASMSTART
	v_dot2_f32_f16 v0, v88, v96, v0
	;;#ASMEND
	;;#ASMSTART
	v_dot2_f32_f16 v0, v89, v97, v0
	;;#ASMEND
	;;#ASMSTART
	v_dot2_f32_f16 v0, v90, v98, v0
	;;#ASMEND
	;;#ASMSTART
	v_dot2_f32_f16 v0, v91, v99, v0
	;;#ASMEND
	s_waitcnt lgkmcnt(6)
	;;#ASMSTART
	v_dot2_f32_f16 v1, v88, v100, v1
	;;#ASMEND
	;;#ASMSTART
	v_dot2_f32_f16 v1, v89, v101, v1
	;;#ASMEND
	;;#ASMSTART
	v_dot2_f32_f16 v1, v90, v102, v1
	;;#ASMEND
	;;#ASMSTART
	v_dot2_f32_f16 v1, v91, v103, v1
	;;#ASMEND
	;; [unrolled: 13-line block ×8, first 2 shown]
	;;#ASMSTART
	v_dot2_f32_f16 v8, v92, v96, v8
	;;#ASMEND
	;;#ASMSTART
	v_dot2_f32_f16 v8, v93, v97, v8
	;;#ASMEND
	;; [unrolled: 3-line block ×32, first 2 shown]
	ds_read_b128 v[88:91], v34 offset:24592
	ds_read_b128 v[92:95], v34 offset:27152
	;; [unrolled: 1-line block ×10, first 2 shown]
	s_waitcnt lgkmcnt(7)
	;;#ASMSTART
	v_dot2_f32_f16 v0, v88, v96, v0
	;;#ASMEND
	;;#ASMSTART
	v_dot2_f32_f16 v0, v89, v97, v0
	;;#ASMEND
	;;#ASMSTART
	v_dot2_f32_f16 v0, v90, v98, v0
	;;#ASMEND
	;;#ASMSTART
	v_dot2_f32_f16 v0, v91, v99, v0
	;;#ASMEND
	s_waitcnt lgkmcnt(6)
	;;#ASMSTART
	v_dot2_f32_f16 v1, v88, v100, v1
	;;#ASMEND
	;;#ASMSTART
	v_dot2_f32_f16 v1, v89, v101, v1
	;;#ASMEND
	;;#ASMSTART
	v_dot2_f32_f16 v1, v90, v102, v1
	;;#ASMEND
	;;#ASMSTART
	v_dot2_f32_f16 v1, v91, v103, v1
	;;#ASMEND
	;; [unrolled: 13-line block ×8, first 2 shown]
	;;#ASMSTART
	v_dot2_f32_f16 v8, v92, v96, v8
	;;#ASMEND
	;;#ASMSTART
	v_dot2_f32_f16 v8, v93, v97, v8
	;;#ASMEND
	;; [unrolled: 3-line block ×32, first 2 shown]
	ds_read_b128 v[88:91], v34 offset:24608
	ds_read_b128 v[92:95], v34 offset:27168
	;; [unrolled: 1-line block ×10, first 2 shown]
	s_waitcnt lgkmcnt(7)
	;;#ASMSTART
	v_dot2_f32_f16 v0, v88, v96, v0
	;;#ASMEND
	;;#ASMSTART
	v_dot2_f32_f16 v0, v89, v97, v0
	;;#ASMEND
	;;#ASMSTART
	v_dot2_f32_f16 v0, v90, v98, v0
	;;#ASMEND
	;;#ASMSTART
	v_dot2_f32_f16 v0, v91, v99, v0
	;;#ASMEND
	s_waitcnt lgkmcnt(6)
	;;#ASMSTART
	v_dot2_f32_f16 v1, v88, v100, v1
	;;#ASMEND
	;;#ASMSTART
	v_dot2_f32_f16 v1, v89, v101, v1
	;;#ASMEND
	;;#ASMSTART
	v_dot2_f32_f16 v1, v90, v102, v1
	;;#ASMEND
	;;#ASMSTART
	v_dot2_f32_f16 v1, v91, v103, v1
	;;#ASMEND
	;; [unrolled: 13-line block ×8, first 2 shown]
	;;#ASMSTART
	v_dot2_f32_f16 v8, v92, v96, v8
	;;#ASMEND
	;;#ASMSTART
	v_dot2_f32_f16 v8, v93, v97, v8
	;;#ASMEND
	;;#ASMSTART
	v_dot2_f32_f16 v8, v94, v98, v8
	;;#ASMEND
	;;#ASMSTART
	v_dot2_f32_f16 v8, v95, v99, v8
	;;#ASMEND
	;;#ASMSTART
	v_dot2_f32_f16 v9, v92, v100, v9
	;;#ASMEND
	;;#ASMSTART
	v_dot2_f32_f16 v9, v93, v101, v9
	;;#ASMEND
	;;#ASMSTART
	v_dot2_f32_f16 v9, v94, v102, v9
	;;#ASMEND
	;;#ASMSTART
	v_dot2_f32_f16 v9, v95, v103, v9
	;;#ASMEND
	;;#ASMSTART
	v_dot2_f32_f16 v10, v92, v104, v10
	;;#ASMEND
	;;#ASMSTART
	v_dot2_f32_f16 v10, v93, v105, v10
	;;#ASMEND
	;;#ASMSTART
	v_dot2_f32_f16 v10, v94, v106, v10
	;;#ASMEND
	;;#ASMSTART
	v_dot2_f32_f16 v10, v95, v107, v10
	;;#ASMEND
	;;#ASMSTART
	v_dot2_f32_f16 v11, v92, v108, v11
	;;#ASMEND
	;;#ASMSTART
	v_dot2_f32_f16 v11, v93, v109, v11
	;;#ASMEND
	;;#ASMSTART
	v_dot2_f32_f16 v11, v94, v110, v11
	;;#ASMEND
	;;#ASMSTART
	v_dot2_f32_f16 v11, v95, v111, v11
	;;#ASMEND
	;;#ASMSTART
	v_dot2_f32_f16 v12, v92, v112, v12
	;;#ASMEND
	;;#ASMSTART
	v_dot2_f32_f16 v12, v93, v113, v12
	;;#ASMEND
	;;#ASMSTART
	v_dot2_f32_f16 v12, v94, v114, v12
	;;#ASMEND
	;;#ASMSTART
	v_dot2_f32_f16 v12, v95, v115, v12
	;;#ASMEND
	;;#ASMSTART
	v_dot2_f32_f16 v13, v92, v116, v13
	;;#ASMEND
	;;#ASMSTART
	v_dot2_f32_f16 v13, v93, v117, v13
	;;#ASMEND
	;;#ASMSTART
	v_dot2_f32_f16 v13, v94, v118, v13
	;;#ASMEND
	;;#ASMSTART
	v_dot2_f32_f16 v13, v95, v119, v13
	;;#ASMEND
	;;#ASMSTART
	v_dot2_f32_f16 v14, v92, v120, v14
	;;#ASMEND
	;;#ASMSTART
	v_dot2_f32_f16 v14, v93, v121, v14
	;;#ASMEND
	;;#ASMSTART
	v_dot2_f32_f16 v14, v94, v122, v14
	;;#ASMEND
	;;#ASMSTART
	v_dot2_f32_f16 v14, v95, v123, v14
	;;#ASMEND
	;;#ASMSTART
	v_dot2_f32_f16 v15, v92, v124, v15
	;;#ASMEND
	;;#ASMSTART
	v_dot2_f32_f16 v15, v93, v125, v15
	;;#ASMEND
	;;#ASMSTART
	v_dot2_f32_f16 v15, v94, v126, v15
	;;#ASMEND
	;;#ASMSTART
	v_dot2_f32_f16 v15, v95, v127, v15
	;;#ASMEND
	ds_read_b128 v[88:91], v34 offset:24624
	ds_read_b128 v[92:95], v34 offset:27184
	;; [unrolled: 1-line block ×10, first 2 shown]
	s_waitcnt lgkmcnt(7)
	;;#ASMSTART
	v_dot2_f32_f16 v0, v88, v96, v0
	;;#ASMEND
	;;#ASMSTART
	v_dot2_f32_f16 v0, v89, v97, v0
	;;#ASMEND
	;;#ASMSTART
	v_dot2_f32_f16 v0, v90, v98, v0
	;;#ASMEND
	;;#ASMSTART
	v_dot2_f32_f16 v0, v91, v99, v0
	;;#ASMEND
	s_waitcnt lgkmcnt(6)
	;;#ASMSTART
	v_dot2_f32_f16 v1, v88, v100, v1
	;;#ASMEND
	;;#ASMSTART
	v_dot2_f32_f16 v1, v89, v101, v1
	;;#ASMEND
	;;#ASMSTART
	v_dot2_f32_f16 v1, v90, v102, v1
	;;#ASMEND
	;;#ASMSTART
	v_dot2_f32_f16 v1, v91, v103, v1
	;;#ASMEND
	;; [unrolled: 13-line block ×8, first 2 shown]
	;;#ASMSTART
	v_dot2_f32_f16 v8, v92, v96, v8
	;;#ASMEND
	;;#ASMSTART
	v_dot2_f32_f16 v8, v93, v97, v8
	;;#ASMEND
	;; [unrolled: 3-line block ×30, first 2 shown]
	v_add_co_u32_e64 v88, s[6:7], 64, v35
	;;#ASMSTART
	v_dot2_f32_f16 v15, v94, v126, v15
	;;#ASMEND
	v_addc_co_u32_e64 v89, s[6:7], 0, v36, s[6:7]
	;;#ASMSTART
	v_dot2_f32_f16 v15, v95, v127, v15
	;;#ASMEND
	s_barrier
	buffer_store_dword v37, off, s[0:3], 0
	buffer_store_dword v37, off, s[0:3], 0 offset:8
	buffer_store_dword v37, off, s[0:3], 0 offset:4
	;; [unrolled: 1-line block ×3, first 2 shown]
	v_cndmask_b32_e32 v89, v38, v89, vcc
	v_cndmask_b32_e32 v88, v39, v88, vcc
	flat_load_dwordx4 v[88:91], v[88:89]
	s_movk_i32 s6, 0x80
	s_waitcnt vmcnt(0) lgkmcnt(0)
	ds_write_b128 v87, v[88:91] offset:24576
	s_waitcnt lgkmcnt(0)
	s_barrier
	ds_read_b128 v[88:91], v34 offset:24576
	ds_read_b128 v[92:95], v34 offset:27136
	ds_read_b128 v[96:99], v33 offset:64
	ds_read_b128 v[100:103], v33 offset:320
	ds_read_b128 v[104:107], v33 offset:576
	ds_read_b128 v[108:111], v33 offset:832
	ds_read_b128 v[112:115], v33 offset:1088
	ds_read_b128 v[116:119], v33 offset:1344
	ds_read_b128 v[120:123], v33 offset:1600
	ds_read_b128 v[124:127], v33 offset:1856
	s_waitcnt lgkmcnt(7)
	;;#ASMSTART
	v_dot2_f32_f16 v0, v88, v96, v0
	;;#ASMEND
	;;#ASMSTART
	v_dot2_f32_f16 v0, v89, v97, v0
	;;#ASMEND
	;;#ASMSTART
	v_dot2_f32_f16 v0, v90, v98, v0
	;;#ASMEND
	;;#ASMSTART
	v_dot2_f32_f16 v0, v91, v99, v0
	;;#ASMEND
	s_waitcnt lgkmcnt(6)
	;;#ASMSTART
	v_dot2_f32_f16 v1, v88, v100, v1
	;;#ASMEND
	;;#ASMSTART
	v_dot2_f32_f16 v1, v89, v101, v1
	;;#ASMEND
	;;#ASMSTART
	v_dot2_f32_f16 v1, v90, v102, v1
	;;#ASMEND
	;;#ASMSTART
	v_dot2_f32_f16 v1, v91, v103, v1
	;;#ASMEND
	;; [unrolled: 13-line block ×8, first 2 shown]
	;;#ASMSTART
	v_dot2_f32_f16 v8, v92, v96, v8
	;;#ASMEND
	;;#ASMSTART
	v_dot2_f32_f16 v8, v93, v97, v8
	;;#ASMEND
	;; [unrolled: 3-line block ×32, first 2 shown]
	ds_read_b128 v[88:91], v34 offset:24592
	ds_read_b128 v[92:95], v34 offset:27152
	ds_read_b128 v[96:99], v33 offset:80
	ds_read_b128 v[100:103], v33 offset:336
	ds_read_b128 v[104:107], v33 offset:592
	ds_read_b128 v[108:111], v33 offset:848
	ds_read_b128 v[112:115], v33 offset:1104
	ds_read_b128 v[116:119], v33 offset:1360
	ds_read_b128 v[120:123], v33 offset:1616
	ds_read_b128 v[124:127], v33 offset:1872
	s_waitcnt lgkmcnt(7)
	;;#ASMSTART
	v_dot2_f32_f16 v0, v88, v96, v0
	;;#ASMEND
	;;#ASMSTART
	v_dot2_f32_f16 v0, v89, v97, v0
	;;#ASMEND
	;;#ASMSTART
	v_dot2_f32_f16 v0, v90, v98, v0
	;;#ASMEND
	;;#ASMSTART
	v_dot2_f32_f16 v0, v91, v99, v0
	;;#ASMEND
	s_waitcnt lgkmcnt(6)
	;;#ASMSTART
	v_dot2_f32_f16 v1, v88, v100, v1
	;;#ASMEND
	;;#ASMSTART
	v_dot2_f32_f16 v1, v89, v101, v1
	;;#ASMEND
	;;#ASMSTART
	v_dot2_f32_f16 v1, v90, v102, v1
	;;#ASMEND
	;;#ASMSTART
	v_dot2_f32_f16 v1, v91, v103, v1
	;;#ASMEND
	;; [unrolled: 13-line block ×8, first 2 shown]
	;;#ASMSTART
	v_dot2_f32_f16 v8, v92, v96, v8
	;;#ASMEND
	;;#ASMSTART
	v_dot2_f32_f16 v8, v93, v97, v8
	;;#ASMEND
	;; [unrolled: 3-line block ×32, first 2 shown]
	ds_read_b128 v[88:91], v34 offset:24608
	ds_read_b128 v[92:95], v34 offset:27168
	ds_read_b128 v[96:99], v33 offset:96
	ds_read_b128 v[100:103], v33 offset:352
	ds_read_b128 v[104:107], v33 offset:608
	ds_read_b128 v[108:111], v33 offset:864
	ds_read_b128 v[112:115], v33 offset:1120
	ds_read_b128 v[116:119], v33 offset:1376
	ds_read_b128 v[120:123], v33 offset:1632
	ds_read_b128 v[124:127], v33 offset:1888
	s_waitcnt lgkmcnt(7)
	;;#ASMSTART
	v_dot2_f32_f16 v0, v88, v96, v0
	;;#ASMEND
	;;#ASMSTART
	v_dot2_f32_f16 v0, v89, v97, v0
	;;#ASMEND
	;;#ASMSTART
	v_dot2_f32_f16 v0, v90, v98, v0
	;;#ASMEND
	;;#ASMSTART
	v_dot2_f32_f16 v0, v91, v99, v0
	;;#ASMEND
	s_waitcnt lgkmcnt(6)
	;;#ASMSTART
	v_dot2_f32_f16 v1, v88, v100, v1
	;;#ASMEND
	;;#ASMSTART
	v_dot2_f32_f16 v1, v89, v101, v1
	;;#ASMEND
	;;#ASMSTART
	v_dot2_f32_f16 v1, v90, v102, v1
	;;#ASMEND
	;;#ASMSTART
	v_dot2_f32_f16 v1, v91, v103, v1
	;;#ASMEND
	;; [unrolled: 13-line block ×8, first 2 shown]
	;;#ASMSTART
	v_dot2_f32_f16 v8, v92, v96, v8
	;;#ASMEND
	;;#ASMSTART
	v_dot2_f32_f16 v8, v93, v97, v8
	;;#ASMEND
	;; [unrolled: 3-line block ×32, first 2 shown]
	ds_read_b128 v[88:91], v34 offset:24624
	ds_read_b128 v[92:95], v34 offset:27184
	;; [unrolled: 1-line block ×10, first 2 shown]
	s_waitcnt lgkmcnt(7)
	;;#ASMSTART
	v_dot2_f32_f16 v0, v88, v96, v0
	;;#ASMEND
	;;#ASMSTART
	v_dot2_f32_f16 v0, v89, v97, v0
	;;#ASMEND
	;;#ASMSTART
	v_dot2_f32_f16 v0, v90, v98, v0
	;;#ASMEND
	;;#ASMSTART
	v_dot2_f32_f16 v0, v91, v99, v0
	;;#ASMEND
	s_waitcnt lgkmcnt(6)
	;;#ASMSTART
	v_dot2_f32_f16 v1, v88, v100, v1
	;;#ASMEND
	;;#ASMSTART
	v_dot2_f32_f16 v1, v89, v101, v1
	;;#ASMEND
	;;#ASMSTART
	v_dot2_f32_f16 v1, v90, v102, v1
	;;#ASMEND
	;;#ASMSTART
	v_dot2_f32_f16 v1, v91, v103, v1
	;;#ASMEND
	;; [unrolled: 13-line block ×8, first 2 shown]
	;;#ASMSTART
	v_dot2_f32_f16 v8, v92, v96, v8
	;;#ASMEND
	;;#ASMSTART
	v_dot2_f32_f16 v8, v93, v97, v8
	;;#ASMEND
	;; [unrolled: 3-line block ×30, first 2 shown]
	v_add_co_u32_e64 v88, s[6:7], s6, v35
	;;#ASMSTART
	v_dot2_f32_f16 v15, v94, v126, v15
	;;#ASMEND
	v_addc_co_u32_e64 v89, s[6:7], 0, v36, s[6:7]
	;;#ASMSTART
	v_dot2_f32_f16 v15, v95, v127, v15
	;;#ASMEND
	s_barrier
	buffer_store_dword v37, off, s[0:3], 0
	buffer_store_dword v37, off, s[0:3], 0 offset:8
	buffer_store_dword v37, off, s[0:3], 0 offset:4
	;; [unrolled: 1-line block ×3, first 2 shown]
	v_cndmask_b32_e32 v89, v38, v89, vcc
	v_cndmask_b32_e32 v88, v39, v88, vcc
	flat_load_dwordx4 v[88:91], v[88:89]
	s_movk_i32 s6, 0xc0
	v_add_co_u32_e64 v35, s[6:7], s6, v35
	v_addc_co_u32_e64 v36, s[6:7], 0, v36, s[6:7]
	s_mov_b32 s6, 0x3f200000
	s_waitcnt vmcnt(0) lgkmcnt(0)
	ds_write_b128 v87, v[88:91] offset:24576
	s_waitcnt lgkmcnt(0)
	s_barrier
	ds_read_b128 v[88:91], v34 offset:24576
	ds_read_b128 v[92:95], v34 offset:27136
	;; [unrolled: 1-line block ×10, first 2 shown]
	s_waitcnt lgkmcnt(7)
	;;#ASMSTART
	v_dot2_f32_f16 v0, v88, v96, v0
	;;#ASMEND
	;;#ASMSTART
	v_dot2_f32_f16 v0, v89, v97, v0
	;;#ASMEND
	;;#ASMSTART
	v_dot2_f32_f16 v0, v90, v98, v0
	;;#ASMEND
	;;#ASMSTART
	v_dot2_f32_f16 v0, v91, v99, v0
	;;#ASMEND
	s_waitcnt lgkmcnt(6)
	;;#ASMSTART
	v_dot2_f32_f16 v1, v88, v100, v1
	;;#ASMEND
	;;#ASMSTART
	v_dot2_f32_f16 v1, v89, v101, v1
	;;#ASMEND
	;;#ASMSTART
	v_dot2_f32_f16 v1, v90, v102, v1
	;;#ASMEND
	;;#ASMSTART
	v_dot2_f32_f16 v1, v91, v103, v1
	;;#ASMEND
	;; [unrolled: 13-line block ×8, first 2 shown]
	;;#ASMSTART
	v_dot2_f32_f16 v8, v92, v96, v8
	;;#ASMEND
	;;#ASMSTART
	v_dot2_f32_f16 v8, v93, v97, v8
	;;#ASMEND
	;; [unrolled: 3-line block ×32, first 2 shown]
	ds_read_b128 v[88:91], v34 offset:24592
	ds_read_b128 v[92:95], v34 offset:27152
	;; [unrolled: 1-line block ×10, first 2 shown]
	s_waitcnt lgkmcnt(7)
	;;#ASMSTART
	v_dot2_f32_f16 v0, v88, v96, v0
	;;#ASMEND
	;;#ASMSTART
	v_dot2_f32_f16 v0, v89, v97, v0
	;;#ASMEND
	;;#ASMSTART
	v_dot2_f32_f16 v0, v90, v98, v0
	;;#ASMEND
	;;#ASMSTART
	v_dot2_f32_f16 v0, v91, v99, v0
	;;#ASMEND
	s_waitcnt lgkmcnt(6)
	;;#ASMSTART
	v_dot2_f32_f16 v1, v88, v100, v1
	;;#ASMEND
	;;#ASMSTART
	v_dot2_f32_f16 v1, v89, v101, v1
	;;#ASMEND
	;;#ASMSTART
	v_dot2_f32_f16 v1, v90, v102, v1
	;;#ASMEND
	;;#ASMSTART
	v_dot2_f32_f16 v1, v91, v103, v1
	;;#ASMEND
	;; [unrolled: 13-line block ×8, first 2 shown]
	;;#ASMSTART
	v_dot2_f32_f16 v8, v92, v96, v8
	;;#ASMEND
	;;#ASMSTART
	v_dot2_f32_f16 v8, v93, v97, v8
	;;#ASMEND
	;;#ASMSTART
	v_dot2_f32_f16 v8, v94, v98, v8
	;;#ASMEND
	;;#ASMSTART
	v_dot2_f32_f16 v8, v95, v99, v8
	;;#ASMEND
	;;#ASMSTART
	v_dot2_f32_f16 v9, v92, v100, v9
	;;#ASMEND
	;;#ASMSTART
	v_dot2_f32_f16 v9, v93, v101, v9
	;;#ASMEND
	;;#ASMSTART
	v_dot2_f32_f16 v9, v94, v102, v9
	;;#ASMEND
	;;#ASMSTART
	v_dot2_f32_f16 v9, v95, v103, v9
	;;#ASMEND
	;;#ASMSTART
	v_dot2_f32_f16 v10, v92, v104, v10
	;;#ASMEND
	;;#ASMSTART
	v_dot2_f32_f16 v10, v93, v105, v10
	;;#ASMEND
	;;#ASMSTART
	v_dot2_f32_f16 v10, v94, v106, v10
	;;#ASMEND
	;;#ASMSTART
	v_dot2_f32_f16 v10, v95, v107, v10
	;;#ASMEND
	;;#ASMSTART
	v_dot2_f32_f16 v11, v92, v108, v11
	;;#ASMEND
	;;#ASMSTART
	v_dot2_f32_f16 v11, v93, v109, v11
	;;#ASMEND
	;;#ASMSTART
	v_dot2_f32_f16 v11, v94, v110, v11
	;;#ASMEND
	;;#ASMSTART
	v_dot2_f32_f16 v11, v95, v111, v11
	;;#ASMEND
	;;#ASMSTART
	v_dot2_f32_f16 v12, v92, v112, v12
	;;#ASMEND
	;;#ASMSTART
	v_dot2_f32_f16 v12, v93, v113, v12
	;;#ASMEND
	;;#ASMSTART
	v_dot2_f32_f16 v12, v94, v114, v12
	;;#ASMEND
	;;#ASMSTART
	v_dot2_f32_f16 v12, v95, v115, v12
	;;#ASMEND
	;;#ASMSTART
	v_dot2_f32_f16 v13, v92, v116, v13
	;;#ASMEND
	;;#ASMSTART
	v_dot2_f32_f16 v13, v93, v117, v13
	;;#ASMEND
	;;#ASMSTART
	v_dot2_f32_f16 v13, v94, v118, v13
	;;#ASMEND
	;;#ASMSTART
	v_dot2_f32_f16 v13, v95, v119, v13
	;;#ASMEND
	;;#ASMSTART
	v_dot2_f32_f16 v14, v92, v120, v14
	;;#ASMEND
	;;#ASMSTART
	v_dot2_f32_f16 v14, v93, v121, v14
	;;#ASMEND
	;;#ASMSTART
	v_dot2_f32_f16 v14, v94, v122, v14
	;;#ASMEND
	;;#ASMSTART
	v_dot2_f32_f16 v14, v95, v123, v14
	;;#ASMEND
	;;#ASMSTART
	v_dot2_f32_f16 v15, v92, v124, v15
	;;#ASMEND
	;;#ASMSTART
	v_dot2_f32_f16 v15, v93, v125, v15
	;;#ASMEND
	;;#ASMSTART
	v_dot2_f32_f16 v15, v94, v126, v15
	;;#ASMEND
	;;#ASMSTART
	v_dot2_f32_f16 v15, v95, v127, v15
	;;#ASMEND
	ds_read_b128 v[88:91], v34 offset:24608
	ds_read_b128 v[92:95], v34 offset:27168
	;; [unrolled: 1-line block ×10, first 2 shown]
	s_waitcnt lgkmcnt(7)
	;;#ASMSTART
	v_dot2_f32_f16 v0, v88, v96, v0
	;;#ASMEND
	;;#ASMSTART
	v_dot2_f32_f16 v0, v89, v97, v0
	;;#ASMEND
	;;#ASMSTART
	v_dot2_f32_f16 v0, v90, v98, v0
	;;#ASMEND
	;;#ASMSTART
	v_dot2_f32_f16 v0, v91, v99, v0
	;;#ASMEND
	s_waitcnt lgkmcnt(6)
	;;#ASMSTART
	v_dot2_f32_f16 v1, v88, v100, v1
	;;#ASMEND
	;;#ASMSTART
	v_dot2_f32_f16 v1, v89, v101, v1
	;;#ASMEND
	;;#ASMSTART
	v_dot2_f32_f16 v1, v90, v102, v1
	;;#ASMEND
	;;#ASMSTART
	v_dot2_f32_f16 v1, v91, v103, v1
	;;#ASMEND
	s_waitcnt lgkmcnt(5)
	;;#ASMSTART
	v_dot2_f32_f16 v2, v88, v104, v2
	;;#ASMEND
	;;#ASMSTART
	v_dot2_f32_f16 v2, v89, v105, v2
	;;#ASMEND
	;;#ASMSTART
	v_dot2_f32_f16 v2, v90, v106, v2
	;;#ASMEND
	;;#ASMSTART
	v_dot2_f32_f16 v2, v91, v107, v2
	;;#ASMEND
	s_waitcnt lgkmcnt(4)
	;;#ASMSTART
	v_dot2_f32_f16 v3, v88, v108, v3
	;;#ASMEND
	;;#ASMSTART
	v_dot2_f32_f16 v3, v89, v109, v3
	;;#ASMEND
	;;#ASMSTART
	v_dot2_f32_f16 v3, v90, v110, v3
	;;#ASMEND
	;;#ASMSTART
	v_dot2_f32_f16 v3, v91, v111, v3
	;;#ASMEND
	s_waitcnt lgkmcnt(3)
	;;#ASMSTART
	v_dot2_f32_f16 v4, v88, v112, v4
	;;#ASMEND
	;;#ASMSTART
	v_dot2_f32_f16 v4, v89, v113, v4
	;;#ASMEND
	;;#ASMSTART
	v_dot2_f32_f16 v4, v90, v114, v4
	;;#ASMEND
	;;#ASMSTART
	v_dot2_f32_f16 v4, v91, v115, v4
	;;#ASMEND
	s_waitcnt lgkmcnt(2)
	;;#ASMSTART
	v_dot2_f32_f16 v5, v88, v116, v5
	;;#ASMEND
	;;#ASMSTART
	v_dot2_f32_f16 v5, v89, v117, v5
	;;#ASMEND
	;;#ASMSTART
	v_dot2_f32_f16 v5, v90, v118, v5
	;;#ASMEND
	;;#ASMSTART
	v_dot2_f32_f16 v5, v91, v119, v5
	;;#ASMEND
	s_waitcnt lgkmcnt(1)
	;;#ASMSTART
	v_dot2_f32_f16 v6, v88, v120, v6
	;;#ASMEND
	;;#ASMSTART
	v_dot2_f32_f16 v6, v89, v121, v6
	;;#ASMEND
	;;#ASMSTART
	v_dot2_f32_f16 v6, v90, v122, v6
	;;#ASMEND
	;;#ASMSTART
	v_dot2_f32_f16 v6, v91, v123, v6
	;;#ASMEND
	s_waitcnt lgkmcnt(0)
	;;#ASMSTART
	v_dot2_f32_f16 v7, v88, v124, v7
	;;#ASMEND
	;;#ASMSTART
	v_dot2_f32_f16 v7, v89, v125, v7
	;;#ASMEND
	;;#ASMSTART
	v_dot2_f32_f16 v7, v90, v126, v7
	;;#ASMEND
	;;#ASMSTART
	v_dot2_f32_f16 v7, v91, v127, v7
	;;#ASMEND
	;;#ASMSTART
	v_dot2_f32_f16 v8, v92, v96, v8
	;;#ASMEND
	;;#ASMSTART
	v_dot2_f32_f16 v8, v93, v97, v8
	;;#ASMEND
	;; [unrolled: 3-line block ×32, first 2 shown]
	ds_read_b128 v[88:91], v34 offset:24624
	ds_read_b128 v[92:95], v34 offset:27184
	;; [unrolled: 1-line block ×10, first 2 shown]
	s_waitcnt lgkmcnt(7)
	;;#ASMSTART
	v_dot2_f32_f16 v0, v88, v96, v0
	;;#ASMEND
	;;#ASMSTART
	v_dot2_f32_f16 v0, v89, v97, v0
	;;#ASMEND
	;;#ASMSTART
	v_dot2_f32_f16 v0, v90, v98, v0
	;;#ASMEND
	;;#ASMSTART
	v_dot2_f32_f16 v0, v91, v99, v0
	;;#ASMEND
	s_waitcnt lgkmcnt(6)
	;;#ASMSTART
	v_dot2_f32_f16 v1, v88, v100, v1
	;;#ASMEND
	;;#ASMSTART
	v_dot2_f32_f16 v1, v89, v101, v1
	;;#ASMEND
	;;#ASMSTART
	v_dot2_f32_f16 v1, v90, v102, v1
	;;#ASMEND
	;;#ASMSTART
	v_dot2_f32_f16 v1, v91, v103, v1
	;;#ASMEND
	;; [unrolled: 13-line block ×8, first 2 shown]
	;;#ASMSTART
	v_dot2_f32_f16 v8, v92, v96, v8
	;;#ASMEND
	;;#ASMSTART
	v_dot2_f32_f16 v8, v93, v97, v8
	;;#ASMEND
	;; [unrolled: 3-line block ×32, first 2 shown]
	s_barrier
	buffer_store_dword v37, off, s[0:3], 0
	buffer_store_dword v37, off, s[0:3], 0 offset:8
	buffer_store_dword v37, off, s[0:3], 0 offset:4
	;; [unrolled: 1-line block ×3, first 2 shown]
	v_cndmask_b32_e32 v37, v38, v36, vcc
	v_cndmask_b32_e32 v36, v39, v35, vcc
	flat_load_dwordx4 v[36:39], v[36:37]
	s_waitcnt vmcnt(0) lgkmcnt(0)
	ds_write_b128 v87, v[36:39] offset:24576
	s_waitcnt lgkmcnt(0)
	s_barrier
	ds_read_b128 v[36:39], v34 offset:24576
	ds_read_b128 v[88:91], v34 offset:27136
	;; [unrolled: 1-line block ×10, first 2 shown]
	s_waitcnt lgkmcnt(7)
	;;#ASMSTART
	v_dot2_f32_f16 v0, v36, v92, v0
	;;#ASMEND
	;;#ASMSTART
	v_dot2_f32_f16 v0, v37, v93, v0
	;;#ASMEND
	;;#ASMSTART
	v_dot2_f32_f16 v0, v38, v94, v0
	;;#ASMEND
	;;#ASMSTART
	v_dot2_f32_f16 v0, v39, v95, v0
	;;#ASMEND
	s_waitcnt lgkmcnt(6)
	;;#ASMSTART
	v_dot2_f32_f16 v1, v36, v96, v1
	;;#ASMEND
	;;#ASMSTART
	v_dot2_f32_f16 v1, v37, v97, v1
	;;#ASMEND
	;;#ASMSTART
	v_dot2_f32_f16 v1, v38, v98, v1
	;;#ASMEND
	;;#ASMSTART
	v_dot2_f32_f16 v1, v39, v99, v1
	;;#ASMEND
	;; [unrolled: 13-line block ×8, first 2 shown]
	;;#ASMSTART
	v_dot2_f32_f16 v8, v88, v92, v8
	;;#ASMEND
	;;#ASMSTART
	v_dot2_f32_f16 v8, v89, v93, v8
	;;#ASMEND
	;;#ASMSTART
	v_dot2_f32_f16 v8, v90, v94, v8
	;;#ASMEND
	;;#ASMSTART
	v_dot2_f32_f16 v8, v91, v95, v8
	;;#ASMEND
	;;#ASMSTART
	v_dot2_f32_f16 v9, v88, v96, v9
	;;#ASMEND
	;;#ASMSTART
	v_dot2_f32_f16 v9, v89, v97, v9
	;;#ASMEND
	;;#ASMSTART
	v_dot2_f32_f16 v9, v90, v98, v9
	;;#ASMEND
	;;#ASMSTART
	v_dot2_f32_f16 v9, v91, v99, v9
	;;#ASMEND
	;;#ASMSTART
	v_dot2_f32_f16 v10, v88, v100, v10
	;;#ASMEND
	;;#ASMSTART
	v_dot2_f32_f16 v10, v89, v101, v10
	;;#ASMEND
	;;#ASMSTART
	v_dot2_f32_f16 v10, v90, v102, v10
	;;#ASMEND
	;;#ASMSTART
	v_dot2_f32_f16 v10, v91, v103, v10
	;;#ASMEND
	;;#ASMSTART
	v_dot2_f32_f16 v11, v88, v104, v11
	;;#ASMEND
	;;#ASMSTART
	v_dot2_f32_f16 v11, v89, v105, v11
	;;#ASMEND
	;;#ASMSTART
	v_dot2_f32_f16 v11, v90, v106, v11
	;;#ASMEND
	;;#ASMSTART
	v_dot2_f32_f16 v11, v91, v107, v11
	;;#ASMEND
	;;#ASMSTART
	v_dot2_f32_f16 v12, v88, v108, v12
	;;#ASMEND
	;;#ASMSTART
	v_dot2_f32_f16 v12, v89, v109, v12
	;;#ASMEND
	;;#ASMSTART
	v_dot2_f32_f16 v12, v90, v110, v12
	;;#ASMEND
	;;#ASMSTART
	v_dot2_f32_f16 v12, v91, v111, v12
	;;#ASMEND
	;;#ASMSTART
	v_dot2_f32_f16 v13, v88, v112, v13
	;;#ASMEND
	;;#ASMSTART
	v_dot2_f32_f16 v13, v89, v113, v13
	;;#ASMEND
	;;#ASMSTART
	v_dot2_f32_f16 v13, v90, v114, v13
	;;#ASMEND
	;;#ASMSTART
	v_dot2_f32_f16 v13, v91, v115, v13
	;;#ASMEND
	;;#ASMSTART
	v_dot2_f32_f16 v14, v88, v116, v14
	;;#ASMEND
	;;#ASMSTART
	v_dot2_f32_f16 v14, v89, v117, v14
	;;#ASMEND
	;;#ASMSTART
	v_dot2_f32_f16 v14, v90, v118, v14
	;;#ASMEND
	;;#ASMSTART
	v_dot2_f32_f16 v14, v91, v119, v14
	;;#ASMEND
	;;#ASMSTART
	v_dot2_f32_f16 v15, v88, v120, v15
	;;#ASMEND
	;;#ASMSTART
	v_dot2_f32_f16 v15, v89, v121, v15
	;;#ASMEND
	;;#ASMSTART
	v_dot2_f32_f16 v15, v90, v122, v15
	;;#ASMEND
	;;#ASMSTART
	v_dot2_f32_f16 v15, v91, v123, v15
	;;#ASMEND
	ds_read_b128 v[36:39], v34 offset:24592
	ds_read_b128 v[88:91], v34 offset:27152
	ds_read_b128 v[92:95], v33 offset:208
	ds_read_b128 v[96:99], v33 offset:464
	ds_read_b128 v[100:103], v33 offset:720
	ds_read_b128 v[104:107], v33 offset:976
	ds_read_b128 v[108:111], v33 offset:1232
	ds_read_b128 v[112:115], v33 offset:1488
	ds_read_b128 v[116:119], v33 offset:1744
	ds_read_b128 v[120:123], v33 offset:2000
	s_waitcnt lgkmcnt(7)
	;;#ASMSTART
	v_dot2_f32_f16 v0, v36, v92, v0
	;;#ASMEND
	;;#ASMSTART
	v_dot2_f32_f16 v0, v37, v93, v0
	;;#ASMEND
	;;#ASMSTART
	v_dot2_f32_f16 v0, v38, v94, v0
	;;#ASMEND
	;;#ASMSTART
	v_dot2_f32_f16 v0, v39, v95, v0
	;;#ASMEND
	s_waitcnt lgkmcnt(6)
	;;#ASMSTART
	v_dot2_f32_f16 v1, v36, v96, v1
	;;#ASMEND
	;;#ASMSTART
	v_dot2_f32_f16 v1, v37, v97, v1
	;;#ASMEND
	;;#ASMSTART
	v_dot2_f32_f16 v1, v38, v98, v1
	;;#ASMEND
	;;#ASMSTART
	v_dot2_f32_f16 v1, v39, v99, v1
	;;#ASMEND
	;; [unrolled: 13-line block ×8, first 2 shown]
	;;#ASMSTART
	v_dot2_f32_f16 v8, v88, v92, v8
	;;#ASMEND
	;;#ASMSTART
	v_dot2_f32_f16 v8, v89, v93, v8
	;;#ASMEND
	;; [unrolled: 3-line block ×32, first 2 shown]
	ds_read_b128 v[36:39], v34 offset:24608
	ds_read_b128 v[88:91], v34 offset:27168
	;; [unrolled: 1-line block ×10, first 2 shown]
	s_waitcnt lgkmcnt(7)
	;;#ASMSTART
	v_dot2_f32_f16 v0, v36, v92, v0
	;;#ASMEND
	;;#ASMSTART
	v_dot2_f32_f16 v0, v37, v93, v0
	;;#ASMEND
	;;#ASMSTART
	v_dot2_f32_f16 v0, v38, v94, v0
	;;#ASMEND
	;;#ASMSTART
	v_dot2_f32_f16 v0, v39, v95, v0
	;;#ASMEND
	s_waitcnt lgkmcnt(6)
	;;#ASMSTART
	v_dot2_f32_f16 v1, v36, v96, v1
	;;#ASMEND
	;;#ASMSTART
	v_dot2_f32_f16 v1, v37, v97, v1
	;;#ASMEND
	;;#ASMSTART
	v_dot2_f32_f16 v1, v38, v98, v1
	;;#ASMEND
	;;#ASMSTART
	v_dot2_f32_f16 v1, v39, v99, v1
	;;#ASMEND
	;; [unrolled: 13-line block ×8, first 2 shown]
	;;#ASMSTART
	v_dot2_f32_f16 v8, v88, v92, v8
	;;#ASMEND
	;;#ASMSTART
	v_dot2_f32_f16 v8, v89, v93, v8
	;;#ASMEND
	;; [unrolled: 3-line block ×32, first 2 shown]
	ds_read_b128 v[36:39], v34 offset:24624
	ds_read_b128 v[88:91], v34 offset:27184
	;; [unrolled: 1-line block ×10, first 2 shown]
	s_waitcnt lgkmcnt(7)
	;;#ASMSTART
	v_dot2_f32_f16 v0, v36, v92, v0
	;;#ASMEND
	;;#ASMSTART
	v_dot2_f32_f16 v0, v37, v93, v0
	;;#ASMEND
	;;#ASMSTART
	v_dot2_f32_f16 v0, v38, v94, v0
	;;#ASMEND
	;;#ASMSTART
	v_dot2_f32_f16 v0, v39, v95, v0
	;;#ASMEND
	s_waitcnt lgkmcnt(6)
	;;#ASMSTART
	v_dot2_f32_f16 v1, v36, v96, v1
	;;#ASMEND
	;;#ASMSTART
	v_dot2_f32_f16 v1, v37, v97, v1
	;;#ASMEND
	;;#ASMSTART
	v_dot2_f32_f16 v1, v38, v98, v1
	;;#ASMEND
	;;#ASMSTART
	v_dot2_f32_f16 v1, v39, v99, v1
	;;#ASMEND
	;; [unrolled: 13-line block ×8, first 2 shown]
	;;#ASMSTART
	v_dot2_f32_f16 v8, v88, v92, v8
	;;#ASMEND
	;;#ASMSTART
	v_dot2_f32_f16 v8, v89, v93, v8
	;;#ASMEND
	;; [unrolled: 3-line block ×31, first 2 shown]
	v_cmp_nlt_f32_e64 s[6:7], |v0|, s6
	;;#ASMSTART
	v_dot2_f32_f16 v15, v91, v123, v15
	;;#ASMEND
                                        ; implicit-def: $vgpr33
	s_and_saveexec_b64 s[10:11], s[6:7]
	s_xor_b64 s[6:7], exec, s[10:11]
	s_cbranch_execz .LBB86_120
; %bb.119:
	v_add_f32_e64 v33, |v0|, |v0|
	v_mul_f32_e32 v34, 0x3fb8aa3b, v33
	s_mov_b32 s10, 0x3fb8aa3b
	v_rndne_f32_e32 v35, v34
	v_sub_f32_e32 v36, v34, v35
	v_fma_f32 v34, v33, s10, -v34
	v_fmac_f32_e32 v34, 0x32a5705f, v33
	v_add_f32_e32 v34, v36, v34
	v_exp_f32_e32 v34, v34
	v_cvt_i32_f32_e32 v35, v35
	s_mov_b32 s10, 0xc2ce8ed0
	v_cmp_ngt_f32_e32 vcc, s10, v33
	s_mov_b32 s10, 0x42b17218
	v_ldexp_f32 v34, v34, v35
	v_cndmask_b32_e32 v34, 0, v34, vcc
	v_mov_b32_e32 v35, 0x7f800000
	v_cmp_nlt_f32_e32 vcc, s10, v33
	v_cndmask_b32_e32 v33, v35, v34, vcc
	v_add_f32_e32 v33, 1.0, v33
	v_rcp_f32_e32 v33, v33
	v_fma_f32 v33, v33, -2.0, 1.0
.LBB86_120:
	s_andn2_saveexec_b64 s[6:7], s[6:7]
; %bb.121:
	v_mul_f32_e32 v33, v0, v0
	v_mov_b32_e32 v34, 0x3ca908c9
	v_fmac_f32_e32 v34, 0xbbbac73d, v33
	v_mov_b32_e32 v35, 0xbd5c1c4e
	v_fmac_f32_e32 v35, v33, v34
	;; [unrolled: 2-line block ×4, first 2 shown]
	v_mul_f32_e64 v34, |v0|, v35
	v_fma_f32 v33, v33, v34, |v0|
; %bb.122:
	s_or_b64 exec, exec, s[6:7]
	s_cmp_lg_u64 s[14:15], 0
	s_brev_b32 s6, -2
	v_bfi_b32 v0, s6, v33, v0
	s_cselect_b64 s[6:7], -1, 0
	v_add_u32_e32 v87, s18, v32
	v_cndmask_b32_e64 v32, 0, 1, s[6:7]
	v_cmp_ne_u32_e64 s[6:7], 1, v32
	v_pk_mov_b32 v[38:39], v[30:31], v[30:31] op_sel:[0,1]
	v_mul_f32_e32 v0, s23, v0
	v_cmp_gt_i32_e64 s[12:13], s21, v56
	v_pk_mov_b32 v[36:37], v[28:29], v[28:29] op_sel:[0,1]
	v_pk_mov_b32 v[34:35], v[26:27], v[26:27] op_sel:[0,1]
	v_pk_mov_b32 v[32:33], v[24:25], v[24:25] op_sel:[0,1]
	s_and_saveexec_b64 s[10:11], s[12:13]
	s_cbranch_execz .LBB86_127
; %bb.123:
	s_and_b64 vcc, exec, s[6:7]
	s_cbranch_vccnz .LBB86_125
; %bb.124:
	v_add_u32_e32 v32, v87, v56
	v_ashrrev_i32_e32 v33, 31, v32
	v_lshlrev_b64 v[32:33], 1, v[32:33]
	v_mov_b32_e32 v34, s15
	v_add_co_u32_e32 v32, vcc, s14, v32
	v_addc_co_u32_e32 v33, vcc, v34, v33, vcc
	flat_load_ushort v32, v[32:33]
	s_waitcnt vmcnt(0) lgkmcnt(0)
	v_cvt_f32_f16_e32 v32, v32
	v_mul_f32_e32 v32, v62, v32
	s_branch .LBB86_126
.LBB86_125:
	v_mov_b32_e32 v32, 0
.LBB86_126:
	v_add_f32_e32 v0, v0, v32
	v_add_f32_e32 v32, 0x40051340, v0
	v_max_f32_e32 v33, v24, v24
	v_max_f32_e32 v88, v33, v32
	v_pk_mov_b32 v[38:39], v[30:31], v[30:31] op_sel:[0,1]
	v_pk_mov_b32 v[32:33], v[24:25], v[24:25] op_sel:[0,1]
	;; [unrolled: 1-line block ×4, first 2 shown]
	v_mov_b32_e32 v32, v88
.LBB86_127:
	s_or_b64 exec, exec, s[10:11]
	s_mov_b32 s10, 0x3f200000
	v_cmp_nlt_f32_e64 s[10:11], |v8|, s10
                                        ; implicit-def: $vgpr88
	s_and_saveexec_b64 s[16:17], s[10:11]
	s_xor_b64 s[10:11], exec, s[16:17]
	s_cbranch_execz .LBB86_129
; %bb.128:
	v_add_f32_e64 v88, |v8|, |v8|
	v_mul_f32_e32 v89, 0x3fb8aa3b, v88
	s_mov_b32 s16, 0x3fb8aa3b
	v_rndne_f32_e32 v90, v89
	v_sub_f32_e32 v91, v89, v90
	v_fma_f32 v89, v88, s16, -v89
	v_fmac_f32_e32 v89, 0x32a5705f, v88
	v_add_f32_e32 v89, v91, v89
	v_exp_f32_e32 v89, v89
	v_cvt_i32_f32_e32 v90, v90
	s_mov_b32 s16, 0xc2ce8ed0
	v_cmp_ngt_f32_e32 vcc, s16, v88
	s_mov_b32 s16, 0x42b17218
	v_ldexp_f32 v89, v89, v90
	v_cndmask_b32_e32 v89, 0, v89, vcc
	v_mov_b32_e32 v90, 0x7f800000
	v_cmp_nlt_f32_e32 vcc, s16, v88
	v_cndmask_b32_e32 v88, v90, v89, vcc
	v_add_f32_e32 v88, 1.0, v88
	v_rcp_f32_e32 v88, v88
	v_fma_f32 v88, v88, -2.0, 1.0
.LBB86_129:
	s_andn2_saveexec_b64 s[10:11], s[10:11]
; %bb.130:
	v_mul_f32_e32 v88, v8, v8
	v_mov_b32_e32 v89, 0x3ca908c9
	v_fmac_f32_e32 v89, 0xbbbac73d, v88
	v_mov_b32_e32 v90, 0xbd5c1c4e
	v_fmac_f32_e32 v90, v88, v89
	;; [unrolled: 2-line block ×4, first 2 shown]
	v_mul_f32_e64 v89, |v8|, v90
	v_fma_f32 v88, v88, v89, |v8|
; %bb.131:
	s_or_b64 exec, exec, s[10:11]
	s_brev_b32 s10, -2
	v_bfi_b32 v8, s10, v88, v8
	v_add_u32_e32 v94, 32, v56
	v_mul_f32_e32 v8, s23, v8
	v_cmp_gt_i32_e64 s[10:11], s21, v94
	s_and_saveexec_b64 s[16:17], s[10:11]
	s_cbranch_execz .LBB86_136
; %bb.132:
	s_and_b64 vcc, exec, s[6:7]
	s_cbranch_vccnz .LBB86_134
; %bb.133:
	v_ashrrev_i32_e32 v89, 31, v87
	v_add_co_u32_e32 v88, vcc, v87, v56
	v_addc_co_u32_e32 v89, vcc, 0, v89, vcc
	v_lshlrev_b64 v[88:89], 1, v[88:89]
	v_mov_b32_e32 v87, s15
	v_add_co_u32_e32 v88, vcc, s14, v88
	v_addc_co_u32_e32 v89, vcc, v87, v89, vcc
	flat_load_ushort v87, v[88:89] offset:64
	s_waitcnt vmcnt(0) lgkmcnt(0)
	v_cvt_f32_f16_e32 v87, v87
	v_mul_f32_e32 v87, v62, v87
	s_branch .LBB86_135
.LBB86_134:
	v_mov_b32_e32 v87, 0
.LBB86_135:
	v_add_f32_e32 v8, v8, v87
	v_add_f32_e32 v87, 0x40051340, v8
	v_max_f32_e32 v32, v32, v32
	v_max_f32_e32 v32, v32, v87
.LBB86_136:
	s_or_b64 exec, exec, s[16:17]
	v_mbcnt_hi_u32_b32 v87, -1, v86
	v_and_b32_e32 v86, 0x60, v87
	v_add_u32_e32 v88, 32, v86
	v_xor_b32_e32 v90, 16, v87
	v_cmp_lt_i32_e32 vcc, v90, v88
	v_cndmask_b32_e32 v86, v87, v90, vcc
	v_lshlrev_b32_e32 v86, 2, v86
	ds_bpermute_b32 v89, v86, v32
	v_xor_b32_e32 v93, 8, v87
	v_cmp_lt_i32_e32 vcc, v93, v88
	v_cndmask_b32_e32 v91, v87, v93, vcc
	v_max_f32_e32 v32, v32, v32
	s_waitcnt lgkmcnt(0)
	v_max_f32_e32 v89, v89, v89
	v_lshlrev_b32_e32 v95, 2, v91
	v_max_f32_e32 v32, v32, v89
	ds_bpermute_b32 v89, v95, v32
	v_xor_b32_e32 v91, 4, v87
	v_cmp_lt_i32_e32 vcc, v91, v88
	v_cndmask_b32_e32 v92, v87, v91, vcc
	v_lshlrev_b32_e32 v96, 2, v92
	s_waitcnt lgkmcnt(0)
	v_max_f32_e32 v89, v89, v89
	v_max_f32_e32 v32, v32, v89
	ds_bpermute_b32 v89, v96, v32
	v_xor_b32_e32 v92, 2, v87
	v_cmp_lt_i32_e32 vcc, v92, v88
	v_cndmask_b32_e32 v97, v87, v92, vcc
	v_lshlrev_b32_e32 v97, 2, v97
	s_waitcnt lgkmcnt(0)
	v_max_f32_e32 v89, v89, v89
	;; [unrolled: 8-line block ×3, first 2 shown]
	v_max_f32_e32 v32, v32, v99
	ds_bpermute_b32 v99, v98, v32
	s_mov_b32 s16, 0x3f200000
	v_cmp_nlt_f32_e64 s[16:17], |v1|, s16
                                        ; implicit-def: $vgpr100
	s_and_saveexec_b64 s[40:41], s[16:17]
	s_xor_b64 s[16:17], exec, s[40:41]
	s_cbranch_execz .LBB86_138
; %bb.137:
	v_add_f32_e64 v100, |v1|, |v1|
	v_mul_f32_e32 v101, 0x3fb8aa3b, v100
	s_mov_b32 s22, 0x3fb8aa3b
	v_rndne_f32_e32 v102, v101
	v_sub_f32_e32 v103, v101, v102
	v_fma_f32 v101, v100, s22, -v101
	v_fmac_f32_e32 v101, 0x32a5705f, v100
	v_add_f32_e32 v101, v103, v101
	v_exp_f32_e32 v101, v101
	v_cvt_i32_f32_e32 v102, v102
	s_mov_b32 s22, 0xc2ce8ed0
	v_cmp_ngt_f32_e32 vcc, s22, v100
	s_mov_b32 s22, 0x42b17218
	v_ldexp_f32 v101, v101, v102
	v_cndmask_b32_e32 v101, 0, v101, vcc
	v_mov_b32_e32 v102, 0x7f800000
	v_cmp_nlt_f32_e32 vcc, s22, v100
	v_cndmask_b32_e32 v100, v102, v101, vcc
	v_add_f32_e32 v100, 1.0, v100
	v_rcp_f32_e32 v100, v100
	v_fma_f32 v100, v100, -2.0, 1.0
.LBB86_138:
	s_andn2_saveexec_b64 s[16:17], s[16:17]
; %bb.139:
	v_mul_f32_e32 v100, v1, v1
	v_mov_b32_e32 v101, 0x3ca908c9
	v_fmac_f32_e32 v101, 0xbbbac73d, v100
	v_mov_b32_e32 v102, 0xbd5c1c4e
	v_fmac_f32_e32 v102, v100, v101
	;; [unrolled: 2-line block ×4, first 2 shown]
	v_mul_f32_e64 v101, |v1|, v102
	v_fma_f32 v100, v100, v101, |v1|
; %bb.140:
	s_or_b64 exec, exec, s[16:17]
	s_waitcnt lgkmcnt(0)
	v_max_f32_e32 v99, v99, v99
	v_max_f32_e32 v32, v32, v32
	;; [unrolled: 1-line block ×3, first 2 shown]
	v_mul_hi_u32 v99, s36, v85
	v_add_u32_e32 v99, v85, v99
	v_lshrrev_b32_e32 v99, s37, v99
	v_mul_lo_u32 v99, v99, s38
	v_sub_u32_e32 v85, v85, v99
	s_brev_b32 s16, -2
	v_mul_lo_u32 v85, v85, s26
	v_bfi_b32 v1, s16, v100, v1
	v_add_u32_e32 v85, s18, v85
	v_mul_f32_e32 v1, s23, v1
	s_and_saveexec_b64 s[16:17], s[12:13]
	s_cbranch_execz .LBB86_145
; %bb.141:
	s_and_b64 vcc, exec, s[6:7]
	s_cbranch_vccnz .LBB86_143
; %bb.142:
	v_add_u32_e32 v100, v85, v56
	v_ashrrev_i32_e32 v101, 31, v100
	v_lshlrev_b64 v[100:101], 1, v[100:101]
	v_mov_b32_e32 v99, s15
	v_add_co_u32_e32 v100, vcc, s14, v100
	v_addc_co_u32_e32 v101, vcc, v99, v101, vcc
	flat_load_ushort v99, v[100:101]
	s_waitcnt vmcnt(0) lgkmcnt(0)
	v_cvt_f32_f16_e32 v99, v99
	v_mul_f32_e32 v99, v62, v99
	s_branch .LBB86_144
.LBB86_143:
	v_mov_b32_e32 v99, 0
.LBB86_144:
	v_add_f32_e32 v1, v1, v99
	v_add_f32_e32 v99, 0x40051340, v1
	v_max_f32_e32 v33, v33, v33
	v_max_f32_e32 v33, v33, v99
.LBB86_145:
	s_or_b64 exec, exec, s[16:17]
	s_mov_b32 s16, 0x3f200000
	v_cmp_nlt_f32_e64 s[16:17], |v9|, s16
                                        ; implicit-def: $vgpr99
	s_and_saveexec_b64 s[40:41], s[16:17]
	s_xor_b64 s[16:17], exec, s[40:41]
	s_cbranch_execz .LBB86_147
; %bb.146:
	v_add_f32_e64 v99, |v9|, |v9|
	v_mul_f32_e32 v100, 0x3fb8aa3b, v99
	s_mov_b32 s22, 0x3fb8aa3b
	v_rndne_f32_e32 v101, v100
	v_sub_f32_e32 v102, v100, v101
	v_fma_f32 v100, v99, s22, -v100
	v_fmac_f32_e32 v100, 0x32a5705f, v99
	v_add_f32_e32 v100, v102, v100
	v_exp_f32_e32 v100, v100
	v_cvt_i32_f32_e32 v101, v101
	s_mov_b32 s22, 0xc2ce8ed0
	v_cmp_ngt_f32_e32 vcc, s22, v99
	s_mov_b32 s22, 0x42b17218
	v_ldexp_f32 v100, v100, v101
	v_cndmask_b32_e32 v100, 0, v100, vcc
	v_mov_b32_e32 v101, 0x7f800000
	v_cmp_nlt_f32_e32 vcc, s22, v99
	v_cndmask_b32_e32 v99, v101, v100, vcc
	v_add_f32_e32 v99, 1.0, v99
	v_rcp_f32_e32 v99, v99
	v_fma_f32 v99, v99, -2.0, 1.0
.LBB86_147:
	s_andn2_saveexec_b64 s[16:17], s[16:17]
; %bb.148:
	v_mul_f32_e32 v99, v9, v9
	v_mov_b32_e32 v100, 0x3ca908c9
	v_fmac_f32_e32 v100, 0xbbbac73d, v99
	v_mov_b32_e32 v101, 0xbd5c1c4e
	v_fmac_f32_e32 v101, v99, v100
	;; [unrolled: 2-line block ×4, first 2 shown]
	v_mul_f32_e64 v100, |v9|, v101
	v_fma_f32 v99, v99, v100, |v9|
; %bb.149:
	s_or_b64 exec, exec, s[16:17]
	s_brev_b32 s16, -2
	v_bfi_b32 v9, s16, v99, v9
	v_mul_f32_e32 v9, s23, v9
	s_and_saveexec_b64 s[16:17], s[10:11]
	s_cbranch_execz .LBB86_154
; %bb.150:
	s_and_b64 vcc, exec, s[6:7]
	s_cbranch_vccnz .LBB86_152
; %bb.151:
	v_ashrrev_i32_e32 v99, 31, v85
	v_add_co_u32_e32 v100, vcc, v85, v56
	v_addc_co_u32_e32 v101, vcc, 0, v99, vcc
	v_lshlrev_b64 v[100:101], 1, v[100:101]
	v_mov_b32_e32 v85, s15
	v_add_co_u32_e32 v100, vcc, s14, v100
	v_addc_co_u32_e32 v101, vcc, v85, v101, vcc
	flat_load_ushort v85, v[100:101] offset:64
	s_waitcnt vmcnt(0) lgkmcnt(0)
	v_cvt_f32_f16_e32 v85, v85
	v_mul_f32_e32 v85, v62, v85
	s_branch .LBB86_153
.LBB86_152:
	v_mov_b32_e32 v85, 0
.LBB86_153:
	v_add_f32_e32 v9, v9, v85
	v_add_f32_e32 v85, 0x40051340, v9
	v_max_f32_e32 v33, v33, v33
	v_max_f32_e32 v33, v33, v85
.LBB86_154:
	s_or_b64 exec, exec, s[16:17]
	ds_bpermute_b32 v85, v86, v33
	v_max_f32_e32 v33, v33, v33
	s_mov_b32 s16, 0x3f200000
	v_cmp_nlt_f32_e64 s[16:17], |v2|, s16
                                        ; implicit-def: $vgpr99
	s_waitcnt lgkmcnt(0)
	v_max_f32_e32 v85, v85, v85
	v_max_f32_e32 v33, v33, v85
	ds_bpermute_b32 v85, v95, v33
	s_waitcnt lgkmcnt(0)
	v_max_f32_e32 v85, v85, v85
	v_max_f32_e32 v33, v33, v85
	ds_bpermute_b32 v85, v96, v33
	s_waitcnt lgkmcnt(0)
	v_max_f32_e32 v85, v85, v85
	v_max_f32_e32 v33, v33, v85
	ds_bpermute_b32 v85, v97, v33
	s_waitcnt lgkmcnt(0)
	v_max_f32_e32 v85, v85, v85
	v_max_f32_e32 v33, v33, v85
	ds_bpermute_b32 v85, v98, v33
	s_and_saveexec_b64 s[40:41], s[16:17]
	s_xor_b64 s[16:17], exec, s[40:41]
	s_cbranch_execz .LBB86_156
; %bb.155:
	v_add_f32_e64 v99, |v2|, |v2|
	v_mul_f32_e32 v100, 0x3fb8aa3b, v99
	s_mov_b32 s22, 0x3fb8aa3b
	v_rndne_f32_e32 v101, v100
	v_sub_f32_e32 v102, v100, v101
	v_fma_f32 v100, v99, s22, -v100
	v_fmac_f32_e32 v100, 0x32a5705f, v99
	v_add_f32_e32 v100, v102, v100
	v_exp_f32_e32 v100, v100
	v_cvt_i32_f32_e32 v101, v101
	s_mov_b32 s22, 0xc2ce8ed0
	v_cmp_ngt_f32_e32 vcc, s22, v99
	s_mov_b32 s22, 0x42b17218
	v_ldexp_f32 v100, v100, v101
	v_cndmask_b32_e32 v100, 0, v100, vcc
	v_mov_b32_e32 v101, 0x7f800000
	v_cmp_nlt_f32_e32 vcc, s22, v99
	v_cndmask_b32_e32 v99, v101, v100, vcc
	v_add_f32_e32 v99, 1.0, v99
	v_rcp_f32_e32 v99, v99
	v_fma_f32 v99, v99, -2.0, 1.0
.LBB86_156:
	s_andn2_saveexec_b64 s[16:17], s[16:17]
; %bb.157:
	v_mul_f32_e32 v99, v2, v2
	v_mov_b32_e32 v100, 0x3ca908c9
	v_fmac_f32_e32 v100, 0xbbbac73d, v99
	v_mov_b32_e32 v101, 0xbd5c1c4e
	v_fmac_f32_e32 v101, v99, v100
	;; [unrolled: 2-line block ×4, first 2 shown]
	v_mul_f32_e64 v100, |v2|, v101
	v_fma_f32 v99, v99, v100, |v2|
; %bb.158:
	s_or_b64 exec, exec, s[16:17]
	s_waitcnt lgkmcnt(0)
	v_max_f32_e32 v85, v85, v85
	v_max_f32_e32 v33, v33, v33
	;; [unrolled: 1-line block ×3, first 2 shown]
	v_mul_hi_u32 v85, s36, v84
	v_add_u32_e32 v85, v84, v85
	v_lshrrev_b32_e32 v85, s37, v85
	v_mul_lo_u32 v85, v85, s38
	v_sub_u32_e32 v84, v84, v85
	s_brev_b32 s16, -2
	v_mul_lo_u32 v84, v84, s26
	v_bfi_b32 v2, s16, v99, v2
	v_add_u32_e32 v84, s18, v84
	v_mul_f32_e32 v2, s23, v2
	s_and_saveexec_b64 s[16:17], s[12:13]
	s_cbranch_execz .LBB86_163
; %bb.159:
	s_and_b64 vcc, exec, s[6:7]
	s_cbranch_vccnz .LBB86_161
; %bb.160:
	v_add_u32_e32 v100, v84, v56
	v_ashrrev_i32_e32 v101, 31, v100
	v_lshlrev_b64 v[100:101], 1, v[100:101]
	v_mov_b32_e32 v85, s15
	v_add_co_u32_e32 v100, vcc, s14, v100
	v_addc_co_u32_e32 v101, vcc, v85, v101, vcc
	flat_load_ushort v85, v[100:101]
	s_waitcnt vmcnt(0) lgkmcnt(0)
	v_cvt_f32_f16_e32 v85, v85
	v_mul_f32_e32 v85, v62, v85
	s_branch .LBB86_162
.LBB86_161:
	v_mov_b32_e32 v85, 0
.LBB86_162:
	v_add_f32_e32 v2, v2, v85
	v_add_f32_e32 v85, 0x40051340, v2
	v_max_f32_e32 v34, v34, v34
	v_max_f32_e32 v34, v34, v85
.LBB86_163:
	s_or_b64 exec, exec, s[16:17]
	s_mov_b32 s16, 0x3f200000
	v_cmp_nlt_f32_e64 s[16:17], |v10|, s16
                                        ; implicit-def: $vgpr85
	s_and_saveexec_b64 s[40:41], s[16:17]
	s_xor_b64 s[16:17], exec, s[40:41]
	s_cbranch_execz .LBB86_165
; %bb.164:
	v_add_f32_e64 v85, |v10|, |v10|
	v_mul_f32_e32 v99, 0x3fb8aa3b, v85
	s_mov_b32 s22, 0x3fb8aa3b
	v_rndne_f32_e32 v100, v99
	v_sub_f32_e32 v101, v99, v100
	v_fma_f32 v99, v85, s22, -v99
	v_fmac_f32_e32 v99, 0x32a5705f, v85
	v_add_f32_e32 v99, v101, v99
	v_exp_f32_e32 v99, v99
	v_cvt_i32_f32_e32 v100, v100
	s_mov_b32 s22, 0xc2ce8ed0
	v_cmp_ngt_f32_e32 vcc, s22, v85
	s_mov_b32 s22, 0x42b17218
	v_ldexp_f32 v99, v99, v100
	v_cndmask_b32_e32 v99, 0, v99, vcc
	v_mov_b32_e32 v100, 0x7f800000
	v_cmp_nlt_f32_e32 vcc, s22, v85
	v_cndmask_b32_e32 v85, v100, v99, vcc
	v_add_f32_e32 v85, 1.0, v85
	v_rcp_f32_e32 v85, v85
	v_fma_f32 v85, v85, -2.0, 1.0
.LBB86_165:
	s_andn2_saveexec_b64 s[16:17], s[16:17]
; %bb.166:
	v_mul_f32_e32 v85, v10, v10
	v_mov_b32_e32 v99, 0x3ca908c9
	v_fmac_f32_e32 v99, 0xbbbac73d, v85
	v_mov_b32_e32 v100, 0xbd5c1c4e
	v_fmac_f32_e32 v100, v85, v99
	;; [unrolled: 2-line block ×4, first 2 shown]
	v_mul_f32_e64 v99, |v10|, v100
	v_fma_f32 v85, v85, v99, |v10|
; %bb.167:
	s_or_b64 exec, exec, s[16:17]
	s_brev_b32 s16, -2
	v_bfi_b32 v10, s16, v85, v10
	v_mul_f32_e32 v10, s23, v10
	s_and_saveexec_b64 s[16:17], s[10:11]
	s_cbranch_execz .LBB86_172
; %bb.168:
	s_and_b64 vcc, exec, s[6:7]
	s_cbranch_vccnz .LBB86_170
; %bb.169:
	v_ashrrev_i32_e32 v85, 31, v84
	v_add_co_u32_e32 v84, vcc, v84, v56
	v_addc_co_u32_e32 v85, vcc, 0, v85, vcc
	v_lshlrev_b64 v[84:85], 1, v[84:85]
	v_mov_b32_e32 v99, s15
	v_add_co_u32_e32 v84, vcc, s14, v84
	v_addc_co_u32_e32 v85, vcc, v99, v85, vcc
	flat_load_ushort v84, v[84:85] offset:64
	s_waitcnt vmcnt(0) lgkmcnt(0)
	v_cvt_f32_f16_e32 v84, v84
	v_mul_f32_e32 v84, v62, v84
	s_branch .LBB86_171
.LBB86_170:
	v_mov_b32_e32 v84, 0
.LBB86_171:
	v_add_f32_e32 v10, v10, v84
	v_add_f32_e32 v84, 0x40051340, v10
	v_max_f32_e32 v34, v34, v34
	v_max_f32_e32 v34, v34, v84
.LBB86_172:
	s_or_b64 exec, exec, s[16:17]
	ds_bpermute_b32 v84, v86, v34
	v_max_f32_e32 v34, v34, v34
	s_mov_b32 s16, 0x3f200000
	v_cmp_nlt_f32_e64 s[16:17], |v3|, s16
                                        ; implicit-def: $vgpr85
	s_waitcnt lgkmcnt(0)
	v_max_f32_e32 v84, v84, v84
	v_max_f32_e32 v34, v34, v84
	ds_bpermute_b32 v84, v95, v34
	s_waitcnt lgkmcnt(0)
	v_max_f32_e32 v84, v84, v84
	v_max_f32_e32 v34, v34, v84
	ds_bpermute_b32 v84, v96, v34
	;; [unrolled: 4-line block ×4, first 2 shown]
	s_and_saveexec_b64 s[40:41], s[16:17]
	s_xor_b64 s[16:17], exec, s[40:41]
	s_cbranch_execz .LBB86_174
; %bb.173:
	v_add_f32_e64 v85, |v3|, |v3|
	v_mul_f32_e32 v99, 0x3fb8aa3b, v85
	s_mov_b32 s22, 0x3fb8aa3b
	v_rndne_f32_e32 v100, v99
	v_sub_f32_e32 v101, v99, v100
	v_fma_f32 v99, v85, s22, -v99
	v_fmac_f32_e32 v99, 0x32a5705f, v85
	v_add_f32_e32 v99, v101, v99
	v_exp_f32_e32 v99, v99
	v_cvt_i32_f32_e32 v100, v100
	s_mov_b32 s22, 0xc2ce8ed0
	v_cmp_ngt_f32_e32 vcc, s22, v85
	s_mov_b32 s22, 0x42b17218
	v_ldexp_f32 v99, v99, v100
	v_cndmask_b32_e32 v99, 0, v99, vcc
	v_mov_b32_e32 v100, 0x7f800000
	v_cmp_nlt_f32_e32 vcc, s22, v85
	v_cndmask_b32_e32 v85, v100, v99, vcc
	v_add_f32_e32 v85, 1.0, v85
	v_rcp_f32_e32 v85, v85
	v_fma_f32 v85, v85, -2.0, 1.0
.LBB86_174:
	s_andn2_saveexec_b64 s[16:17], s[16:17]
; %bb.175:
	v_mul_f32_e32 v85, v3, v3
	v_mov_b32_e32 v99, 0x3ca908c9
	v_fmac_f32_e32 v99, 0xbbbac73d, v85
	v_mov_b32_e32 v100, 0xbd5c1c4e
	v_fmac_f32_e32 v100, v85, v99
	;; [unrolled: 2-line block ×4, first 2 shown]
	v_mul_f32_e64 v99, |v3|, v100
	v_fma_f32 v85, v85, v99, |v3|
; %bb.176:
	s_or_b64 exec, exec, s[16:17]
	s_waitcnt lgkmcnt(0)
	v_max_f32_e32 v84, v84, v84
	v_max_f32_e32 v34, v34, v34
	;; [unrolled: 1-line block ×3, first 2 shown]
	v_mul_hi_u32 v84, s36, v81
	v_add_u32_e32 v84, v81, v84
	v_lshrrev_b32_e32 v84, s37, v84
	v_mul_lo_u32 v84, v84, s38
	v_sub_u32_e32 v81, v81, v84
	s_brev_b32 s16, -2
	v_mul_lo_u32 v81, v81, s26
	v_bfi_b32 v3, s16, v85, v3
	v_add_u32_e32 v81, s18, v81
	v_mul_f32_e32 v3, s23, v3
	s_and_saveexec_b64 s[16:17], s[12:13]
	s_cbranch_execz .LBB86_181
; %bb.177:
	s_and_b64 vcc, exec, s[6:7]
	s_cbranch_vccnz .LBB86_179
; %bb.178:
	v_add_u32_e32 v84, v81, v56
	v_ashrrev_i32_e32 v85, 31, v84
	v_lshlrev_b64 v[84:85], 1, v[84:85]
	v_mov_b32_e32 v99, s15
	v_add_co_u32_e32 v84, vcc, s14, v84
	v_addc_co_u32_e32 v85, vcc, v99, v85, vcc
	flat_load_ushort v84, v[84:85]
	s_waitcnt vmcnt(0) lgkmcnt(0)
	v_cvt_f32_f16_e32 v84, v84
	v_mul_f32_e32 v84, v62, v84
	s_branch .LBB86_180
.LBB86_179:
	v_mov_b32_e32 v84, 0
.LBB86_180:
	v_add_f32_e32 v3, v3, v84
	v_add_f32_e32 v84, 0x40051340, v3
	v_max_f32_e32 v35, v35, v35
	v_max_f32_e32 v35, v35, v84
.LBB86_181:
	s_or_b64 exec, exec, s[16:17]
	s_mov_b32 s16, 0x3f200000
	v_cmp_nlt_f32_e64 s[16:17], |v11|, s16
                                        ; implicit-def: $vgpr84
	s_and_saveexec_b64 s[40:41], s[16:17]
	s_xor_b64 s[16:17], exec, s[40:41]
	s_cbranch_execz .LBB86_183
; %bb.182:
	v_add_f32_e64 v84, |v11|, |v11|
	v_mul_f32_e32 v85, 0x3fb8aa3b, v84
	s_mov_b32 s22, 0x3fb8aa3b
	v_rndne_f32_e32 v99, v85
	v_sub_f32_e32 v100, v85, v99
	v_fma_f32 v85, v84, s22, -v85
	v_fmac_f32_e32 v85, 0x32a5705f, v84
	v_add_f32_e32 v85, v100, v85
	v_exp_f32_e32 v85, v85
	v_cvt_i32_f32_e32 v99, v99
	s_mov_b32 s22, 0xc2ce8ed0
	v_cmp_ngt_f32_e32 vcc, s22, v84
	s_mov_b32 s22, 0x42b17218
	v_ldexp_f32 v85, v85, v99
	v_cndmask_b32_e32 v85, 0, v85, vcc
	v_mov_b32_e32 v99, 0x7f800000
	v_cmp_nlt_f32_e32 vcc, s22, v84
	v_cndmask_b32_e32 v84, v99, v85, vcc
	v_add_f32_e32 v84, 1.0, v84
	v_rcp_f32_e32 v84, v84
	v_fma_f32 v84, v84, -2.0, 1.0
.LBB86_183:
	s_andn2_saveexec_b64 s[16:17], s[16:17]
; %bb.184:
	v_mul_f32_e32 v84, v11, v11
	v_mov_b32_e32 v85, 0x3ca908c9
	v_fmac_f32_e32 v85, 0xbbbac73d, v84
	v_mov_b32_e32 v99, 0xbd5c1c4e
	v_fmac_f32_e32 v99, v84, v85
	;; [unrolled: 2-line block ×4, first 2 shown]
	v_mul_f32_e64 v85, |v11|, v99
	v_fma_f32 v84, v84, v85, |v11|
; %bb.185:
	s_or_b64 exec, exec, s[16:17]
	s_brev_b32 s16, -2
	v_bfi_b32 v11, s16, v84, v11
	v_mul_f32_e32 v11, s23, v11
	s_and_saveexec_b64 s[16:17], s[10:11]
	s_cbranch_execz .LBB86_190
; %bb.186:
	s_and_b64 vcc, exec, s[6:7]
	s_cbranch_vccnz .LBB86_188
; %bb.187:
	v_ashrrev_i32_e32 v85, 31, v81
	v_add_co_u32_e32 v84, vcc, v81, v56
	v_addc_co_u32_e32 v85, vcc, 0, v85, vcc
	v_lshlrev_b64 v[84:85], 1, v[84:85]
	v_mov_b32_e32 v81, s15
	v_add_co_u32_e32 v84, vcc, s14, v84
	v_addc_co_u32_e32 v85, vcc, v81, v85, vcc
	flat_load_ushort v81, v[84:85] offset:64
	s_waitcnt vmcnt(0) lgkmcnt(0)
	v_cvt_f32_f16_e32 v81, v81
	v_mul_f32_e32 v81, v62, v81
	s_branch .LBB86_189
.LBB86_188:
	v_mov_b32_e32 v81, 0
.LBB86_189:
	v_add_f32_e32 v11, v11, v81
	v_add_f32_e32 v81, 0x40051340, v11
	v_max_f32_e32 v35, v35, v35
	v_max_f32_e32 v35, v35, v81
.LBB86_190:
	s_or_b64 exec, exec, s[16:17]
	ds_bpermute_b32 v81, v86, v35
	v_max_f32_e32 v35, v35, v35
	s_mov_b32 s16, 0x3f200000
	v_cmp_nlt_f32_e64 s[16:17], |v4|, s16
                                        ; implicit-def: $vgpr84
	s_waitcnt lgkmcnt(0)
	v_max_f32_e32 v81, v81, v81
	v_max_f32_e32 v35, v35, v81
	ds_bpermute_b32 v81, v95, v35
	s_waitcnt lgkmcnt(0)
	v_max_f32_e32 v81, v81, v81
	v_max_f32_e32 v35, v35, v81
	ds_bpermute_b32 v81, v96, v35
	;; [unrolled: 4-line block ×4, first 2 shown]
	s_and_saveexec_b64 s[40:41], s[16:17]
	s_xor_b64 s[16:17], exec, s[40:41]
	s_cbranch_execz .LBB86_192
; %bb.191:
	v_add_f32_e64 v84, |v4|, |v4|
	v_mul_f32_e32 v85, 0x3fb8aa3b, v84
	s_mov_b32 s22, 0x3fb8aa3b
	v_rndne_f32_e32 v99, v85
	v_sub_f32_e32 v100, v85, v99
	v_fma_f32 v85, v84, s22, -v85
	v_fmac_f32_e32 v85, 0x32a5705f, v84
	v_add_f32_e32 v85, v100, v85
	v_exp_f32_e32 v85, v85
	v_cvt_i32_f32_e32 v99, v99
	s_mov_b32 s22, 0xc2ce8ed0
	v_cmp_ngt_f32_e32 vcc, s22, v84
	s_mov_b32 s22, 0x42b17218
	v_ldexp_f32 v85, v85, v99
	v_cndmask_b32_e32 v85, 0, v85, vcc
	v_mov_b32_e32 v99, 0x7f800000
	v_cmp_nlt_f32_e32 vcc, s22, v84
	v_cndmask_b32_e32 v84, v99, v85, vcc
	v_add_f32_e32 v84, 1.0, v84
	v_rcp_f32_e32 v84, v84
	v_fma_f32 v84, v84, -2.0, 1.0
.LBB86_192:
	s_andn2_saveexec_b64 s[16:17], s[16:17]
; %bb.193:
	v_mul_f32_e32 v84, v4, v4
	v_mov_b32_e32 v85, 0x3ca908c9
	v_fmac_f32_e32 v85, 0xbbbac73d, v84
	v_mov_b32_e32 v99, 0xbd5c1c4e
	v_fmac_f32_e32 v99, v84, v85
	;; [unrolled: 2-line block ×4, first 2 shown]
	v_mul_f32_e64 v85, |v4|, v99
	v_fma_f32 v84, v84, v85, |v4|
; %bb.194:
	s_or_b64 exec, exec, s[16:17]
	s_waitcnt lgkmcnt(0)
	v_max_f32_e32 v81, v81, v81
	v_max_f32_e32 v35, v35, v35
	;; [unrolled: 1-line block ×3, first 2 shown]
	v_mul_hi_u32 v81, s36, v78
	v_add_u32_e32 v81, v78, v81
	v_lshrrev_b32_e32 v81, s37, v81
	v_mul_lo_u32 v81, v81, s38
	v_sub_u32_e32 v78, v78, v81
	s_brev_b32 s16, -2
	v_mul_lo_u32 v78, v78, s26
	v_bfi_b32 v4, s16, v84, v4
	v_add_u32_e32 v78, s18, v78
	v_mul_f32_e32 v4, s23, v4
	s_and_saveexec_b64 s[16:17], s[12:13]
	s_cbranch_execz .LBB86_199
; %bb.195:
	s_and_b64 vcc, exec, s[6:7]
	s_cbranch_vccnz .LBB86_197
; %bb.196:
	v_add_u32_e32 v84, v78, v56
	v_ashrrev_i32_e32 v85, 31, v84
	v_lshlrev_b64 v[84:85], 1, v[84:85]
	v_mov_b32_e32 v81, s15
	v_add_co_u32_e32 v84, vcc, s14, v84
	v_addc_co_u32_e32 v85, vcc, v81, v85, vcc
	flat_load_ushort v81, v[84:85]
	s_waitcnt vmcnt(0) lgkmcnt(0)
	v_cvt_f32_f16_e32 v81, v81
	v_mul_f32_e32 v81, v62, v81
	s_branch .LBB86_198
.LBB86_197:
	v_mov_b32_e32 v81, 0
.LBB86_198:
	v_add_f32_e32 v4, v4, v81
	v_add_f32_e32 v81, 0x40051340, v4
	v_max_f32_e32 v36, v36, v36
	v_max_f32_e32 v36, v36, v81
.LBB86_199:
	s_or_b64 exec, exec, s[16:17]
	s_mov_b32 s16, 0x3f200000
	v_cmp_nlt_f32_e64 s[16:17], |v12|, s16
                                        ; implicit-def: $vgpr81
	s_and_saveexec_b64 s[40:41], s[16:17]
	s_xor_b64 s[16:17], exec, s[40:41]
	s_cbranch_execz .LBB86_201
; %bb.200:
	v_add_f32_e64 v81, |v12|, |v12|
	v_mul_f32_e32 v84, 0x3fb8aa3b, v81
	s_mov_b32 s22, 0x3fb8aa3b
	v_rndne_f32_e32 v85, v84
	v_sub_f32_e32 v99, v84, v85
	v_fma_f32 v84, v81, s22, -v84
	v_fmac_f32_e32 v84, 0x32a5705f, v81
	v_add_f32_e32 v84, v99, v84
	v_exp_f32_e32 v84, v84
	v_cvt_i32_f32_e32 v85, v85
	s_mov_b32 s22, 0xc2ce8ed0
	v_cmp_ngt_f32_e32 vcc, s22, v81
	s_mov_b32 s22, 0x42b17218
	v_ldexp_f32 v84, v84, v85
	v_cndmask_b32_e32 v84, 0, v84, vcc
	v_mov_b32_e32 v85, 0x7f800000
	v_cmp_nlt_f32_e32 vcc, s22, v81
	v_cndmask_b32_e32 v81, v85, v84, vcc
	v_add_f32_e32 v81, 1.0, v81
	v_rcp_f32_e32 v81, v81
	v_fma_f32 v81, v81, -2.0, 1.0
.LBB86_201:
	s_andn2_saveexec_b64 s[16:17], s[16:17]
; %bb.202:
	v_mul_f32_e32 v81, v12, v12
	v_mov_b32_e32 v84, 0x3ca908c9
	v_fmac_f32_e32 v84, 0xbbbac73d, v81
	v_mov_b32_e32 v85, 0xbd5c1c4e
	v_fmac_f32_e32 v85, v81, v84
	;; [unrolled: 2-line block ×4, first 2 shown]
	v_mul_f32_e64 v84, |v12|, v85
	v_fma_f32 v81, v81, v84, |v12|
; %bb.203:
	s_or_b64 exec, exec, s[16:17]
	s_brev_b32 s16, -2
	v_bfi_b32 v12, s16, v81, v12
	v_mul_f32_e32 v12, s23, v12
	s_and_saveexec_b64 s[16:17], s[10:11]
	s_cbranch_execz .LBB86_208
; %bb.204:
	s_and_b64 vcc, exec, s[6:7]
	s_cbranch_vccnz .LBB86_206
; %bb.205:
	v_ashrrev_i32_e32 v81, 31, v78
	v_add_co_u32_e32 v84, vcc, v78, v56
	v_addc_co_u32_e32 v85, vcc, 0, v81, vcc
	v_lshlrev_b64 v[84:85], 1, v[84:85]
	v_mov_b32_e32 v78, s15
	v_add_co_u32_e32 v84, vcc, s14, v84
	v_addc_co_u32_e32 v85, vcc, v78, v85, vcc
	flat_load_ushort v78, v[84:85] offset:64
	s_waitcnt vmcnt(0) lgkmcnt(0)
	v_cvt_f32_f16_e32 v78, v78
	v_mul_f32_e32 v78, v62, v78
	s_branch .LBB86_207
.LBB86_206:
	v_mov_b32_e32 v78, 0
.LBB86_207:
	v_add_f32_e32 v12, v12, v78
	v_add_f32_e32 v78, 0x40051340, v12
	v_max_f32_e32 v36, v36, v36
	v_max_f32_e32 v36, v36, v78
.LBB86_208:
	s_or_b64 exec, exec, s[16:17]
	ds_bpermute_b32 v78, v86, v36
	v_max_f32_e32 v36, v36, v36
	s_mov_b32 s16, 0x3f200000
	v_cmp_nlt_f32_e64 s[16:17], |v5|, s16
                                        ; implicit-def: $vgpr81
	s_waitcnt lgkmcnt(0)
	v_max_f32_e32 v78, v78, v78
	v_max_f32_e32 v36, v36, v78
	ds_bpermute_b32 v78, v95, v36
	s_waitcnt lgkmcnt(0)
	v_max_f32_e32 v78, v78, v78
	v_max_f32_e32 v36, v36, v78
	ds_bpermute_b32 v78, v96, v36
	;; [unrolled: 4-line block ×4, first 2 shown]
	s_and_saveexec_b64 s[40:41], s[16:17]
	s_xor_b64 s[16:17], exec, s[40:41]
	s_cbranch_execz .LBB86_210
; %bb.209:
	v_add_f32_e64 v81, |v5|, |v5|
	v_mul_f32_e32 v84, 0x3fb8aa3b, v81
	s_mov_b32 s22, 0x3fb8aa3b
	v_rndne_f32_e32 v85, v84
	v_sub_f32_e32 v99, v84, v85
	v_fma_f32 v84, v81, s22, -v84
	v_fmac_f32_e32 v84, 0x32a5705f, v81
	v_add_f32_e32 v84, v99, v84
	v_exp_f32_e32 v84, v84
	v_cvt_i32_f32_e32 v85, v85
	s_mov_b32 s22, 0xc2ce8ed0
	v_cmp_ngt_f32_e32 vcc, s22, v81
	s_mov_b32 s22, 0x42b17218
	v_ldexp_f32 v84, v84, v85
	v_cndmask_b32_e32 v84, 0, v84, vcc
	v_mov_b32_e32 v85, 0x7f800000
	v_cmp_nlt_f32_e32 vcc, s22, v81
	v_cndmask_b32_e32 v81, v85, v84, vcc
	v_add_f32_e32 v81, 1.0, v81
	v_rcp_f32_e32 v81, v81
	v_fma_f32 v81, v81, -2.0, 1.0
.LBB86_210:
	s_andn2_saveexec_b64 s[16:17], s[16:17]
; %bb.211:
	v_mul_f32_e32 v81, v5, v5
	v_mov_b32_e32 v84, 0x3ca908c9
	v_fmac_f32_e32 v84, 0xbbbac73d, v81
	v_mov_b32_e32 v85, 0xbd5c1c4e
	v_fmac_f32_e32 v85, v81, v84
	;; [unrolled: 2-line block ×4, first 2 shown]
	v_mul_f32_e64 v84, |v5|, v85
	v_fma_f32 v81, v81, v84, |v5|
; %bb.212:
	s_or_b64 exec, exec, s[16:17]
	s_waitcnt lgkmcnt(0)
	v_max_f32_e32 v78, v78, v78
	v_max_f32_e32 v36, v36, v36
	;; [unrolled: 1-line block ×3, first 2 shown]
	v_mul_hi_u32 v78, s36, v75
	v_add_u32_e32 v78, v75, v78
	v_lshrrev_b32_e32 v78, s37, v78
	v_mul_lo_u32 v78, v78, s38
	v_sub_u32_e32 v75, v75, v78
	s_brev_b32 s16, -2
	v_mul_lo_u32 v75, v75, s26
	v_bfi_b32 v5, s16, v81, v5
	v_add_u32_e32 v75, s18, v75
	v_mul_f32_e32 v5, s23, v5
	s_and_saveexec_b64 s[16:17], s[12:13]
	s_cbranch_execz .LBB86_217
; %bb.213:
	s_and_b64 vcc, exec, s[6:7]
	s_cbranch_vccnz .LBB86_215
; %bb.214:
	v_add_u32_e32 v84, v75, v56
	v_ashrrev_i32_e32 v85, 31, v84
	v_lshlrev_b64 v[84:85], 1, v[84:85]
	v_mov_b32_e32 v78, s15
	v_add_co_u32_e32 v84, vcc, s14, v84
	v_addc_co_u32_e32 v85, vcc, v78, v85, vcc
	flat_load_ushort v78, v[84:85]
	s_waitcnt vmcnt(0) lgkmcnt(0)
	v_cvt_f32_f16_e32 v78, v78
	v_mul_f32_e32 v78, v62, v78
	s_branch .LBB86_216
.LBB86_215:
	v_mov_b32_e32 v78, 0
.LBB86_216:
	v_add_f32_e32 v5, v5, v78
	v_add_f32_e32 v78, 0x40051340, v5
	v_max_f32_e32 v37, v37, v37
	v_max_f32_e32 v37, v37, v78
.LBB86_217:
	s_or_b64 exec, exec, s[16:17]
	s_mov_b32 s16, 0x3f200000
	v_cmp_nlt_f32_e64 s[16:17], |v13|, s16
                                        ; implicit-def: $vgpr78
	s_and_saveexec_b64 s[40:41], s[16:17]
	s_xor_b64 s[16:17], exec, s[40:41]
	s_cbranch_execz .LBB86_219
; %bb.218:
	v_add_f32_e64 v78, |v13|, |v13|
	v_mul_f32_e32 v81, 0x3fb8aa3b, v78
	s_mov_b32 s22, 0x3fb8aa3b
	v_rndne_f32_e32 v84, v81
	v_sub_f32_e32 v85, v81, v84
	v_fma_f32 v81, v78, s22, -v81
	v_fmac_f32_e32 v81, 0x32a5705f, v78
	v_add_f32_e32 v81, v85, v81
	v_exp_f32_e32 v81, v81
	v_cvt_i32_f32_e32 v84, v84
	s_mov_b32 s22, 0xc2ce8ed0
	v_cmp_ngt_f32_e32 vcc, s22, v78
	s_mov_b32 s22, 0x42b17218
	v_ldexp_f32 v81, v81, v84
	v_cndmask_b32_e32 v81, 0, v81, vcc
	v_mov_b32_e32 v84, 0x7f800000
	v_cmp_nlt_f32_e32 vcc, s22, v78
	v_cndmask_b32_e32 v78, v84, v81, vcc
	v_add_f32_e32 v78, 1.0, v78
	v_rcp_f32_e32 v78, v78
	v_fma_f32 v78, v78, -2.0, 1.0
.LBB86_219:
	s_andn2_saveexec_b64 s[16:17], s[16:17]
; %bb.220:
	v_mul_f32_e32 v78, v13, v13
	v_mov_b32_e32 v81, 0x3ca908c9
	v_fmac_f32_e32 v81, 0xbbbac73d, v78
	v_mov_b32_e32 v84, 0xbd5c1c4e
	v_fmac_f32_e32 v84, v78, v81
	;; [unrolled: 2-line block ×4, first 2 shown]
	v_mul_f32_e64 v81, |v13|, v84
	v_fma_f32 v78, v78, v81, |v13|
; %bb.221:
	s_or_b64 exec, exec, s[16:17]
	s_brev_b32 s16, -2
	v_bfi_b32 v13, s16, v78, v13
	v_mul_f32_e32 v13, s23, v13
	s_and_saveexec_b64 s[16:17], s[10:11]
	s_cbranch_execz .LBB86_226
; %bb.222:
	s_and_b64 vcc, exec, s[6:7]
	s_cbranch_vccnz .LBB86_224
; %bb.223:
	v_ashrrev_i32_e32 v78, 31, v75
	v_add_co_u32_e32 v84, vcc, v75, v56
	v_addc_co_u32_e32 v85, vcc, 0, v78, vcc
	v_lshlrev_b64 v[84:85], 1, v[84:85]
	v_mov_b32_e32 v75, s15
	v_add_co_u32_e32 v84, vcc, s14, v84
	v_addc_co_u32_e32 v85, vcc, v75, v85, vcc
	flat_load_ushort v75, v[84:85] offset:64
	s_waitcnt vmcnt(0) lgkmcnt(0)
	v_cvt_f32_f16_e32 v75, v75
	v_mul_f32_e32 v75, v62, v75
	s_branch .LBB86_225
.LBB86_224:
	v_mov_b32_e32 v75, 0
.LBB86_225:
	v_add_f32_e32 v13, v13, v75
	v_add_f32_e32 v75, 0x40051340, v13
	v_max_f32_e32 v37, v37, v37
	v_max_f32_e32 v37, v37, v75
.LBB86_226:
	s_or_b64 exec, exec, s[16:17]
	ds_bpermute_b32 v75, v86, v37
	v_max_f32_e32 v37, v37, v37
	s_mov_b32 s16, 0x3f200000
	v_cmp_nlt_f32_e64 s[16:17], |v6|, s16
                                        ; implicit-def: $vgpr78
	s_waitcnt lgkmcnt(0)
	v_max_f32_e32 v75, v75, v75
	v_max_f32_e32 v37, v37, v75
	ds_bpermute_b32 v75, v95, v37
	s_waitcnt lgkmcnt(0)
	v_max_f32_e32 v75, v75, v75
	v_max_f32_e32 v37, v37, v75
	ds_bpermute_b32 v75, v96, v37
	s_waitcnt lgkmcnt(0)
	v_max_f32_e32 v75, v75, v75
	v_max_f32_e32 v37, v37, v75
	ds_bpermute_b32 v75, v97, v37
	s_waitcnt lgkmcnt(0)
	v_max_f32_e32 v75, v75, v75
	v_max_f32_e32 v37, v37, v75
	ds_bpermute_b32 v75, v98, v37
	s_and_saveexec_b64 s[40:41], s[16:17]
	s_xor_b64 s[16:17], exec, s[40:41]
	s_cbranch_execz .LBB86_228
; %bb.227:
	v_add_f32_e64 v78, |v6|, |v6|
	v_mul_f32_e32 v81, 0x3fb8aa3b, v78
	s_mov_b32 s22, 0x3fb8aa3b
	v_rndne_f32_e32 v84, v81
	v_sub_f32_e32 v85, v81, v84
	v_fma_f32 v81, v78, s22, -v81
	v_fmac_f32_e32 v81, 0x32a5705f, v78
	v_add_f32_e32 v81, v85, v81
	v_exp_f32_e32 v81, v81
	v_cvt_i32_f32_e32 v84, v84
	s_mov_b32 s22, 0xc2ce8ed0
	v_cmp_ngt_f32_e32 vcc, s22, v78
	s_mov_b32 s22, 0x42b17218
	v_ldexp_f32 v81, v81, v84
	v_cndmask_b32_e32 v81, 0, v81, vcc
	v_mov_b32_e32 v84, 0x7f800000
	v_cmp_nlt_f32_e32 vcc, s22, v78
	v_cndmask_b32_e32 v78, v84, v81, vcc
	v_add_f32_e32 v78, 1.0, v78
	v_rcp_f32_e32 v78, v78
	v_fma_f32 v78, v78, -2.0, 1.0
.LBB86_228:
	s_andn2_saveexec_b64 s[16:17], s[16:17]
; %bb.229:
	v_mul_f32_e32 v78, v6, v6
	v_mov_b32_e32 v81, 0x3ca908c9
	v_fmac_f32_e32 v81, 0xbbbac73d, v78
	v_mov_b32_e32 v84, 0xbd5c1c4e
	v_fmac_f32_e32 v84, v78, v81
	;; [unrolled: 2-line block ×4, first 2 shown]
	v_mul_f32_e64 v81, |v6|, v84
	v_fma_f32 v78, v78, v81, |v6|
; %bb.230:
	s_or_b64 exec, exec, s[16:17]
	s_waitcnt lgkmcnt(0)
	v_max_f32_e32 v75, v75, v75
	v_max_f32_e32 v37, v37, v37
	v_max_f32_e32 v37, v37, v75
	v_mul_hi_u32 v75, s36, v74
	v_add_u32_e32 v75, v74, v75
	v_lshrrev_b32_e32 v75, s37, v75
	v_mul_lo_u32 v75, v75, s38
	v_sub_u32_e32 v74, v74, v75
	s_brev_b32 s16, -2
	v_mul_lo_u32 v74, v74, s26
	v_bfi_b32 v6, s16, v78, v6
	v_add_u32_e32 v74, s18, v74
	v_mul_f32_e32 v6, s23, v6
	s_and_saveexec_b64 s[16:17], s[12:13]
	s_cbranch_execz .LBB86_235
; %bb.231:
	s_and_b64 vcc, exec, s[6:7]
	s_cbranch_vccnz .LBB86_233
; %bb.232:
	v_add_u32_e32 v84, v74, v56
	v_ashrrev_i32_e32 v85, 31, v84
	v_lshlrev_b64 v[84:85], 1, v[84:85]
	v_mov_b32_e32 v75, s15
	v_add_co_u32_e32 v84, vcc, s14, v84
	v_addc_co_u32_e32 v85, vcc, v75, v85, vcc
	flat_load_ushort v75, v[84:85]
	s_waitcnt vmcnt(0) lgkmcnt(0)
	v_cvt_f32_f16_e32 v75, v75
	v_mul_f32_e32 v75, v62, v75
	s_branch .LBB86_234
.LBB86_233:
	v_mov_b32_e32 v75, 0
.LBB86_234:
	v_add_f32_e32 v6, v6, v75
	v_add_f32_e32 v75, 0x40051340, v6
	v_max_f32_e32 v38, v38, v38
	v_max_f32_e32 v38, v38, v75
.LBB86_235:
	s_or_b64 exec, exec, s[16:17]
	s_mov_b32 s16, 0x3f200000
	v_cmp_nlt_f32_e64 s[16:17], |v14|, s16
                                        ; implicit-def: $vgpr75
	s_and_saveexec_b64 s[40:41], s[16:17]
	s_xor_b64 s[16:17], exec, s[40:41]
	s_cbranch_execz .LBB86_237
; %bb.236:
	v_add_f32_e64 v75, |v14|, |v14|
	v_mul_f32_e32 v78, 0x3fb8aa3b, v75
	s_mov_b32 s22, 0x3fb8aa3b
	v_rndne_f32_e32 v81, v78
	v_sub_f32_e32 v84, v78, v81
	v_fma_f32 v78, v75, s22, -v78
	v_fmac_f32_e32 v78, 0x32a5705f, v75
	v_add_f32_e32 v78, v84, v78
	v_exp_f32_e32 v78, v78
	v_cvt_i32_f32_e32 v81, v81
	s_mov_b32 s22, 0xc2ce8ed0
	v_cmp_ngt_f32_e32 vcc, s22, v75
	s_mov_b32 s22, 0x42b17218
	v_ldexp_f32 v78, v78, v81
	v_cndmask_b32_e32 v78, 0, v78, vcc
	v_mov_b32_e32 v81, 0x7f800000
	v_cmp_nlt_f32_e32 vcc, s22, v75
	v_cndmask_b32_e32 v75, v81, v78, vcc
	v_add_f32_e32 v75, 1.0, v75
	v_rcp_f32_e32 v75, v75
	v_fma_f32 v75, v75, -2.0, 1.0
.LBB86_237:
	s_andn2_saveexec_b64 s[16:17], s[16:17]
; %bb.238:
	v_mul_f32_e32 v75, v14, v14
	v_mov_b32_e32 v78, 0x3ca908c9
	v_fmac_f32_e32 v78, 0xbbbac73d, v75
	v_mov_b32_e32 v81, 0xbd5c1c4e
	v_fmac_f32_e32 v81, v75, v78
	;; [unrolled: 2-line block ×4, first 2 shown]
	v_mul_f32_e64 v78, |v14|, v81
	v_fma_f32 v75, v75, v78, |v14|
; %bb.239:
	s_or_b64 exec, exec, s[16:17]
	s_brev_b32 s16, -2
	v_bfi_b32 v14, s16, v75, v14
	v_mul_f32_e32 v14, s23, v14
	s_and_saveexec_b64 s[16:17], s[10:11]
	s_cbranch_execz .LBB86_244
; %bb.240:
	s_and_b64 vcc, exec, s[6:7]
	s_cbranch_vccnz .LBB86_242
; %bb.241:
	v_ashrrev_i32_e32 v75, 31, v74
	v_add_co_u32_e32 v74, vcc, v74, v56
	v_addc_co_u32_e32 v75, vcc, 0, v75, vcc
	v_lshlrev_b64 v[74:75], 1, v[74:75]
	v_mov_b32_e32 v78, s15
	v_add_co_u32_e32 v74, vcc, s14, v74
	v_addc_co_u32_e32 v75, vcc, v78, v75, vcc
	flat_load_ushort v74, v[74:75] offset:64
	s_waitcnt vmcnt(0) lgkmcnt(0)
	v_cvt_f32_f16_e32 v74, v74
	v_mul_f32_e32 v74, v62, v74
	s_branch .LBB86_243
.LBB86_242:
	v_mov_b32_e32 v74, 0
.LBB86_243:
	v_add_f32_e32 v14, v14, v74
	v_add_f32_e32 v74, 0x40051340, v14
	v_max_f32_e32 v38, v38, v38
	v_max_f32_e32 v38, v38, v74
.LBB86_244:
	s_or_b64 exec, exec, s[16:17]
	ds_bpermute_b32 v74, v86, v38
	v_max_f32_e32 v38, v38, v38
	s_mov_b32 s16, 0x3f200000
	v_cmp_nlt_f32_e64 s[16:17], |v7|, s16
                                        ; implicit-def: $vgpr75
	s_waitcnt lgkmcnt(0)
	v_max_f32_e32 v74, v74, v74
	v_max_f32_e32 v38, v38, v74
	ds_bpermute_b32 v74, v95, v38
	s_waitcnt lgkmcnt(0)
	v_max_f32_e32 v74, v74, v74
	v_max_f32_e32 v38, v38, v74
	ds_bpermute_b32 v74, v96, v38
	;; [unrolled: 4-line block ×4, first 2 shown]
	s_and_saveexec_b64 s[40:41], s[16:17]
	s_xor_b64 s[16:17], exec, s[40:41]
	s_cbranch_execz .LBB86_246
; %bb.245:
	v_add_f32_e64 v75, |v7|, |v7|
	v_mul_f32_e32 v78, 0x3fb8aa3b, v75
	s_mov_b32 s22, 0x3fb8aa3b
	v_rndne_f32_e32 v81, v78
	v_sub_f32_e32 v84, v78, v81
	v_fma_f32 v78, v75, s22, -v78
	v_fmac_f32_e32 v78, 0x32a5705f, v75
	v_add_f32_e32 v78, v84, v78
	v_exp_f32_e32 v78, v78
	v_cvt_i32_f32_e32 v81, v81
	s_mov_b32 s22, 0xc2ce8ed0
	v_cmp_ngt_f32_e32 vcc, s22, v75
	s_mov_b32 s22, 0x42b17218
	v_ldexp_f32 v78, v78, v81
	v_cndmask_b32_e32 v78, 0, v78, vcc
	v_mov_b32_e32 v81, 0x7f800000
	v_cmp_nlt_f32_e32 vcc, s22, v75
	v_cndmask_b32_e32 v75, v81, v78, vcc
	v_add_f32_e32 v75, 1.0, v75
	v_rcp_f32_e32 v75, v75
	v_fma_f32 v75, v75, -2.0, 1.0
.LBB86_246:
	s_andn2_saveexec_b64 s[16:17], s[16:17]
; %bb.247:
	v_mul_f32_e32 v75, v7, v7
	v_mov_b32_e32 v78, 0x3ca908c9
	v_fmac_f32_e32 v78, 0xbbbac73d, v75
	v_mov_b32_e32 v81, 0xbd5c1c4e
	v_fmac_f32_e32 v81, v75, v78
	;; [unrolled: 2-line block ×4, first 2 shown]
	v_mul_f32_e64 v78, |v7|, v81
	v_fma_f32 v75, v75, v78, |v7|
; %bb.248:
	s_or_b64 exec, exec, s[16:17]
	s_waitcnt lgkmcnt(0)
	v_max_f32_e32 v74, v74, v74
	v_max_f32_e32 v38, v38, v38
	;; [unrolled: 1-line block ×3, first 2 shown]
	v_mul_hi_u32 v74, s36, v67
	v_add_u32_e32 v74, v67, v74
	v_lshrrev_b32_e32 v74, s37, v74
	v_mul_lo_u32 v74, v74, s38
	v_sub_u32_e32 v67, v67, v74
	s_brev_b32 s16, -2
	v_mul_lo_u32 v67, v67, s26
	v_bfi_b32 v7, s16, v75, v7
	v_add_u32_e32 v67, s18, v67
	v_mul_f32_e32 v7, s23, v7
	s_and_saveexec_b64 s[16:17], s[12:13]
	s_cbranch_execz .LBB86_253
; %bb.249:
	s_and_b64 vcc, exec, s[6:7]
	s_cbranch_vccnz .LBB86_251
; %bb.250:
	v_add_u32_e32 v74, v67, v56
	v_ashrrev_i32_e32 v75, 31, v74
	v_lshlrev_b64 v[74:75], 1, v[74:75]
	v_mov_b32_e32 v78, s15
	v_add_co_u32_e32 v74, vcc, s14, v74
	v_addc_co_u32_e32 v75, vcc, v78, v75, vcc
	flat_load_ushort v74, v[74:75]
	s_waitcnt vmcnt(0) lgkmcnt(0)
	v_cvt_f32_f16_e32 v74, v74
	v_mul_f32_e32 v74, v62, v74
	s_branch .LBB86_252
.LBB86_251:
	v_mov_b32_e32 v74, 0
.LBB86_252:
	v_add_f32_e32 v7, v7, v74
	v_add_f32_e32 v74, 0x40051340, v7
	v_max_f32_e32 v39, v39, v39
	v_max_f32_e32 v39, v39, v74
.LBB86_253:
	s_or_b64 exec, exec, s[16:17]
	s_mov_b32 s12, 0x3f200000
	v_cmp_nlt_f32_e64 s[12:13], |v15|, s12
                                        ; implicit-def: $vgpr74
	s_and_saveexec_b64 s[16:17], s[12:13]
	s_xor_b64 s[12:13], exec, s[16:17]
	s_cbranch_execz .LBB86_255
; %bb.254:
	v_add_f32_e64 v74, |v15|, |v15|
	v_mul_f32_e32 v75, 0x3fb8aa3b, v74
	s_mov_b32 s16, 0x3fb8aa3b
	v_rndne_f32_e32 v78, v75
	v_sub_f32_e32 v81, v75, v78
	v_fma_f32 v75, v74, s16, -v75
	v_fmac_f32_e32 v75, 0x32a5705f, v74
	v_add_f32_e32 v75, v81, v75
	v_exp_f32_e32 v75, v75
	v_cvt_i32_f32_e32 v78, v78
	s_mov_b32 s16, 0xc2ce8ed0
	v_cmp_ngt_f32_e32 vcc, s16, v74
	s_mov_b32 s16, 0x42b17218
	v_ldexp_f32 v75, v75, v78
	v_cndmask_b32_e32 v75, 0, v75, vcc
	v_mov_b32_e32 v78, 0x7f800000
	v_cmp_nlt_f32_e32 vcc, s16, v74
	v_cndmask_b32_e32 v74, v78, v75, vcc
	v_add_f32_e32 v74, 1.0, v74
	v_rcp_f32_e32 v74, v74
	v_fma_f32 v74, v74, -2.0, 1.0
.LBB86_255:
	s_andn2_saveexec_b64 s[12:13], s[12:13]
; %bb.256:
	v_mul_f32_e32 v74, v15, v15
	v_mov_b32_e32 v75, 0x3ca908c9
	v_fmac_f32_e32 v75, 0xbbbac73d, v74
	v_mov_b32_e32 v78, 0xbd5c1c4e
	v_fmac_f32_e32 v78, v74, v75
	;; [unrolled: 2-line block ×4, first 2 shown]
	v_mul_f32_e64 v75, |v15|, v78
	v_fma_f32 v74, v74, v75, |v15|
; %bb.257:
	s_or_b64 exec, exec, s[12:13]
	s_brev_b32 s12, -2
	v_bfi_b32 v15, s12, v74, v15
	v_mul_f32_e32 v15, s23, v15
	s_and_saveexec_b64 s[12:13], s[10:11]
	s_cbranch_execz .LBB86_262
; %bb.258:
	s_and_b64 vcc, exec, s[6:7]
	s_cbranch_vccnz .LBB86_260
; %bb.259:
	v_ashrrev_i32_e32 v75, 31, v67
	v_add_co_u32_e32 v74, vcc, v67, v56
	v_addc_co_u32_e32 v75, vcc, 0, v75, vcc
	v_lshlrev_b64 v[74:75], 1, v[74:75]
	v_mov_b32_e32 v67, s15
	v_add_co_u32_e32 v74, vcc, s14, v74
	v_addc_co_u32_e32 v75, vcc, v67, v75, vcc
	flat_load_ushort v67, v[74:75] offset:64
	s_waitcnt vmcnt(0) lgkmcnt(0)
	v_cvt_f32_f16_e32 v67, v67
	v_mul_f32_e32 v62, v62, v67
	s_branch .LBB86_261
.LBB86_260:
	v_mov_b32_e32 v62, 0
.LBB86_261:
	v_add_f32_e32 v15, v15, v62
	v_add_f32_e32 v62, 0x40051340, v15
	v_max_f32_e32 v39, v39, v39
	v_max_f32_e32 v39, v39, v62
.LBB86_262:
	s_or_b64 exec, exec, s[12:13]
	v_sub_f32_e32 v67, v9, v33
	ds_bpermute_b32 v9, v86, v39
	v_max_f32_e32 v39, v39, v39
	v_sub_f32_e32 v0, v0, v32
	s_mov_b32 s17, 0x3fb8aa3b
	v_mul_f32_e32 v62, 0x3fb8aa3b, v0
	s_waitcnt lgkmcnt(0)
	v_max_f32_e32 v9, v9, v9
	v_max_f32_e32 v9, v39, v9
	ds_bpermute_b32 v39, v95, v9
	v_fma_f32 v74, v0, s17, -v62
	v_rndne_f32_e32 v75, v62
	v_fmac_f32_e32 v74, 0x32a5705f, v0
	v_sub_f32_e32 v62, v62, v75
	s_waitcnt lgkmcnt(0)
	v_max_f32_e32 v39, v39, v39
	v_max_f32_e32 v9, v9, v39
	ds_bpermute_b32 v39, v96, v9
	v_add_f32_e32 v62, v62, v74
	v_cvt_i32_f32_e32 v75, v75
	v_exp_f32_e32 v62, v62
	v_sub_f32_e32 v8, v8, v32
	s_waitcnt lgkmcnt(0)
	v_max_f32_e32 v39, v39, v39
	v_max_f32_e32 v9, v9, v39
	ds_bpermute_b32 v39, v97, v9
	v_mul_f32_e32 v74, 0x3fb8aa3b, v8
	v_ldexp_f32 v62, v62, v75
	v_fma_f32 v75, v8, s17, -v74
	v_rndne_f32_e32 v78, v74
	s_waitcnt lgkmcnt(0)
	v_max_f32_e32 v39, v39, v39
	v_max_f32_e32 v9, v9, v39
	ds_bpermute_b32 v39, v98, v9
	v_fmac_f32_e32 v75, 0x32a5705f, v8
	v_sub_f32_e32 v74, v74, v78
	v_add_f32_e32 v74, v74, v75
	s_mov_b32 s16, 0xc2ce8ed0
	v_exp_f32_e32 v74, v74
	v_cvt_i32_f32_e32 v75, v78
	s_mov_b32 s22, 0x42b17218
	v_cmp_ngt_f32_e32 vcc, s16, v0
	s_waitcnt lgkmcnt(0)
	v_max_f32_e32 v39, v39, v39
	v_sub_f32_e32 v24, v24, v32
	v_cndmask_b32_e32 v62, 0, v62, vcc
	v_max_f32_e32 v39, v9, v39
	v_mov_b32_e32 v9, 0x7f800000
	v_cmp_nlt_f32_e32 vcc, s22, v0
	v_cndmask_b32_e32 v0, v9, v62, vcc
	v_cmp_gt_u32_e32 vcc, s21, v56
	v_mul_f32_e32 v62, 0x3fb8aa3b, v24
	v_cndmask_b32_e32 v78, 0, v0, vcc
	v_ldexp_f32 v0, v74, v75
	v_fma_f32 v74, v24, s17, -v62
	v_rndne_f32_e32 v75, v62
	v_fmac_f32_e32 v74, 0x32a5705f, v24
	v_sub_f32_e32 v62, v62, v75
	v_add_f32_e32 v62, v62, v74
	v_exp_f32_e32 v62, v62
	v_cvt_i32_f32_e32 v74, v75
	v_cmp_ngt_f32_e64 s[6:7], s16, v8
	v_cndmask_b32_e64 v0, 0, v0, s[6:7]
	v_cmp_nlt_f32_e64 s[6:7], s22, v8
	v_cndmask_b32_e64 v0, v9, v0, s[6:7]
	v_cmp_gt_u32_e64 s[6:7], s21, v94
	v_cndmask_b32_e64 v8, 0, v0, s[6:7]
	v_ldexp_f32 v0, v62, v74
	v_cmp_ngt_f32_e64 s[10:11], s16, v24
	v_cndmask_b32_e64 v62, 0, v0, s[10:11]
	v_cmp_nlt_f32_e64 s[10:11], s22, v24
	v_add_f32_e32 v0, v78, v8
	v_cndmask_b32_e64 v24, v9, v62, s[10:11]
	v_fmac_f32_e32 v0, v16, v24
	v_cvt_f16_f32_e32 v16, v24
	v_sub_f32_e32 v1, v1, v33
	v_cmp_ngt_f32_e64 s[10:11], s16, v67
	v_sub_f32_e32 v25, v25, v33
	v_pk_mul_f16 v62, v16, v82 op_sel_hi:[0,1]
	v_pk_mul_f16 v24, v16, v83 op_sel_hi:[0,1]
	v_mul_f32_e32 v16, 0x3fb8aa3b, v1
	v_fma_f32 v74, v1, s17, -v16
	v_rndne_f32_e32 v75, v16
	v_fmac_f32_e32 v74, 0x32a5705f, v1
	v_sub_f32_e32 v16, v16, v75
	v_add_f32_e32 v16, v16, v74
	v_exp_f32_e32 v16, v16
	v_cvt_i32_f32_e32 v74, v75
	v_cmp_ngt_f32_e64 s[14:15], s16, v1
	v_cmp_ngt_f32_e64 s[12:13], s16, v25
	v_sub_f32_e32 v2, v2, v34
	v_ldexp_f32 v16, v16, v74
	v_mul_f32_e32 v74, 0x3fb8aa3b, v67
	v_fma_f32 v75, v67, s17, -v74
	v_rndne_f32_e32 v81, v74
	v_fmac_f32_e32 v75, 0x32a5705f, v67
	v_sub_f32_e32 v74, v74, v81
	v_add_f32_e32 v74, v74, v75
	v_exp_f32_e32 v74, v74
	v_cvt_i32_f32_e32 v75, v81
	v_cndmask_b32_e64 v16, 0, v16, s[14:15]
	v_cmp_nlt_f32_e64 s[14:15], s22, v1
	v_cndmask_b32_e64 v1, v9, v16, s[14:15]
	v_ldexp_f32 v74, v74, v75
	v_cndmask_b32_e64 v74, 0, v74, s[10:11]
	v_cmp_nlt_f32_e64 s[10:11], s22, v67
	v_mul_f32_e32 v67, 0x3fb8aa3b, v25
	v_fma_f32 v75, v25, s17, -v67
	v_rndne_f32_e32 v81, v67
	v_fmac_f32_e32 v75, 0x32a5705f, v25
	v_sub_f32_e32 v67, v67, v81
	v_add_f32_e32 v67, v67, v75
	v_exp_f32_e32 v67, v67
	v_cvt_i32_f32_e32 v75, v81
	v_sub_f32_e32 v10, v10, v34
	v_sub_f32_e32 v3, v3, v35
	;; [unrolled: 1-line block ×3, first 2 shown]
	v_ldexp_f32 v67, v67, v75
	v_cvt_f16_f32_e32 v75, v78
	v_cvt_f16_f32_e32 v78, v8
	v_cndmask_b32_e32 v8, 0, v1, vcc
	v_cndmask_b32_e64 v1, v9, v74, s[10:11]
	v_cndmask_b32_e64 v67, 0, v67, s[12:13]
	v_cmp_nlt_f32_e64 s[12:13], s22, v25
	v_cndmask_b32_e64 v16, 0, v1, s[6:7]
	v_add_f32_e32 v1, v8, v16
	v_cvt_f16_f32_e32 v74, v8
	v_cndmask_b32_e64 v8, v9, v67, s[12:13]
	v_fmac_f32_e32 v1, v17, v8
	v_cvt_f16_f32_e32 v8, v8
	v_mul_f32_e32 v17, 0x3fb8aa3b, v2
	v_fma_f32 v25, v2, s17, -v17
	v_rndne_f32_e32 v67, v17
	v_fmac_f32_e32 v25, 0x32a5705f, v2
	v_sub_f32_e32 v17, v17, v67
	v_add_f32_e32 v17, v17, v25
	v_cvt_i32_f32_e32 v81, v67
	v_pk_mul_f16 v67, v8, v79 op_sel_hi:[0,1]
	v_pk_mul_f16 v25, v8, v80 op_sel_hi:[0,1]
	v_sub_f32_e32 v8, v26, v34
	v_mul_f32_e32 v26, 0x3fb8aa3b, v10
	v_fma_f32 v79, v10, s17, -v26
	v_rndne_f32_e32 v80, v26
	v_exp_f32_e32 v17, v17
	v_fmac_f32_e32 v79, 0x32a5705f, v10
	v_sub_f32_e32 v26, v26, v80
	v_add_f32_e32 v26, v26, v79
	v_exp_f32_e32 v26, v26
	v_cvt_i32_f32_e32 v79, v80
	v_ldexp_f32 v17, v17, v81
	v_cmp_ngt_f32_e64 s[10:11], s16, v2
	v_cndmask_b32_e64 v17, 0, v17, s[10:11]
	v_cmp_nlt_f32_e64 s[10:11], s22, v2
	v_cndmask_b32_e64 v2, v9, v17, s[10:11]
	v_ldexp_f32 v26, v26, v79
	v_cmp_ngt_f32_e64 s[10:11], s16, v10
	v_cndmask_b32_e64 v26, 0, v26, s[10:11]
	v_cmp_nlt_f32_e64 s[10:11], s22, v10
	v_cndmask_b32_e64 v10, v9, v26, s[10:11]
	v_mul_f32_e32 v26, 0x3fb8aa3b, v8
	v_fma_f32 v79, v8, s17, -v26
	v_rndne_f32_e32 v80, v26
	v_fmac_f32_e32 v79, 0x32a5705f, v8
	v_sub_f32_e32 v26, v26, v80
	v_add_f32_e32 v26, v26, v79
	v_exp_f32_e32 v26, v26
	v_cvt_i32_f32_e32 v79, v80
	v_cmp_ngt_f32_e64 s[10:11], s16, v8
	v_cndmask_b32_e32 v2, 0, v2, vcc
	v_cndmask_b32_e64 v10, 0, v10, s[6:7]
	v_ldexp_f32 v26, v26, v79
	v_cndmask_b32_e64 v26, 0, v26, s[10:11]
	v_cmp_nlt_f32_e64 s[10:11], s22, v8
	v_cvt_f16_f32_e32 v17, v2
	v_add_f32_e32 v2, v2, v10
	v_cndmask_b32_e64 v8, v9, v26, s[10:11]
	v_fmac_f32_e32 v2, v18, v8
	v_mul_f32_e32 v18, 0x3fb8aa3b, v3
	v_fma_f32 v26, v3, s17, -v18
	v_rndne_f32_e32 v79, v18
	v_fmac_f32_e32 v26, 0x32a5705f, v3
	v_sub_f32_e32 v18, v18, v79
	v_add_f32_e32 v18, v18, v26
	v_exp_f32_e32 v18, v18
	v_cvt_i32_f32_e32 v26, v79
	v_cvt_f16_f32_e32 v8, v8
	v_cmp_ngt_f32_e64 s[10:11], s16, v3
	v_sub_f32_e32 v4, v4, v36
	v_ldexp_f32 v18, v18, v26
	v_mul_f32_e32 v26, 0x3fb8aa3b, v11
	v_pk_mul_f16 v80, v8, v76 op_sel_hi:[0,1]
	v_pk_mul_f16 v81, v8, v77 op_sel_hi:[0,1]
	v_sub_f32_e32 v8, v27, v35
	v_fma_f32 v27, v11, s17, -v26
	v_rndne_f32_e32 v76, v26
	v_fmac_f32_e32 v27, 0x32a5705f, v11
	v_sub_f32_e32 v26, v26, v76
	v_add_f32_e32 v26, v26, v27
	v_exp_f32_e32 v26, v26
	v_cvt_i32_f32_e32 v27, v76
	v_cndmask_b32_e64 v18, 0, v18, s[10:11]
	v_cmp_nlt_f32_e64 s[10:11], s22, v3
	v_cndmask_b32_e64 v3, v9, v18, s[10:11]
	v_ldexp_f32 v26, v26, v27
	v_cmp_ngt_f32_e64 s[10:11], s16, v11
	v_cndmask_b32_e64 v26, 0, v26, s[10:11]
	v_cmp_nlt_f32_e64 s[10:11], s22, v11
	v_cndmask_b32_e64 v11, v9, v26, s[10:11]
	v_mul_f32_e32 v26, 0x3fb8aa3b, v8
	v_fma_f32 v27, v8, s17, -v26
	v_rndne_f32_e32 v76, v26
	v_fmac_f32_e32 v27, 0x32a5705f, v8
	v_sub_f32_e32 v26, v26, v76
	v_add_f32_e32 v26, v26, v27
	v_exp_f32_e32 v26, v26
	v_cvt_i32_f32_e32 v27, v76
	v_cmp_ngt_f32_e64 s[10:11], s16, v8
	v_cndmask_b32_e32 v3, 0, v3, vcc
	v_cndmask_b32_e64 v11, 0, v11, s[6:7]
	v_ldexp_f32 v26, v26, v27
	v_mul_f32_e32 v27, 0x3fb8aa3b, v4
	v_fma_f32 v76, v4, s17, -v27
	v_rndne_f32_e32 v77, v27
	v_fmac_f32_e32 v76, 0x32a5705f, v4
	v_sub_f32_e32 v27, v27, v77
	v_add_f32_e32 v27, v27, v76
	v_exp_f32_e32 v27, v27
	v_cvt_i32_f32_e32 v76, v77
	v_cndmask_b32_e64 v26, 0, v26, s[10:11]
	v_cmp_nlt_f32_e64 s[10:11], s22, v8
	v_cvt_f16_f32_e32 v18, v3
	v_add_f32_e32 v3, v3, v11
	v_cndmask_b32_e64 v26, v9, v26, s[10:11]
	v_sub_f32_e32 v12, v12, v36
	v_fmac_f32_e32 v3, v19, v26
	v_mul_f32_e32 v19, 0x3fb8aa3b, v12
	v_ldexp_f32 v8, v27, v76
	v_fma_f32 v27, v12, s17, -v19
	v_rndne_f32_e32 v76, v19
	v_fmac_f32_e32 v27, 0x32a5705f, v12
	v_sub_f32_e32 v19, v19, v76
	v_add_f32_e32 v19, v19, v27
	v_exp_f32_e32 v19, v19
	v_cvt_i32_f32_e32 v27, v76
	v_cmp_ngt_f32_e64 s[10:11], s16, v4
	v_cndmask_b32_e64 v8, 0, v8, s[10:11]
	v_cmp_nlt_f32_e64 s[10:11], s22, v4
	v_sub_f32_e32 v5, v5, v37
	v_cndmask_b32_e64 v4, v9, v8, s[10:11]
	v_ldexp_f32 v8, v19, v27
	v_mul_f32_e32 v19, 0x3fb8aa3b, v5
	v_fma_f32 v27, v5, s17, -v19
	v_rndne_f32_e32 v76, v19
	v_fmac_f32_e32 v27, 0x32a5705f, v5
	v_sub_f32_e32 v19, v19, v76
	v_add_f32_e32 v19, v19, v27
	v_exp_f32_e32 v19, v19
	v_cvt_i32_f32_e32 v27, v76
	v_cmp_ngt_f32_e64 s[10:11], s16, v12
	v_cndmask_b32_e64 v8, 0, v8, s[10:11]
	v_cmp_nlt_f32_e64 s[10:11], s22, v12
	v_cndmask_b32_e64 v8, v9, v8, s[10:11]
	v_sub_f32_e32 v13, v13, v37
	v_cndmask_b32_e64 v82, 0, v8, s[6:7]
	v_ldexp_f32 v8, v19, v27
	v_mul_f32_e32 v19, 0x3fb8aa3b, v13
	v_fma_f32 v27, v13, s17, -v19
	v_rndne_f32_e32 v76, v19
	v_fmac_f32_e32 v27, 0x32a5705f, v13
	v_sub_f32_e32 v19, v19, v76
	v_add_f32_e32 v19, v19, v27
	v_exp_f32_e32 v19, v19
	v_cvt_i32_f32_e32 v27, v76
	v_cmp_ngt_f32_e64 s[10:11], s16, v5
	v_cndmask_b32_e64 v8, 0, v8, s[10:11]
	v_cmp_nlt_f32_e64 s[10:11], s22, v5
	v_sub_f32_e32 v6, v6, v38
	v_cndmask_b32_e64 v5, v9, v8, s[10:11]
	v_ldexp_f32 v8, v19, v27
	v_mul_f32_e32 v19, 0x3fb8aa3b, v6
	v_fma_f32 v27, v6, s17, -v19
	v_rndne_f32_e32 v76, v19
	v_fmac_f32_e32 v27, 0x32a5705f, v6
	v_sub_f32_e32 v19, v19, v76
	v_add_f32_e32 v19, v19, v27
	v_exp_f32_e32 v19, v19
	v_cvt_i32_f32_e32 v27, v76
	v_cmp_ngt_f32_e64 s[10:11], s16, v13
	v_cndmask_b32_e64 v8, 0, v8, s[10:11]
	v_cmp_nlt_f32_e64 s[10:11], s22, v13
	v_cndmask_b32_e64 v8, v9, v8, s[10:11]
	v_sub_f32_e32 v14, v14, v38
	v_cndmask_b32_e64 v84, 0, v8, s[6:7]
	v_ldexp_f32 v8, v19, v27
	v_mul_f32_e32 v19, 0x3fb8aa3b, v14
	;; [unrolled: 29-line block ×3, first 2 shown]
	v_fma_f32 v27, v15, s17, -v19
	v_rndne_f32_e32 v76, v19
	v_fmac_f32_e32 v27, 0x32a5705f, v15
	v_sub_f32_e32 v19, v19, v76
	v_add_f32_e32 v19, v19, v27
	v_exp_f32_e32 v19, v19
	v_cvt_i32_f32_e32 v27, v76
	v_cmp_ngt_f32_e64 s[10:11], s16, v7
	v_cndmask_b32_e64 v8, 0, v8, s[10:11]
	v_cmp_nlt_f32_e64 s[10:11], s22, v7
	v_cndmask_b32_e64 v7, v9, v8, s[10:11]
	v_cndmask_b32_e32 v79, 0, v4, vcc
	v_cndmask_b32_e32 v83, 0, v5, vcc
	;; [unrolled: 1-line block ×4, first 2 shown]
	v_ldexp_f32 v8, v19, v27
	v_cmp_ngt_f32_e32 vcc, s16, v15
	v_cndmask_b32_e32 v8, 0, v8, vcc
	v_cmp_nlt_f32_e32 vcc, s22, v15
	v_cndmask_b32_e32 v8, v9, v8, vcc
	v_cvt_f16_f32_e32 v4, v79
	v_cvt_f16_f32_e32 v5, v83
	;; [unrolled: 1-line block ×4, first 2 shown]
	v_cndmask_b32_e64 v19, 0, v8, s[6:7]
	v_cvt_f16_f32_e32 v16, v16
	v_cvt_f16_f32_e32 v10, v10
	;; [unrolled: 1-line block ×7, first 2 shown]
	v_lshlrev_b32_e32 v8, 10, v59
	v_add_u32_e32 v27, 0x4000, v8
	v_lshl_add_u32 v76, v56, 4, v27
	v_pack_b32_f16 v7, v6, v7
	v_pack_b32_f16 v6, v4, v5
	;; [unrolled: 1-line block ×4, first 2 shown]
	s_barrier
	ds_write_b128 v76, v[4:7]
	v_lshl_add_u32 v17, v94, 4, v27
	v_pack_b32_f16 v7, v14, v15
	v_pack_b32_f16 v6, v12, v13
	v_pack_b32_f16 v5, v10, v11
	v_pack_b32_f16 v4, v78, v16
	v_lshl_add_u32 v11, v59, 1, v61
	ds_write_b128 v17, v[4:7]
	v_mul_lo_u32 v4, s8, v11
	v_ashrrev_i32_e32 v5, 31, v4
	v_lshlrev_b64 v[4:5], 2, v[4:5]
	v_mov_b32_e32 v6, s20
	v_add_co_u32_e32 v4, vcc, s19, v4
	v_addc_co_u32_e32 v5, vcc, v6, v5, vcc
	v_lshlrev_b32_e32 v10, 2, v60
	v_add_co_u32_e32 v12, vcc, v4, v10
	s_mul_hi_i32 s11, s18, s8
	s_mul_i32 s10, s18, s8
	v_addc_co_u32_e32 v13, vcc, 0, v5, vcc
	s_lshl_b64 s[10:11], s[10:11], 2
	v_mov_b32_e32 v4, s11
	v_add_co_u32_e32 v6, vcc, s10, v12
	s_mov_b64 s[6:7], src_private_base
	v_addc_co_u32_e32 v4, vcc, v13, v4, vcc
	v_mov_b32_e32 v14, 0
	v_mov_b32_e32 v15, s7
	v_cmp_gt_i32_e32 vcc, s21, v11
	v_mov_b32_e32 v17, 0
	buffer_store_dword v14, off, s[0:3], 0
	buffer_store_dword v14, off, s[0:3], 0 offset:8
	buffer_store_dword v14, off, s[0:3], 0 offset:4
	buffer_store_dword v14, off, s[0:3], 0 offset:12
	v_cndmask_b32_e32 v5, v15, v4, vcc
	v_cndmask_b32_e32 v4, v17, v6, vcc
	flat_load_dwordx4 v[74:77], v[4:5]
	v_sub_f32_e32 v5, v28, v36
	v_mul_f32_e32 v6, 0x3fb8aa3b, v5
	v_fma_f32 v7, v5, s17, -v6
	v_rndne_f32_e32 v16, v6
	v_fmac_f32_e32 v7, 0x32a5705f, v5
	v_sub_f32_e32 v6, v6, v16
	v_add_f32_e32 v6, v6, v7
	v_exp_f32_e32 v6, v6
	v_cvt_i32_f32_e32 v7, v16
	v_cmp_ngt_f32_e32 vcc, s16, v5
	v_cvt_f16_f32_e32 v4, v26
	s_or_b32 s6, s18, 16
	v_ldexp_f32 v6, v6, v7
	v_cndmask_b32_e32 v6, 0, v6, vcc
	v_cmp_nlt_f32_e32 vcc, s22, v5
	v_cndmask_b32_e32 v5, v9, v6, vcc
	v_sub_f32_e32 v6, v29, v37
	v_mul_f32_e32 v7, 0x3fb8aa3b, v6
	v_fma_f32 v16, v6, s17, -v7
	v_rndne_f32_e32 v18, v7
	v_fmac_f32_e32 v16, 0x32a5705f, v6
	v_sub_f32_e32 v7, v7, v18
	v_add_f32_e32 v7, v7, v16
	v_exp_f32_e32 v7, v7
	v_cvt_i32_f32_e32 v16, v18
	v_pk_mul_f16 v59, v4, v70 op_sel_hi:[0,1]
	v_pk_mul_f16 v60, v4, v71 op_sel_hi:[0,1]
	v_add_f32_e32 v4, v79, v82
	v_ldexp_f32 v7, v7, v16
	v_sub_f32_e32 v16, v30, v38
	v_mul_f32_e32 v18, 0x3fb8aa3b, v16
	v_fmac_f32_e32 v4, v20, v5
	v_fma_f32 v20, v16, s17, -v18
	v_rndne_f32_e32 v26, v18
	v_fmac_f32_e32 v20, 0x32a5705f, v16
	v_sub_f32_e32 v18, v18, v26
	v_cvt_f16_f32_e32 v5, v5
	v_cmp_ngt_f32_e32 vcc, s16, v6
	v_add_f32_e32 v18, v18, v20
	v_cndmask_b32_e32 v7, 0, v7, vcc
	v_cmp_nlt_f32_e32 vcc, s22, v6
	v_exp_f32_e32 v18, v18
	v_cvt_i32_f32_e32 v20, v26
	v_cndmask_b32_e32 v6, v9, v7, vcc
	v_cvt_f16_f32_e32 v7, v6
	v_pk_mul_f16 v61, v5, v65 op_sel_hi:[0,1]
	v_pk_mul_f16 v65, v5, v66 op_sel_hi:[0,1]
	v_add_f32_e32 v5, v83, v84
	v_fmac_f32_e32 v5, v21, v6
	v_ldexp_f32 v6, v18, v20
	v_cmp_ngt_f32_e32 vcc, s16, v16
	v_cndmask_b32_e32 v6, 0, v6, vcc
	v_cmp_nlt_f32_e32 vcc, s22, v16
	v_sub_f32_e32 v18, v31, v39
	v_pk_mul_f16 v30, v7, v64 op_sel_hi:[0,1]
	v_pk_mul_f16 v63, v7, v63 op_sel_hi:[0,1]
	v_cndmask_b32_e32 v7, v9, v6, vcc
	v_mul_f32_e32 v6, 0x3fb8aa3b, v18
	v_fma_f32 v20, v18, s17, -v6
	v_rndne_f32_e32 v21, v6
	v_fmac_f32_e32 v20, 0x32a5705f, v18
	v_sub_f32_e32 v6, v6, v21
	v_add_f32_e32 v6, v6, v20
	v_exp_f32_e32 v20, v6
	v_cvt_i32_f32_e32 v21, v21
	v_cvt_f16_f32_e32 v16, v7
	v_add_f32_e32 v6, v85, v86
	v_fmac_f32_e32 v6, v22, v7
	v_ldexp_f32 v7, v20, v21
	v_cmp_ngt_f32_e32 vcc, s16, v18
	v_cndmask_b32_e32 v7, 0, v7, vcc
	v_cmp_nlt_f32_e32 vcc, s22, v18
	v_cndmask_b32_e32 v9, v9, v7, vcc
	v_pk_mul_f16 v22, v16, v72 op_sel_hi:[0,1]
	v_cvt_f16_f32_e32 v31, v9
	v_pk_mul_f16 v64, v16, v73 op_sel_hi:[0,1]
	v_lshl_or_b32 v16, v11, 8, v10
	v_add_u32_e32 v10, 0x6000, v58
	v_add_f32_e32 v7, v95, v19
	s_waitcnt vmcnt(0) lgkmcnt(0)
	ds_write_b128 v16, v[74:77] offset:24576
	s_waitcnt lgkmcnt(0)
	s_barrier
	ds_read2_b64 v[18:21], v10 offset1:32
	ds_read_b128 v[26:29], v8 offset:16384
	v_fmac_f32_e32 v7, v23, v9
	v_pk_mul_f16 v9, v31, v69 op_sel_hi:[0,1]
	v_pk_mul_f16 v23, v31, v68 op_sel_hi:[0,1]
	ds_read_b128 v[68:71], v8 offset:16400
	ds_read_b128 v[72:75], v8 offset:16416
	;; [unrolled: 1-line block ×3, first 2 shown]
	s_waitcnt lgkmcnt(3)
	v_pk_fma_f16 v31, v18, v26, v62 op_sel_hi:[1,0,1]
	v_pk_fma_f16 v62, v18, v26, v67 op_sel:[0,1,0]
	v_pk_fma_f16 v66, v18, v27, v80 op_sel_hi:[1,0,1]
	v_pk_fma_f16 v59, v18, v27, v59 op_sel:[0,1,0]
	;; [unrolled: 2-line block ×8, first 2 shown]
	s_waitcnt lgkmcnt(2)
	v_pk_fma_f16 v29, v20, v68, v31 op_sel_hi:[1,0,1]
	v_pk_fma_f16 v31, v20, v68, v62 op_sel:[0,1,0]
	v_pk_fma_f16 v62, v20, v69, v66 op_sel_hi:[1,0,1]
	v_pk_fma_f16 v59, v20, v69, v59 op_sel:[0,1,0]
	;; [unrolled: 2-line block ×4, first 2 shown]
	v_pk_fma_f16 v20, v21, v68, v24 op_sel:[0,1,0]
	v_pk_fma_f16 v64, v21, v69, v25 op_sel_hi:[1,0,1]
	ds_read2_b64 v[22:25], v10 offset0:64 offset1:96
	v_pk_fma_f16 v18, v21, v68, v18 op_sel_hi:[1,0,1]
	v_pk_fma_f16 v26, v21, v69, v26 op_sel:[0,1,0]
	v_pk_fma_f16 v27, v21, v70, v27 op_sel_hi:[1,0,1]
	v_pk_fma_f16 v28, v21, v70, v28 op_sel:[0,1,0]
	;; [unrolled: 2-line block ×3, first 2 shown]
	s_waitcnt lgkmcnt(0)
	v_pk_fma_f16 v21, v22, v72, v29 op_sel_hi:[1,0,1]
	v_pk_fma_f16 v29, v22, v72, v31 op_sel:[0,1,0]
	v_pk_fma_f16 v18, v23, v72, v18 op_sel_hi:[1,0,1]
	v_pk_fma_f16 v20, v23, v72, v20 op_sel:[0,1,0]
	v_pk_fma_f16 v26, v23, v73, v26 op_sel:[0,1,0]
	v_pk_fma_f16 v27, v23, v74, v27 op_sel_hi:[1,0,1]
	v_pk_fma_f16 v31, v22, v73, v62 op_sel_hi:[1,0,1]
	v_pk_fma_f16 v59, v22, v73, v59 op_sel:[0,1,0]
	v_pk_fma_f16 v61, v22, v74, v61 op_sel_hi:[1,0,1]
	v_pk_fma_f16 v30, v22, v74, v30 op_sel:[0,1,0]
	;; [unrolled: 2-line block ×7, first 2 shown]
	v_pk_fma_f16 v69, v25, v77, v26 op_sel:[0,1,0]
	v_pk_fma_f16 v70, v25, v78, v27 op_sel_hi:[1,0,1]
	ds_read2_b64 v[18:21], v10 offset0:128 offset1:160
	ds_read_b128 v[26:29], v8 offset:16448
	v_pk_fma_f16 v31, v24, v77, v31 op_sel_hi:[1,0,1]
	v_pk_fma_f16 v59, v24, v77, v59 op_sel:[0,1,0]
	v_pk_fma_f16 v61, v24, v78, v61 op_sel_hi:[1,0,1]
	v_pk_fma_f16 v30, v24, v78, v30 op_sel:[0,1,0]
	;; [unrolled: 2-line block ×5, first 2 shown]
	ds_read_b128 v[22:25], v8 offset:16464
	s_waitcnt lgkmcnt(1)
	v_pk_fma_f16 v64, v18, v26, v64 op_sel_hi:[1,0,1]
	v_pk_fma_f16 v65, v18, v26, v65 op_sel:[0,1,0]
	v_pk_fma_f16 v31, v18, v27, v31 op_sel_hi:[1,0,1]
	v_pk_fma_f16 v59, v18, v27, v59 op_sel:[0,1,0]
	;; [unrolled: 2-line block ×8, first 2 shown]
	s_waitcnt lgkmcnt(0)
	v_pk_fma_f16 v64, v20, v22, v64 op_sel_hi:[1,0,1]
	v_pk_fma_f16 v65, v20, v22, v65 op_sel:[0,1,0]
	v_pk_fma_f16 v31, v20, v23, v31 op_sel_hi:[1,0,1]
	v_pk_fma_f16 v59, v20, v23, v59 op_sel:[0,1,0]
	v_pk_fma_f16 v70, v20, v24, v61 op_sel_hi:[1,0,1]
	v_pk_fma_f16 v71, v20, v25, v62 op_sel_hi:[1,0,1]
	v_pk_fma_f16 v72, v21, v22, v18 op_sel_hi:[1,0,1]
	v_pk_fma_f16 v22, v21, v22, v26 op_sel:[0,1,0]
	v_pk_fma_f16 v66, v21, v23, v66 op_sel_hi:[1,0,1]
	v_pk_fma_f16 v23, v21, v23, v27 op_sel:[0,1,0]
	ds_read2_b64 v[26:29], v10 offset0:192 offset1:224
	ds_read_b128 v[60:63], v8 offset:16480
	v_pk_fma_f16 v30, v20, v24, v30 op_sel:[0,1,0]
	v_pk_fma_f16 v9, v20, v25, v9 op_sel:[0,1,0]
	v_pk_fma_f16 v67, v21, v24, v67 op_sel_hi:[1,0,1]
	v_pk_fma_f16 v24, v21, v24, v68 op_sel:[0,1,0]
	v_pk_fma_f16 v68, v21, v25, v69 op_sel_hi:[1,0,1]
	v_pk_fma_f16 v25, v21, v25, v19 op_sel:[0,1,0]
	ds_read_b128 v[18:21], v8 offset:16496
	s_waitcnt lgkmcnt(1)
	v_pk_fma_f16 v64, v26, v60, v64 op_sel_hi:[1,0,1]
	v_pk_fma_f16 v65, v26, v60, v65 op_sel:[0,1,0]
	v_pk_fma_f16 v31, v26, v61, v31 op_sel_hi:[1,0,1]
	v_pk_fma_f16 v59, v26, v61, v59 op_sel:[0,1,0]
	;; [unrolled: 2-line block ×8, first 2 shown]
	s_waitcnt lgkmcnt(0)
	v_pk_fma_f16 v63, v28, v18, v64 op_sel_hi:[1,0,1]
	v_pk_fma_f16 v64, v28, v18, v65 op_sel:[0,1,0]
	v_pk_fma_f16 v31, v28, v19, v31 op_sel_hi:[1,0,1]
	v_pk_fma_f16 v65, v28, v19, v59 op_sel:[0,1,0]
	;; [unrolled: 2-line block ×4, first 2 shown]
	v_add_u32_e32 v9, 0x6800, v58
	v_pk_fma_f16 v69, v29, v18, v22 op_sel:[0,1,0]
	v_pk_fma_f16 v70, v29, v19, v60 op_sel_hi:[1,0,1]
	v_pk_fma_f16 v71, v29, v19, v23 op_sel:[0,1,0]
	v_pk_fma_f16 v72, v29, v20, v61 op_sel_hi:[1,0,1]
	ds_read2_b64 v[22:25], v9 offset1:32
	ds_read_b128 v[58:61], v8 offset:16512
	v_pk_fma_f16 v26, v29, v18, v26 op_sel_hi:[1,0,1]
	v_pk_fma_f16 v62, v29, v20, v62 op_sel:[0,1,0]
	v_pk_fma_f16 v66, v29, v21, v66 op_sel_hi:[1,0,1]
	v_pk_fma_f16 v27, v29, v21, v27 op_sel:[0,1,0]
	ds_read_b128 v[18:21], v8 offset:16528
	s_waitcnt lgkmcnt(1)
	v_pk_fma_f16 v29, v22, v58, v63 op_sel_hi:[1,0,1]
	v_pk_fma_f16 v63, v22, v58, v64 op_sel:[0,1,0]
	v_pk_fma_f16 v31, v22, v59, v31 op_sel_hi:[1,0,1]
	v_pk_fma_f16 v64, v22, v59, v65 op_sel:[0,1,0]
	;; [unrolled: 2-line block ×8, first 2 shown]
	s_waitcnt lgkmcnt(0)
	v_pk_fma_f16 v69, v24, v18, v29 op_sel_hi:[1,0,1]
	v_pk_fma_f16 v63, v24, v18, v63 op_sel:[0,1,0]
	v_pk_fma_f16 v31, v24, v19, v31 op_sel_hi:[1,0,1]
	v_pk_fma_f16 v64, v24, v19, v64 op_sel:[0,1,0]
	;; [unrolled: 2-line block ×6, first 2 shown]
	ds_read2_b64 v[26:29], v9 offset0:64 offset1:96
	ds_read_b128 v[58:61], v8 offset:16544
	s_mul_hi_i32 s7, s6, s8
	s_mul_i32 s6, s6, s8
	s_lshl_b64 s[6:7], s[6:7], 2
	v_add_co_u32_e32 v78, vcc, s6, v12
	s_waitcnt lgkmcnt(0)
	v_pk_fma_f16 v82, v26, v58, v69 op_sel_hi:[1,0,1]
	v_pk_fma_f16 v83, v26, v58, v63 op_sel:[0,1,0]
	v_pk_fma_f16 v31, v26, v59, v31 op_sel_hi:[1,0,1]
	v_pk_fma_f16 v84, v26, v59, v64 op_sel:[0,1,0]
	;; [unrolled: 2-line block ×4, first 2 shown]
	v_mov_b32_e32 v26, s7
	s_add_i32 s10, s21, -16
	v_addc_co_u32_e32 v26, vcc, v13, v26, vcc
	v_pk_fma_f16 v68, v25, v20, v68 op_sel_hi:[1,0,1]
	v_pk_fma_f16 v62, v25, v20, v62 op_sel:[0,1,0]
	v_pk_fma_f16 v66, v25, v21, v66 op_sel_hi:[1,0,1]
	v_pk_fma_f16 v23, v25, v21, v23 op_sel:[0,1,0]
	v_cmp_gt_i32_e32 vcc, s10, v11
	ds_read_b128 v[18:21], v8 offset:16560
	v_pk_fma_f16 v95, v27, v58, v24 op_sel_hi:[1,0,1]
	v_pk_fma_f16 v96, v27, v58, v70 op_sel:[0,1,0]
	v_pk_fma_f16 v97, v27, v59, v71 op_sel_hi:[1,0,1]
	v_pk_fma_f16 v98, v27, v59, v72 op_sel:[0,1,0]
	;; [unrolled: 2-line block ×4, first 2 shown]
	ds_read2_b64 v[22:25], v9 offset0:128 offset1:160
	ds_read_b128 v[58:61], v8 offset:16576
	ds_read_b128 v[62:65], v8 offset:16592
	ds_read2_b64 v[66:69], v9 offset0:192 offset1:224
	ds_read_b128 v[70:73], v8 offset:16608
	ds_read_b128 v[74:77], v8 offset:16624
	s_waitcnt lgkmcnt(0)
	s_barrier
	buffer_store_dword v14, off, s[0:3], 0
	buffer_store_dword v14, off, s[0:3], 0 offset:8
	buffer_store_dword v14, off, s[0:3], 0 offset:4
	buffer_store_dword v14, off, s[0:3], 0 offset:12
	v_cndmask_b32_e32 v27, v15, v26, vcc
	v_cndmask_b32_e32 v26, v17, v78, vcc
	flat_load_dwordx4 v[78:81], v[26:27]
	v_pk_fma_f16 v26, v28, v18, v82 op_sel_hi:[1,0,1]
	v_pk_fma_f16 v27, v28, v18, v83 op_sel:[0,1,0]
	v_pk_fma_f16 v31, v28, v19, v31 op_sel_hi:[1,0,1]
	v_pk_fma_f16 v82, v28, v19, v84 op_sel:[0,1,0]
	;; [unrolled: 2-line block ×39, first 2 shown]
	v_pk_fma_f16 v84, v69, v77, v59 op_sel_hi:[1,0,1]
	s_waitcnt vmcnt(0) lgkmcnt(0)
	ds_write_b128 v16, v[78:81] offset:24576
	s_waitcnt lgkmcnt(0)
	s_barrier
	ds_read2_b64 v[18:21], v10 offset1:32
	ds_read_b128 v[22:25], v8 offset:16640
	v_pk_fma_f16 v69, v69, v77, v60 op_sel:[0,1,0]
	ds_read_b128 v[26:29], v8 offset:16656
	ds_read_b128 v[58:61], v8 offset:16672
	;; [unrolled: 1-line block ×3, first 2 shown]
	s_or_b32 s6, s18, 32
	s_mul_hi_i32 s7, s6, s8
	s_waitcnt lgkmcnt(3)
	v_pk_fma_f16 v66, v18, v22, v66 op_sel_hi:[1,0,1]
	v_pk_fma_f16 v67, v18, v22, v67 op_sel:[0,1,0]
	v_pk_fma_f16 v70, v18, v23, v70 op_sel_hi:[1,0,1]
	v_pk_fma_f16 v71, v18, v23, v71 op_sel:[0,1,0]
	;; [unrolled: 2-line block ×8, first 2 shown]
	s_waitcnt lgkmcnt(2)
	v_pk_fma_f16 v66, v20, v26, v66 op_sel_hi:[1,0,1]
	v_pk_fma_f16 v67, v20, v26, v67 op_sel:[0,1,0]
	v_pk_fma_f16 v69, v20, v27, v70 op_sel_hi:[1,0,1]
	v_pk_fma_f16 v70, v20, v27, v71 op_sel:[0,1,0]
	;; [unrolled: 2-line block ×6, first 2 shown]
	ds_read2_b64 v[22:25], v10 offset0:64 offset1:96
	v_pk_fma_f16 v72, v21, v28, v74 op_sel_hi:[1,0,1]
	v_pk_fma_f16 v28, v21, v28, v75 op_sel:[0,1,0]
	v_pk_fma_f16 v73, v21, v29, v76 op_sel_hi:[1,0,1]
	v_pk_fma_f16 v19, v21, v29, v19 op_sel:[0,1,0]
	s_waitcnt lgkmcnt(0)
	v_pk_fma_f16 v21, v22, v58, v66 op_sel_hi:[1,0,1]
	v_pk_fma_f16 v29, v22, v58, v67 op_sel:[0,1,0]
	v_pk_fma_f16 v66, v22, v59, v69 op_sel_hi:[1,0,1]
	v_pk_fma_f16 v67, v22, v59, v70 op_sel:[0,1,0]
	;; [unrolled: 2-line block ×10, first 2 shown]
	v_pk_fma_f16 v70, v24, v65, v18 op_sel:[0,1,0]
	v_pk_fma_f16 v71, v25, v62, v20 op_sel_hi:[1,0,1]
	v_pk_fma_f16 v72, v25, v63, v26 op_sel_hi:[1,0,1]
	v_pk_fma_f16 v63, v25, v63, v27 op_sel:[0,1,0]
	ds_read2_b64 v[18:21], v10 offset0:128 offset1:160
	ds_read_b128 v[26:29], v8 offset:16704
	v_pk_fma_f16 v69, v24, v64, v69 op_sel_hi:[1,0,1]
	v_pk_fma_f16 v30, v24, v64, v30 op_sel:[0,1,0]
	v_pk_fma_f16 v31, v24, v65, v31 op_sel_hi:[1,0,1]
	v_pk_fma_f16 v62, v25, v62, v22 op_sel:[0,1,0]
	;; [unrolled: 2-line block ×4, first 2 shown]
	ds_read_b128 v[22:25], v8 offset:16720
	s_waitcnt lgkmcnt(1)
	v_pk_fma_f16 v61, v18, v26, v61 op_sel_hi:[1,0,1]
	v_pk_fma_f16 v65, v18, v26, v68 op_sel:[0,1,0]
	v_pk_fma_f16 v66, v18, v27, v66 op_sel_hi:[1,0,1]
	v_pk_fma_f16 v67, v18, v27, v67 op_sel:[0,1,0]
	v_pk_fma_f16 v68, v18, v28, v69 op_sel_hi:[1,0,1]
	v_pk_fma_f16 v69, v19, v26, v71 op_sel_hi:[1,0,1]
	v_pk_fma_f16 v26, v19, v26, v62 op_sel:[0,1,0]
	v_pk_fma_f16 v62, v19, v27, v72 op_sel_hi:[1,0,1]
	v_pk_fma_f16 v27, v19, v27, v63 op_sel:[0,1,0]
	;; [unrolled: 2-line block ×4, first 2 shown]
	v_pk_fma_f16 v63, v19, v28, v59 op_sel:[0,1,0]
	v_pk_fma_f16 v70, v19, v29, v60 op_sel_hi:[1,0,1]
	v_pk_fma_f16 v19, v19, v29, v64 op_sel:[0,1,0]
	s_waitcnt lgkmcnt(0)
	v_pk_fma_f16 v64, v20, v22, v61 op_sel_hi:[1,0,1]
	v_pk_fma_f16 v65, v20, v22, v65 op_sel:[0,1,0]
	v_pk_fma_f16 v66, v20, v23, v66 op_sel_hi:[1,0,1]
	v_pk_fma_f16 v67, v20, v23, v67 op_sel:[0,1,0]
	;; [unrolled: 2-line block ×4, first 2 shown]
	v_pk_fma_f16 v72, v21, v24, v58 op_sel_hi:[1,0,1]
	ds_read2_b64 v[26:29], v10 offset0:192 offset1:224
	ds_read_b128 v[58:61], v8 offset:16736
	v_pk_fma_f16 v68, v20, v24, v68 op_sel_hi:[1,0,1]
	v_pk_fma_f16 v30, v20, v24, v30 op_sel:[0,1,0]
	v_pk_fma_f16 v31, v20, v25, v31 op_sel_hi:[1,0,1]
	v_pk_fma_f16 v71, v20, v25, v18 op_sel:[0,1,0]
	v_pk_fma_f16 v24, v21, v24, v63 op_sel:[0,1,0]
	v_pk_fma_f16 v63, v21, v25, v70 op_sel_hi:[1,0,1]
	v_pk_fma_f16 v25, v21, v25, v19 op_sel:[0,1,0]
	ds_read_b128 v[18:21], v8 offset:16752
	s_waitcnt lgkmcnt(1)
	v_pk_fma_f16 v64, v26, v58, v64 op_sel_hi:[1,0,1]
	v_pk_fma_f16 v65, v26, v58, v65 op_sel:[0,1,0]
	v_pk_fma_f16 v66, v26, v59, v66 op_sel_hi:[1,0,1]
	v_pk_fma_f16 v67, v26, v59, v67 op_sel:[0,1,0]
	;; [unrolled: 2-line block ×8, first 2 shown]
	s_waitcnt lgkmcnt(0)
	v_pk_fma_f16 v64, v28, v18, v64 op_sel_hi:[1,0,1]
	v_pk_fma_f16 v65, v28, v18, v65 op_sel:[0,1,0]
	v_pk_fma_f16 v66, v28, v19, v66 op_sel_hi:[1,0,1]
	v_pk_fma_f16 v67, v28, v19, v67 op_sel:[0,1,0]
	;; [unrolled: 2-line block ×6, first 2 shown]
	v_pk_fma_f16 v72, v29, v20, v59 op_sel_hi:[1,0,1]
	ds_read2_b64 v[22:25], v9 offset1:32
	ds_read_b128 v[58:61], v8 offset:16768
	v_pk_fma_f16 v62, v29, v20, v62 op_sel:[0,1,0]
	v_pk_fma_f16 v63, v29, v21, v63 op_sel_hi:[1,0,1]
	v_pk_fma_f16 v27, v29, v21, v27 op_sel:[0,1,0]
	ds_read_b128 v[18:21], v8 offset:16784
	s_waitcnt lgkmcnt(1)
	v_pk_fma_f16 v29, v22, v58, v64 op_sel_hi:[1,0,1]
	v_pk_fma_f16 v64, v22, v58, v65 op_sel:[0,1,0]
	v_pk_fma_f16 v65, v22, v59, v66 op_sel_hi:[1,0,1]
	v_pk_fma_f16 v66, v22, v59, v67 op_sel:[0,1,0]
	v_pk_fma_f16 v67, v22, v60, v68 op_sel_hi:[1,0,1]
	v_pk_fma_f16 v30, v22, v60, v30 op_sel:[0,1,0]
	v_pk_fma_f16 v31, v22, v61, v31 op_sel_hi:[1,0,1]
	v_pk_fma_f16 v22, v22, v61, v26 op_sel:[0,1,0]
	v_pk_fma_f16 v26, v23, v58, v28 op_sel_hi:[1,0,1]
	v_pk_fma_f16 v28, v23, v58, v69 op_sel:[0,1,0]
	v_pk_fma_f16 v58, v23, v59, v70 op_sel_hi:[1,0,1]
	v_pk_fma_f16 v59, v23, v59, v71 op_sel:[0,1,0]
	v_pk_fma_f16 v68, v23, v60, v72 op_sel_hi:[1,0,1]
	v_pk_fma_f16 v62, v23, v60, v62 op_sel:[0,1,0]
	v_pk_fma_f16 v63, v23, v61, v63 op_sel_hi:[1,0,1]
	v_pk_fma_f16 v23, v23, v61, v27 op_sel:[0,1,0]
	s_waitcnt lgkmcnt(0)
	v_pk_fma_f16 v69, v24, v18, v29 op_sel_hi:[1,0,1]
	v_pk_fma_f16 v64, v24, v18, v64 op_sel:[0,1,0]
	v_pk_fma_f16 v65, v24, v19, v65 op_sel_hi:[1,0,1]
	v_pk_fma_f16 v66, v24, v19, v66 op_sel:[0,1,0]
	;; [unrolled: 2-line block ×6, first 2 shown]
	ds_read2_b64 v[26:29], v9 offset0:64 offset1:96
	ds_read_b128 v[58:61], v8 offset:16800
	s_mul_i32 s6, s6, s8
	s_lshl_b64 s[6:7], s[6:7], 2
	v_add_co_u32_e32 v78, vcc, s6, v12
	s_waitcnt lgkmcnt(0)
	v_pk_fma_f16 v82, v26, v58, v69 op_sel_hi:[1,0,1]
	v_pk_fma_f16 v83, v26, v58, v64 op_sel:[0,1,0]
	v_pk_fma_f16 v84, v26, v59, v65 op_sel_hi:[1,0,1]
	v_pk_fma_f16 v85, v26, v59, v66 op_sel:[0,1,0]
	;; [unrolled: 2-line block ×4, first 2 shown]
	v_mov_b32_e32 v26, s7
	s_sub_i32 s10, s21, 32
	v_addc_co_u32_e32 v26, vcc, v13, v26, vcc
	v_pk_fma_f16 v68, v25, v20, v68 op_sel_hi:[1,0,1]
	v_pk_fma_f16 v62, v25, v20, v62 op_sel:[0,1,0]
	v_pk_fma_f16 v63, v25, v21, v63 op_sel_hi:[1,0,1]
	v_pk_fma_f16 v23, v25, v21, v23 op_sel:[0,1,0]
	v_cmp_gt_i32_e32 vcc, s10, v11
	ds_read_b128 v[18:21], v8 offset:16816
	v_pk_fma_f16 v95, v27, v58, v24 op_sel_hi:[1,0,1]
	v_pk_fma_f16 v96, v27, v58, v70 op_sel:[0,1,0]
	v_pk_fma_f16 v97, v27, v59, v71 op_sel_hi:[1,0,1]
	v_pk_fma_f16 v98, v27, v59, v72 op_sel:[0,1,0]
	v_pk_fma_f16 v99, v27, v60, v68 op_sel_hi:[1,0,1]
	v_pk_fma_f16 v100, v27, v60, v62 op_sel:[0,1,0]
	v_pk_fma_f16 v101, v27, v61, v63 op_sel_hi:[1,0,1]
	v_pk_fma_f16 v102, v27, v61, v23 op_sel:[0,1,0]
	ds_read2_b64 v[22:25], v9 offset0:128 offset1:160
	ds_read_b128 v[58:61], v8 offset:16832
	ds_read_b128 v[62:65], v8 offset:16848
	ds_read2_b64 v[66:69], v9 offset0:192 offset1:224
	ds_read_b128 v[70:73], v8 offset:16864
	ds_read_b128 v[74:77], v8 offset:16880
	s_waitcnt lgkmcnt(0)
	s_barrier
	buffer_store_dword v14, off, s[0:3], 0
	buffer_store_dword v14, off, s[0:3], 0 offset:8
	buffer_store_dword v14, off, s[0:3], 0 offset:4
	;; [unrolled: 1-line block ×3, first 2 shown]
	v_cndmask_b32_e32 v27, v15, v26, vcc
	v_cndmask_b32_e32 v26, v17, v78, vcc
	flat_load_dwordx4 v[78:81], v[26:27]
	v_pk_fma_f16 v26, v28, v18, v82 op_sel_hi:[1,0,1]
	v_pk_fma_f16 v27, v28, v18, v83 op_sel:[0,1,0]
	v_pk_fma_f16 v82, v28, v19, v84 op_sel_hi:[1,0,1]
	v_pk_fma_f16 v83, v28, v19, v85 op_sel:[0,1,0]
	;; [unrolled: 2-line block ×39, first 2 shown]
	v_pk_fma_f16 v84, v69, v77, v59 op_sel_hi:[1,0,1]
	s_waitcnt vmcnt(0) lgkmcnt(0)
	ds_write_b128 v16, v[78:81] offset:24576
	s_waitcnt lgkmcnt(0)
	s_barrier
	ds_read2_b64 v[18:21], v10 offset1:32
	ds_read_b128 v[22:25], v8 offset:16896
	v_pk_fma_f16 v69, v69, v77, v60 op_sel:[0,1,0]
	ds_read_b128 v[26:29], v8 offset:16912
	ds_read_b128 v[58:61], v8 offset:16928
	;; [unrolled: 1-line block ×3, first 2 shown]
	s_or_b32 s6, s18, 48
	s_mul_hi_i32 s7, s6, s8
	s_waitcnt lgkmcnt(3)
	v_pk_fma_f16 v66, v18, v22, v66 op_sel_hi:[1,0,1]
	v_pk_fma_f16 v67, v18, v22, v67 op_sel:[0,1,0]
	v_pk_fma_f16 v70, v18, v23, v70 op_sel_hi:[1,0,1]
	v_pk_fma_f16 v71, v18, v23, v71 op_sel:[0,1,0]
	;; [unrolled: 2-line block ×8, first 2 shown]
	s_waitcnt lgkmcnt(2)
	v_pk_fma_f16 v66, v20, v26, v66 op_sel_hi:[1,0,1]
	v_pk_fma_f16 v67, v20, v26, v67 op_sel:[0,1,0]
	v_pk_fma_f16 v69, v20, v27, v70 op_sel_hi:[1,0,1]
	v_pk_fma_f16 v70, v20, v27, v71 op_sel:[0,1,0]
	;; [unrolled: 2-line block ×6, first 2 shown]
	ds_read2_b64 v[22:25], v10 offset0:64 offset1:96
	v_pk_fma_f16 v72, v21, v28, v74 op_sel_hi:[1,0,1]
	v_pk_fma_f16 v28, v21, v28, v75 op_sel:[0,1,0]
	v_pk_fma_f16 v73, v21, v29, v76 op_sel_hi:[1,0,1]
	v_pk_fma_f16 v19, v21, v29, v19 op_sel:[0,1,0]
	s_waitcnt lgkmcnt(0)
	v_pk_fma_f16 v21, v22, v58, v66 op_sel_hi:[1,0,1]
	v_pk_fma_f16 v29, v22, v58, v67 op_sel:[0,1,0]
	v_pk_fma_f16 v66, v22, v59, v69 op_sel_hi:[1,0,1]
	v_pk_fma_f16 v67, v22, v59, v70 op_sel:[0,1,0]
	;; [unrolled: 2-line block ×10, first 2 shown]
	v_pk_fma_f16 v70, v24, v65, v18 op_sel:[0,1,0]
	v_pk_fma_f16 v71, v25, v62, v20 op_sel_hi:[1,0,1]
	v_pk_fma_f16 v72, v25, v63, v26 op_sel_hi:[1,0,1]
	v_pk_fma_f16 v63, v25, v63, v27 op_sel:[0,1,0]
	ds_read2_b64 v[18:21], v10 offset0:128 offset1:160
	ds_read_b128 v[26:29], v8 offset:16960
	v_pk_fma_f16 v69, v24, v64, v69 op_sel_hi:[1,0,1]
	v_pk_fma_f16 v30, v24, v64, v30 op_sel:[0,1,0]
	v_pk_fma_f16 v31, v24, v65, v31 op_sel_hi:[1,0,1]
	v_pk_fma_f16 v62, v25, v62, v22 op_sel:[0,1,0]
	;; [unrolled: 2-line block ×4, first 2 shown]
	ds_read_b128 v[22:25], v8 offset:16976
	s_waitcnt lgkmcnt(1)
	v_pk_fma_f16 v61, v18, v26, v61 op_sel_hi:[1,0,1]
	v_pk_fma_f16 v65, v18, v26, v68 op_sel:[0,1,0]
	v_pk_fma_f16 v66, v18, v27, v66 op_sel_hi:[1,0,1]
	v_pk_fma_f16 v67, v18, v27, v67 op_sel:[0,1,0]
	v_pk_fma_f16 v68, v18, v28, v69 op_sel_hi:[1,0,1]
	v_pk_fma_f16 v69, v19, v26, v71 op_sel_hi:[1,0,1]
	v_pk_fma_f16 v26, v19, v26, v62 op_sel:[0,1,0]
	v_pk_fma_f16 v62, v19, v27, v72 op_sel_hi:[1,0,1]
	v_pk_fma_f16 v27, v19, v27, v63 op_sel:[0,1,0]
	;; [unrolled: 2-line block ×4, first 2 shown]
	v_pk_fma_f16 v63, v19, v28, v59 op_sel:[0,1,0]
	v_pk_fma_f16 v70, v19, v29, v60 op_sel_hi:[1,0,1]
	v_pk_fma_f16 v19, v19, v29, v64 op_sel:[0,1,0]
	s_waitcnt lgkmcnt(0)
	v_pk_fma_f16 v64, v20, v22, v61 op_sel_hi:[1,0,1]
	v_pk_fma_f16 v65, v20, v22, v65 op_sel:[0,1,0]
	v_pk_fma_f16 v66, v20, v23, v66 op_sel_hi:[1,0,1]
	v_pk_fma_f16 v67, v20, v23, v67 op_sel:[0,1,0]
	;; [unrolled: 2-line block ×4, first 2 shown]
	v_pk_fma_f16 v72, v21, v24, v58 op_sel_hi:[1,0,1]
	ds_read2_b64 v[26:29], v10 offset0:192 offset1:224
	ds_read_b128 v[58:61], v8 offset:16992
	v_pk_fma_f16 v68, v20, v24, v68 op_sel_hi:[1,0,1]
	v_pk_fma_f16 v30, v20, v24, v30 op_sel:[0,1,0]
	v_pk_fma_f16 v31, v20, v25, v31 op_sel_hi:[1,0,1]
	v_pk_fma_f16 v71, v20, v25, v18 op_sel:[0,1,0]
	v_pk_fma_f16 v24, v21, v24, v63 op_sel:[0,1,0]
	v_pk_fma_f16 v63, v21, v25, v70 op_sel_hi:[1,0,1]
	v_pk_fma_f16 v25, v21, v25, v19 op_sel:[0,1,0]
	ds_read_b128 v[18:21], v8 offset:17008
	s_waitcnt lgkmcnt(1)
	v_pk_fma_f16 v64, v26, v58, v64 op_sel_hi:[1,0,1]
	v_pk_fma_f16 v65, v26, v58, v65 op_sel:[0,1,0]
	v_pk_fma_f16 v66, v26, v59, v66 op_sel_hi:[1,0,1]
	v_pk_fma_f16 v67, v26, v59, v67 op_sel:[0,1,0]
	;; [unrolled: 2-line block ×8, first 2 shown]
	s_waitcnt lgkmcnt(0)
	v_pk_fma_f16 v64, v28, v18, v64 op_sel_hi:[1,0,1]
	v_pk_fma_f16 v65, v28, v18, v65 op_sel:[0,1,0]
	v_pk_fma_f16 v66, v28, v19, v66 op_sel_hi:[1,0,1]
	v_pk_fma_f16 v67, v28, v19, v67 op_sel:[0,1,0]
	;; [unrolled: 2-line block ×6, first 2 shown]
	v_pk_fma_f16 v72, v29, v20, v59 op_sel_hi:[1,0,1]
	ds_read2_b64 v[22:25], v9 offset1:32
	ds_read_b128 v[58:61], v8 offset:17024
	v_pk_fma_f16 v62, v29, v20, v62 op_sel:[0,1,0]
	v_pk_fma_f16 v63, v29, v21, v63 op_sel_hi:[1,0,1]
	v_pk_fma_f16 v27, v29, v21, v27 op_sel:[0,1,0]
	ds_read_b128 v[18:21], v8 offset:17040
	s_waitcnt lgkmcnt(1)
	v_pk_fma_f16 v29, v22, v58, v64 op_sel_hi:[1,0,1]
	v_pk_fma_f16 v64, v22, v58, v65 op_sel:[0,1,0]
	v_pk_fma_f16 v65, v22, v59, v66 op_sel_hi:[1,0,1]
	v_pk_fma_f16 v66, v22, v59, v67 op_sel:[0,1,0]
	;; [unrolled: 2-line block ×8, first 2 shown]
	s_waitcnt lgkmcnt(0)
	v_pk_fma_f16 v69, v24, v18, v29 op_sel_hi:[1,0,1]
	v_pk_fma_f16 v64, v24, v18, v64 op_sel:[0,1,0]
	v_pk_fma_f16 v65, v24, v19, v65 op_sel_hi:[1,0,1]
	v_pk_fma_f16 v66, v24, v19, v66 op_sel:[0,1,0]
	;; [unrolled: 2-line block ×6, first 2 shown]
	ds_read2_b64 v[26:29], v9 offset0:64 offset1:96
	ds_read_b128 v[58:61], v8 offset:17056
	s_mul_i32 s6, s6, s8
	v_pk_fma_f16 v68, v25, v20, v68 op_sel_hi:[1,0,1]
	v_pk_fma_f16 v62, v25, v20, v62 op_sel:[0,1,0]
	v_pk_fma_f16 v63, v25, v21, v63 op_sel_hi:[1,0,1]
	v_pk_fma_f16 v23, v25, v21, v23 op_sel:[0,1,0]
	s_lshl_b64 s[6:7], s[6:7], 2
	ds_read_b128 v[18:21], v8 offset:17072
	s_waitcnt lgkmcnt(1)
	v_pk_fma_f16 v78, v26, v58, v69 op_sel_hi:[1,0,1]
	v_pk_fma_f16 v79, v26, v58, v64 op_sel:[0,1,0]
	v_pk_fma_f16 v80, v26, v59, v65 op_sel_hi:[1,0,1]
	v_pk_fma_f16 v81, v26, v59, v66 op_sel:[0,1,0]
	;; [unrolled: 2-line block ×8, first 2 shown]
	ds_read2_b64 v[22:25], v9 offset0:128 offset1:160
	ds_read_b128 v[58:61], v8 offset:17088
	ds_read_b128 v[62:65], v8 offset:17104
	ds_read2_b64 v[66:69], v9 offset0:192 offset1:224
	ds_read_b128 v[70:73], v8 offset:17120
	ds_read_b128 v[74:77], v8 offset:17136
	s_waitcnt lgkmcnt(0)
	s_barrier
	buffer_store_dword v14, off, s[0:3], 0
	buffer_store_dword v14, off, s[0:3], 0 offset:8
	buffer_store_dword v14, off, s[0:3], 0 offset:4
	;; [unrolled: 1-line block ×3, first 2 shown]
	v_mov_b32_e32 v14, s7
	v_add_co_u32_e32 v12, vcc, s6, v12
	s_sub_i32 s8, s21, 48
	v_addc_co_u32_e32 v13, vcc, v13, v14, vcc
	v_cmp_gt_i32_e32 vcc, s8, v11
	v_cndmask_b32_e32 v13, v15, v13, vcc
	v_cndmask_b32_e32 v12, v17, v12, vcc
	flat_load_dwordx4 v[12:15], v[12:13]
	v_pk_fma_f16 v11, v28, v18, v78 op_sel_hi:[1,0,1]
	v_pk_fma_f16 v17, v28, v18, v79 op_sel:[0,1,0]
	v_pk_fma_f16 v78, v28, v19, v80 op_sel_hi:[1,0,1]
	v_pk_fma_f16 v79, v28, v19, v81 op_sel:[0,1,0]
	;; [unrolled: 2-line block ×12, first 2 shown]
	v_pk_fma_f16 v18, v23, v58, v18 op_sel:[0,1,0]
	v_pk_fma_f16 v19, v23, v59, v19 op_sel:[0,1,0]
	v_pk_fma_f16 v26, v23, v58, v28 op_sel_hi:[1,0,1]
	v_pk_fma_f16 v28, v23, v59, v81 op_sel_hi:[1,0,1]
	;; [unrolled: 1-line block ×3, first 2 shown]
	v_pk_fma_f16 v20, v23, v60, v20 op_sel:[0,1,0]
	v_pk_fma_f16 v59, v23, v61, v83 op_sel_hi:[1,0,1]
	v_pk_fma_f16 v21, v23, v61, v21 op_sel:[0,1,0]
	v_pk_fma_f16 v11, v24, v62, v11 op_sel_hi:[1,0,1]
	v_pk_fma_f16 v17, v24, v62, v17 op_sel:[0,1,0]
	v_pk_fma_f16 v23, v24, v63, v27 op_sel_hi:[1,0,1]
	v_pk_fma_f16 v27, v24, v63, v29 op_sel:[0,1,0]
	v_pk_fma_f16 v29, v24, v64, v78 op_sel_hi:[1,0,1]
	v_pk_fma_f16 v30, v24, v64, v30 op_sel:[0,1,0]
	v_pk_fma_f16 v31, v24, v65, v31 op_sel_hi:[1,0,1]
	v_pk_fma_f16 v22, v24, v65, v22 op_sel:[0,1,0]
	v_pk_fma_f16 v18, v25, v62, v18 op_sel:[0,1,0]
	;; [unrolled: 1-line block ×3, first 2 shown]
	v_pk_fma_f16 v24, v25, v62, v26 op_sel_hi:[1,0,1]
	v_pk_fma_f16 v26, v25, v63, v28 op_sel_hi:[1,0,1]
	;; [unrolled: 1-line block ×3, first 2 shown]
	v_pk_fma_f16 v20, v25, v64, v20 op_sel:[0,1,0]
	v_pk_fma_f16 v58, v25, v65, v59 op_sel_hi:[1,0,1]
	v_pk_fma_f16 v21, v25, v65, v21 op_sel:[0,1,0]
	v_pk_fma_f16 v11, v66, v70, v11 op_sel_hi:[1,0,1]
	;; [unrolled: 2-line block ×5, first 2 shown]
	v_pk_fma_f16 v22, v66, v73, v22 op_sel:[0,1,0]
	v_pk_fma_f16 v18, v67, v70, v18 op_sel:[0,1,0]
	;; [unrolled: 1-line block ×3, first 2 shown]
	v_pk_fma_f16 v31, v67, v73, v58 op_sel_hi:[1,0,1]
	v_pk_fma_f16 v11, v68, v74, v11 op_sel_hi:[1,0,1]
	v_pk_fma_f16 v58, v68, v74, v17 op_sel:[0,1,0]
	v_pk_fma_f16 v59, v68, v75, v23 op_sel_hi:[1,0,1]
	v_pk_fma_f16 v60, v68, v75, v25 op_sel:[0,1,0]
	;; [unrolled: 2-line block ×4, first 2 shown]
	v_pk_fma_f16 v66, v69, v74, v18 op_sel:[0,1,0]
	v_pk_fma_f16 v68, v69, v75, v19 op_sel:[0,1,0]
	v_pk_fma_f16 v24, v67, v70, v24 op_sel_hi:[1,0,1]
	v_pk_fma_f16 v26, v67, v71, v26 op_sel_hi:[1,0,1]
	;; [unrolled: 1-line block ×3, first 2 shown]
	v_pk_fma_f16 v20, v67, v72, v20 op_sel:[0,1,0]
	v_pk_fma_f16 v21, v67, v73, v21 op_sel:[0,1,0]
	v_pk_fma_f16 v65, v69, v74, v24 op_sel_hi:[1,0,1]
	v_pk_fma_f16 v67, v69, v75, v26 op_sel_hi:[1,0,1]
	v_pk_fma_f16 v70, v69, v76, v28 op_sel_hi:[1,0,1]
	v_pk_fma_f16 v71, v69, v76, v20 op_sel:[0,1,0]
	v_pk_fma_f16 v72, v69, v77, v31 op_sel_hi:[1,0,1]
	s_waitcnt vmcnt(0) lgkmcnt(0)
	ds_write_b128 v16, v[12:15] offset:24576
	s_waitcnt lgkmcnt(0)
	s_barrier
	ds_read2_b64 v[12:15], v10 offset1:32
	ds_read_b128 v[16:19], v8 offset:17152
	v_pk_fma_f16 v69, v69, v77, v21 op_sel:[0,1,0]
	ds_read_b128 v[20:23], v8 offset:17168
	ds_read_b128 v[24:27], v8 offset:17184
	ds_read_b128 v[28:31], v8 offset:17200
	s_waitcnt lgkmcnt(3)
	v_pk_fma_f16 v11, v12, v16, v11 op_sel_hi:[1,0,1]
	v_pk_fma_f16 v58, v12, v16, v58 op_sel:[0,1,0]
	v_pk_fma_f16 v59, v12, v17, v59 op_sel_hi:[1,0,1]
	v_pk_fma_f16 v60, v12, v17, v60 op_sel:[0,1,0]
	;; [unrolled: 2-line block ×8, first 2 shown]
	s_waitcnt lgkmcnt(2)
	v_pk_fma_f16 v11, v14, v20, v11 op_sel_hi:[1,0,1]
	v_pk_fma_f16 v58, v14, v20, v58 op_sel:[0,1,0]
	v_pk_fma_f16 v59, v14, v21, v59 op_sel_hi:[1,0,1]
	v_pk_fma_f16 v60, v14, v21, v60 op_sel:[0,1,0]
	;; [unrolled: 2-line block ×6, first 2 shown]
	ds_read2_b64 v[16:19], v10 offset0:64 offset1:96
	v_pk_fma_f16 v65, v15, v22, v66 op_sel_hi:[1,0,1]
	v_pk_fma_f16 v22, v15, v22, v67 op_sel:[0,1,0]
	v_pk_fma_f16 v66, v15, v23, v68 op_sel_hi:[1,0,1]
	v_pk_fma_f16 v13, v15, v23, v13 op_sel:[0,1,0]
	s_waitcnt lgkmcnt(0)
	v_pk_fma_f16 v11, v16, v24, v11 op_sel_hi:[1,0,1]
	v_pk_fma_f16 v15, v16, v24, v58 op_sel:[0,1,0]
	v_pk_fma_f16 v23, v16, v25, v59 op_sel_hi:[1,0,1]
	v_pk_fma_f16 v58, v16, v25, v60 op_sel:[0,1,0]
	;; [unrolled: 2-line block ×8, first 2 shown]
	v_pk_fma_f16 v27, v18, v28, v15 op_sel:[0,1,0]
	v_pk_fma_f16 v62, v18, v29, v23 op_sel_hi:[1,0,1]
	v_pk_fma_f16 v58, v18, v29, v58 op_sel:[0,1,0]
	v_pk_fma_f16 v63, v18, v31, v12 op_sel:[0,1,0]
	v_pk_fma_f16 v64, v19, v28, v14 op_sel_hi:[1,0,1]
	v_pk_fma_f16 v65, v19, v29, v20 op_sel_hi:[1,0,1]
	v_pk_fma_f16 v29, v19, v29, v21 op_sel:[0,1,0]
	ds_read2_b64 v[12:15], v10 offset0:128 offset1:160
	ds_read_b128 v[20:23], v8 offset:17216
	v_pk_fma_f16 v11, v18, v28, v11 op_sel_hi:[1,0,1]
	v_pk_fma_f16 v59, v18, v30, v59 op_sel_hi:[1,0,1]
	v_pk_fma_f16 v60, v18, v30, v60 op_sel:[0,1,0]
	v_pk_fma_f16 v61, v18, v31, v61 op_sel_hi:[1,0,1]
	v_pk_fma_f16 v28, v19, v28, v16 op_sel:[0,1,0]
	;; [unrolled: 2-line block ×4, first 2 shown]
	ds_read_b128 v[16:19], v8 offset:17232
	s_waitcnt lgkmcnt(1)
	v_pk_fma_f16 v11, v12, v20, v11 op_sel_hi:[1,0,1]
	v_pk_fma_f16 v27, v12, v20, v27 op_sel:[0,1,0]
	v_pk_fma_f16 v31, v12, v21, v62 op_sel_hi:[1,0,1]
	v_pk_fma_f16 v58, v12, v21, v58 op_sel:[0,1,0]
	v_pk_fma_f16 v59, v12, v22, v59 op_sel_hi:[1,0,1]
	v_pk_fma_f16 v60, v12, v22, v60 op_sel:[0,1,0]
	v_pk_fma_f16 v61, v12, v23, v61 op_sel_hi:[1,0,1]
	v_pk_fma_f16 v12, v12, v23, v63 op_sel:[0,1,0]
	v_pk_fma_f16 v62, v13, v20, v64 op_sel_hi:[1,0,1]
	v_pk_fma_f16 v20, v13, v20, v28 op_sel:[0,1,0]
	v_pk_fma_f16 v28, v13, v21, v65 op_sel_hi:[1,0,1]
	v_pk_fma_f16 v21, v13, v21, v29 op_sel:[0,1,0]
	v_pk_fma_f16 v24, v13, v22, v24 op_sel_hi:[1,0,1]
	v_pk_fma_f16 v25, v13, v22, v25 op_sel:[0,1,0]
	v_pk_fma_f16 v26, v13, v23, v26 op_sel_hi:[1,0,1]
	v_pk_fma_f16 v29, v13, v23, v30 op_sel:[0,1,0]
	s_waitcnt lgkmcnt(0)
	v_pk_fma_f16 v30, v14, v16, v11 op_sel_hi:[1,0,1]
	v_pk_fma_f16 v63, v14, v19, v12 op_sel:[0,1,0]
	v_pk_fma_f16 v64, v15, v16, v20 op_sel:[0,1,0]
	;; [unrolled: 1-line block ×3, first 2 shown]
	ds_read2_b64 v[10:13], v10 offset0:192 offset1:224
	ds_read_b128 v[20:23], v8 offset:17248
	v_pk_fma_f16 v27, v14, v16, v27 op_sel:[0,1,0]
	v_pk_fma_f16 v31, v14, v17, v31 op_sel_hi:[1,0,1]
	v_pk_fma_f16 v58, v14, v17, v58 op_sel:[0,1,0]
	v_pk_fma_f16 v59, v14, v18, v59 op_sel_hi:[1,0,1]
	;; [unrolled: 2-line block ×3, first 2 shown]
	v_pk_fma_f16 v62, v15, v16, v62 op_sel_hi:[1,0,1]
	v_pk_fma_f16 v28, v15, v17, v28 op_sel_hi:[1,0,1]
	;; [unrolled: 1-line block ×3, first 2 shown]
	v_pk_fma_f16 v18, v15, v18, v25 op_sel:[0,1,0]
	v_pk_fma_f16 v25, v15, v19, v26 op_sel_hi:[1,0,1]
	v_pk_fma_f16 v19, v15, v19, v29 op_sel:[0,1,0]
	ds_read_b128 v[14:17], v8 offset:17264
	s_waitcnt lgkmcnt(1)
	v_pk_fma_f16 v26, v10, v20, v30 op_sel_hi:[1,0,1]
	v_pk_fma_f16 v27, v10, v20, v27 op_sel:[0,1,0]
	v_pk_fma_f16 v29, v10, v21, v31 op_sel_hi:[1,0,1]
	v_pk_fma_f16 v30, v10, v21, v58 op_sel:[0,1,0]
	v_pk_fma_f16 v58, v10, v22, v60 op_sel:[0,1,0]
	v_pk_fma_f16 v60, v11, v20, v62 op_sel_hi:[1,0,1]
	v_pk_fma_f16 v20, v11, v20, v64 op_sel:[0,1,0]
	v_pk_fma_f16 v28, v11, v21, v28 op_sel_hi:[1,0,1]
	;; [unrolled: 2-line block ×3, first 2 shown]
	v_pk_fma_f16 v31, v10, v22, v59 op_sel_hi:[1,0,1]
	v_pk_fma_f16 v59, v10, v23, v61 op_sel_hi:[1,0,1]
	v_pk_fma_f16 v10, v10, v23, v63 op_sel:[0,1,0]
	v_pk_fma_f16 v61, v11, v22, v18 op_sel:[0,1,0]
	v_pk_fma_f16 v62, v11, v23, v25 op_sel_hi:[1,0,1]
	v_pk_fma_f16 v11, v11, v23, v19 op_sel:[0,1,0]
	s_waitcnt lgkmcnt(0)
	v_pk_fma_f16 v26, v12, v14, v26 op_sel_hi:[1,0,1]
	v_pk_fma_f16 v27, v12, v14, v27 op_sel:[0,1,0]
	v_pk_fma_f16 v29, v12, v15, v29 op_sel_hi:[1,0,1]
	v_pk_fma_f16 v30, v12, v15, v30 op_sel:[0,1,0]
	;; [unrolled: 2-line block ×4, first 2 shown]
	v_pk_fma_f16 v64, v13, v16, v24 op_sel_hi:[1,0,1]
	ds_read2_b64 v[18:21], v9 offset1:32
	ds_read_b128 v[22:25], v8 offset:17280
	v_pk_fma_f16 v31, v12, v16, v31 op_sel_hi:[1,0,1]
	v_pk_fma_f16 v58, v12, v16, v58 op_sel:[0,1,0]
	v_pk_fma_f16 v59, v12, v17, v59 op_sel_hi:[1,0,1]
	v_pk_fma_f16 v63, v12, v17, v10 op_sel:[0,1,0]
	v_pk_fma_f16 v16, v13, v16, v61 op_sel:[0,1,0]
	v_pk_fma_f16 v61, v13, v17, v62 op_sel_hi:[1,0,1]
	v_pk_fma_f16 v17, v13, v17, v11 op_sel:[0,1,0]
	ds_read_b128 v[10:13], v8 offset:17296
	s_waitcnt lgkmcnt(1)
	v_pk_fma_f16 v26, v18, v22, v26 op_sel_hi:[1,0,1]
	v_pk_fma_f16 v27, v18, v22, v27 op_sel:[0,1,0]
	v_pk_fma_f16 v29, v18, v23, v29 op_sel_hi:[1,0,1]
	v_pk_fma_f16 v30, v18, v23, v30 op_sel:[0,1,0]
	v_pk_fma_f16 v31, v18, v24, v31 op_sel_hi:[1,0,1]
	v_pk_fma_f16 v58, v18, v24, v58 op_sel:[0,1,0]
	v_pk_fma_f16 v59, v18, v25, v59 op_sel_hi:[1,0,1]
	v_pk_fma_f16 v18, v18, v25, v63 op_sel:[0,1,0]
	v_pk_fma_f16 v60, v19, v22, v60 op_sel_hi:[1,0,1]
	v_pk_fma_f16 v14, v19, v22, v14 op_sel:[0,1,0]
	v_pk_fma_f16 v22, v19, v23, v28 op_sel_hi:[1,0,1]
	v_pk_fma_f16 v15, v19, v23, v15 op_sel:[0,1,0]
	v_pk_fma_f16 v23, v19, v24, v64 op_sel_hi:[1,0,1]
	v_pk_fma_f16 v28, v19, v24, v16 op_sel:[0,1,0]
	v_pk_fma_f16 v61, v19, v25, v61 op_sel_hi:[1,0,1]
	v_pk_fma_f16 v19, v19, v25, v17 op_sel:[0,1,0]
	s_waitcnt lgkmcnt(0)
	v_pk_fma_f16 v26, v20, v10, v26 op_sel_hi:[1,0,1]
	v_pk_fma_f16 v27, v20, v10, v27 op_sel:[0,1,0]
	v_pk_fma_f16 v29, v20, v11, v29 op_sel_hi:[1,0,1]
	v_pk_fma_f16 v30, v20, v11, v30 op_sel:[0,1,0]
	;; [unrolled: 2-line block ×6, first 2 shown]
	v_pk_fma_f16 v64, v21, v12, v23 op_sel_hi:[1,0,1]
	ds_read2_b64 v[14:17], v9 offset0:64 offset1:96
	ds_read_b128 v[22:25], v8 offset:17312
	v_pk_fma_f16 v28, v21, v12, v28 op_sel:[0,1,0]
	v_pk_fma_f16 v61, v21, v13, v61 op_sel_hi:[1,0,1]
	v_pk_fma_f16 v19, v21, v13, v19 op_sel:[0,1,0]
	ds_read_b128 v[10:13], v8 offset:17328
	s_waitcnt lgkmcnt(1)
	v_pk_fma_f16 v21, v14, v22, v26 op_sel_hi:[1,0,1]
	v_pk_fma_f16 v26, v14, v22, v27 op_sel:[0,1,0]
	v_pk_fma_f16 v27, v14, v23, v29 op_sel_hi:[1,0,1]
	v_pk_fma_f16 v29, v14, v23, v30 op_sel:[0,1,0]
	;; [unrolled: 2-line block ×8, first 2 shown]
	s_waitcnt lgkmcnt(0)
	v_pk_fma_f16 v61, v16, v10, v21 op_sel_hi:[1,0,1]
	v_pk_fma_f16 v26, v16, v10, v26 op_sel:[0,1,0]
	v_pk_fma_f16 v27, v16, v11, v27 op_sel_hi:[1,0,1]
	v_pk_fma_f16 v29, v16, v11, v29 op_sel:[0,1,0]
	;; [unrolled: 2-line block ×6, first 2 shown]
	ds_read2_b64 v[18:21], v9 offset0:128 offset1:160
	ds_read_b128 v[22:25], v8 offset:17344
	v_pk_fma_f16 v59, v17, v12, v59 op_sel_hi:[1,0,1]
	v_pk_fma_f16 v28, v17, v12, v28 op_sel:[0,1,0]
	v_pk_fma_f16 v60, v17, v13, v60 op_sel_hi:[1,0,1]
	v_pk_fma_f16 v15, v17, v13, v15 op_sel:[0,1,0]
	ds_read_b128 v[10:13], v8 offset:17360
	s_waitcnt lgkmcnt(1)
	v_pk_fma_f16 v17, v18, v22, v61 op_sel_hi:[1,0,1]
	v_pk_fma_f16 v26, v18, v22, v26 op_sel:[0,1,0]
	v_pk_fma_f16 v27, v18, v23, v27 op_sel_hi:[1,0,1]
	v_pk_fma_f16 v29, v18, v23, v29 op_sel:[0,1,0]
	;; [unrolled: 2-line block ×8, first 2 shown]
	s_waitcnt lgkmcnt(0)
	v_pk_fma_f16 v61, v20, v10, v17 op_sel_hi:[1,0,1]
	v_pk_fma_f16 v26, v20, v10, v26 op_sel:[0,1,0]
	v_pk_fma_f16 v27, v20, v11, v27 op_sel_hi:[1,0,1]
	v_pk_fma_f16 v29, v20, v11, v29 op_sel:[0,1,0]
	;; [unrolled: 2-line block ×4, first 2 shown]
	v_pk_fma_f16 v62, v21, v10, v16 op_sel_hi:[1,0,1]
	v_pk_fma_f16 v63, v21, v11, v22 op_sel_hi:[1,0,1]
	v_pk_fma_f16 v64, v21, v11, v23 op_sel:[0,1,0]
	ds_read2_b64 v[14:17], v9 offset0:192 offset1:224
	ds_read_b128 v[22:25], v8 offset:17376
	v_pk_fma_f16 v18, v21, v10, v18 op_sel:[0,1,0]
	ds_read_b128 v[8:11], v8 offset:17392
	v_pk_fma_f16 v59, v21, v12, v59 op_sel_hi:[1,0,1]
	v_pk_fma_f16 v12, v21, v12, v28 op_sel:[0,1,0]
	v_pk_fma_f16 v28, v21, v13, v60 op_sel_hi:[1,0,1]
	v_pk_fma_f16 v13, v21, v13, v19 op_sel:[0,1,0]
	s_waitcnt lgkmcnt(1)
	v_pk_fma_f16 v19, v14, v22, v61 op_sel_hi:[1,0,1]
	v_pk_fma_f16 v21, v14, v22, v26 op_sel:[0,1,0]
	v_pk_fma_f16 v26, v14, v23, v27 op_sel_hi:[1,0,1]
	v_pk_fma_f16 v27, v14, v23, v29 op_sel:[0,1,0]
	;; [unrolled: 2-line block ×8, first 2 shown]
	s_waitcnt lgkmcnt(0)
	v_pk_fma_f16 v82, v16, v8, v19 op_sel_hi:[1,0,1]
	v_pk_fma_f16 v79, v16, v8, v21 op_sel:[0,1,0]
	v_pk_fma_f16 v76, v16, v9, v26 op_sel_hi:[1,0,1]
	v_pk_fma_f16 v70, v16, v9, v27 op_sel:[0,1,0]
	;; [unrolled: 2-line block ×8, first 2 shown]
	v_pk_mov_b32 v[24:25], v[32:33], v[32:33] op_sel:[0,1]
	v_pk_mov_b32 v[22:23], v[6:7], v[6:7] op_sel:[0,1]
	;; [unrolled: 1-line block ×8, first 2 shown]
	s_barrier
.LBB86_263:
	v_cmp_lt_i32_e32 vcc, v90, v88
	v_cndmask_b32_e32 v0, v87, v90, vcc
	v_lshlrev_b32_e32 v9, 2, v0
	ds_bpermute_b32 v4, v9, v18
	ds_bpermute_b32 v5, v9, v19
	;; [unrolled: 1-line block ×4, first 2 shown]
	v_cmp_lt_i32_e32 vcc, v93, v88
	v_cndmask_b32_e32 v2, v87, v93, vcc
	v_cmp_lt_i32_e32 vcc, v91, v88
	v_lshlrev_b32_e32 v15, 2, v2
	v_cndmask_b32_e32 v2, v87, v91, vcc
	v_cmp_lt_i32_e32 vcc, v92, v88
	v_cndmask_b32_e32 v6, v87, v92, vcc
	s_waitcnt lgkmcnt(2)
	v_pk_add_f32 v[4:5], v[18:19], v[4:5]
	s_waitcnt lgkmcnt(0)
	v_pk_add_f32 v[0:1], v[16:17], v[0:1]
	v_lshlrev_b32_e32 v17, 2, v6
	ds_bpermute_b32 v6, v15, v4
	ds_bpermute_b32 v7, v15, v5
	v_lshlrev_b32_e32 v32, 2, v2
	ds_bpermute_b32 v10, v9, v22
	ds_bpermute_b32 v11, v9, v23
	v_cmp_lt_i32_e32 vcc, v89, v88
	s_waitcnt lgkmcnt(2)
	v_pk_add_f32 v[4:5], v[4:5], v[6:7]
	ds_bpermute_b32 v6, v32, v4
	ds_bpermute_b32 v7, v32, v5
	s_waitcnt lgkmcnt(2)
	v_pk_add_f32 v[10:11], v[22:23], v[10:11]
	ds_bpermute_b32 v2, v15, v0
	ds_bpermute_b32 v3, v15, v1
	v_cndmask_b32_e32 v8, v87, v89, vcc
	s_waitcnt lgkmcnt(2)
	v_pk_add_f32 v[4:5], v[4:5], v[6:7]
	ds_bpermute_b32 v6, v9, v20
	ds_bpermute_b32 v7, v9, v21
	;; [unrolled: 1-line block ×3, first 2 shown]
	v_lshlrev_b32_e32 v33, 2, v8
	ds_bpermute_b32 v8, v17, v4
	ds_bpermute_b32 v9, v17, v5
	s_waitcnt lgkmcnt(3)
	v_pk_add_f32 v[6:7], v[20:21], v[6:7]
	ds_bpermute_b32 v12, v15, v6
	ds_bpermute_b32 v13, v15, v7
	;; [unrolled: 1-line block ×3, first 2 shown]
	v_pk_add_f32 v[0:1], v[0:1], v[2:3]
	ds_bpermute_b32 v2, v32, v0
	ds_bpermute_b32 v3, v32, v1
	s_waitcnt lgkmcnt(3)
	v_pk_add_f32 v[6:7], v[6:7], v[12:13]
	s_waitcnt lgkmcnt(2)
	v_pk_add_f32 v[10:11], v[10:11], v[14:15]
	v_pk_add_f32 v[4:5], v[4:5], v[8:9]
	ds_bpermute_b32 v8, v32, v6
	ds_bpermute_b32 v9, v32, v7
	;; [unrolled: 1-line block ×4, first 2 shown]
	s_waitcnt lgkmcnt(4)
	v_pk_add_f32 v[0:1], v[0:1], v[2:3]
	ds_bpermute_b32 v2, v17, v0
	s_waitcnt lgkmcnt(3)
	v_pk_add_f32 v[6:7], v[6:7], v[8:9]
	ds_bpermute_b32 v3, v17, v1
	;; [unrolled: 3-line block ×3, first 2 shown]
	ds_bpermute_b32 v9, v17, v7
	ds_bpermute_b32 v12, v17, v10
	;; [unrolled: 1-line block ×3, first 2 shown]
	s_waitcnt lgkmcnt(4)
	v_pk_add_f32 v[0:1], v[0:1], v[2:3]
	ds_bpermute_b32 v2, v33, v0
	s_waitcnt lgkmcnt(3)
	v_pk_add_f32 v[6:7], v[6:7], v[8:9]
	ds_bpermute_b32 v3, v33, v1
	;; [unrolled: 3-line block ×3, first 2 shown]
	ds_bpermute_b32 v17, v33, v5
	ds_bpermute_b32 v8, v33, v6
	ds_bpermute_b32 v9, v33, v7
	ds_bpermute_b32 v20, v33, v18
	ds_bpermute_b32 v21, v33, v19
	s_cmp_eq_u64 s[24:25], 0
	s_cselect_b64 s[6:7], -1, 0
	s_cmp_lg_u32 s9, 0
	s_cselect_b64 s[10:11], -1, 0
	s_or_b64 s[6:7], s[10:11], s[6:7]
	s_waitcnt lgkmcnt(6)
	v_pk_add_f32 v[14:15], v[0:1], v[2:3]
	s_waitcnt lgkmcnt(4)
	v_pk_add_f32 v[12:13], v[4:5], v[16:17]
	;; [unrolled: 2-line block ×4, first 2 shown]
	s_and_b64 vcc, exec, s[6:7]
	s_cbranch_vccnz .LBB86_265
; %bb.264:
	s_lshl_b64 s[6:7], s[34:35], 2
	s_add_u32 s6, s24, s6
	s_addc_u32 s7, s25, s7
	v_mov_b32_e32 v0, 0
	global_load_dword v16, v0, s[6:7]
	v_max_f32_e32 v0, v25, v25
	v_max_f32_e32 v2, v24, v24
	;; [unrolled: 1-line block ×4, first 2 shown]
	s_mov_b32 s8, 0x3fb8aa3b
	s_mov_b32 s7, 0xc2ce8ed0
	s_mov_b32 s6, 0x42b17218
	v_mov_b32_e32 v20, 0x7f800000
	s_waitcnt vmcnt(0)
	v_max_f32_e32 v17, v16, v16
	v_max_f32_e32 v1, v0, v17
	;; [unrolled: 1-line block ×4, first 2 shown]
	v_pk_add_f32 v[4:5], v[24:25], v[0:1] neg_lo:[0,1] neg_hi:[0,1]
	v_max_f32_e32 v3, v3, v17
	v_mul_f32_e32 v21, 0x3fb8aa3b, v5
	v_pk_add_f32 v[6:7], v[16:17], v[0:1] op_sel_hi:[0,1] neg_lo:[0,1] neg_hi:[0,1]
	v_pk_add_f32 v[18:19], v[26:27], v[2:3] neg_lo:[0,1] neg_hi:[0,1]
	v_mul_f32_e32 v22, 0x3fb8aa3b, v4
	v_fma_f32 v27, v5, s8, -v21
	v_rndne_f32_e32 v32, v21
	v_mul_f32_e32 v23, 0x3fb8aa3b, v7
	v_fma_f32 v33, v4, s8, -v22
	v_rndne_f32_e32 v34, v22
	v_fmac_f32_e32 v27, 0x32a5705f, v5
	v_sub_f32_e32 v21, v21, v32
	v_mul_f32_e32 v24, 0x3fb8aa3b, v6
	v_fma_f32 v35, v7, s8, -v23
	v_rndne_f32_e32 v36, v23
	v_fmac_f32_e32 v33, 0x32a5705f, v4
	v_sub_f32_e32 v22, v22, v34
	v_add_f32_e32 v21, v21, v27
	v_mul_f32_e32 v25, 0x3fb8aa3b, v19
	v_fma_f32 v37, v6, s8, -v24
	v_rndne_f32_e32 v38, v24
	v_cvt_i32_f32_e32 v32, v32
	v_fmac_f32_e32 v35, 0x32a5705f, v7
	v_sub_f32_e32 v23, v23, v36
	v_add_f32_e32 v22, v22, v33
	v_exp_f32_e32 v21, v21
	v_mul_f32_e32 v26, 0x3fb8aa3b, v18
	v_fma_f32 v39, v19, s8, -v25
	v_rndne_f32_e32 v58, v25
	v_cvt_i32_f32_e32 v34, v34
	v_fmac_f32_e32 v37, 0x32a5705f, v6
	v_sub_f32_e32 v24, v24, v38
	v_add_f32_e32 v23, v23, v35
	v_exp_f32_e32 v22, v22
	v_fma_f32 v59, v18, s8, -v26
	v_rndne_f32_e32 v60, v26
	v_cvt_i32_f32_e32 v36, v36
	v_fmac_f32_e32 v39, 0x32a5705f, v19
	v_sub_f32_e32 v25, v25, v58
	v_add_f32_e32 v24, v24, v37
	v_exp_f32_e32 v23, v23
	v_cvt_i32_f32_e32 v38, v38
	v_fmac_f32_e32 v59, 0x32a5705f, v18
	v_sub_f32_e32 v26, v26, v60
	v_add_f32_e32 v25, v25, v39
	v_exp_f32_e32 v24, v24
	v_cvt_i32_f32_e32 v58, v58
	v_add_f32_e32 v26, v26, v59
	v_exp_f32_e32 v25, v25
	v_ldexp_f32 v21, v21, v32
	v_cmp_ngt_f32_e32 vcc, s7, v5
	v_cvt_i32_f32_e32 v60, v60
	v_exp_f32_e32 v26, v26
	v_ldexp_f32 v22, v22, v34
	v_cndmask_b32_e32 v21, 0, v21, vcc
	v_cmp_ngt_f32_e32 vcc, s7, v4
	v_ldexp_f32 v23, v23, v36
	v_cndmask_b32_e32 v22, 0, v22, vcc
	v_cmp_ngt_f32_e32 vcc, s7, v7
	;; [unrolled: 3-line block ×5, first 2 shown]
	v_cndmask_b32_e32 v26, 0, v26, vcc
	v_cmp_nlt_f32_e32 vcc, s6, v5
	v_cndmask_b32_e32 v5, v20, v21, vcc
	v_cmp_nlt_f32_e32 vcc, s6, v4
	;; [unrolled: 2-line block ×3, first 2 shown]
	v_cndmask_b32_e32 v7, v20, v23, vcc
	v_cvt_f16_f32_e32 v21, v4
	v_cmp_nlt_f32_e32 vcc, s6, v6
	v_cvt_f16_f32_e32 v22, v5
	v_cndmask_b32_e32 v6, v20, v24, vcc
	v_pk_fma_f32 v[14:15], v[14:15], v[4:5], v[6:7]
	v_pk_add_f32 v[6:7], v[16:17], v[2:3] op_sel_hi:[0,1] neg_lo:[0,1] neg_hi:[0,1]
	v_mul_f32_e32 v5, 0x3fb8aa3b, v7
	v_pk_mul_f16 v82, v21, v82 op_sel_hi:[0,1]
	v_pk_mul_f16 v83, v21, v83 op_sel_hi:[0,1]
	;; [unrolled: 1-line block ×4, first 2 shown]
	v_fma_f32 v21, v7, s8, -v5
	v_rndne_f32_e32 v22, v5
	v_cmp_nlt_f32_e32 vcc, s6, v18
	v_fmac_f32_e32 v21, 0x32a5705f, v7
	v_sub_f32_e32 v5, v5, v22
	v_cndmask_b32_e32 v4, v20, v26, vcc
	v_add_f32_e32 v5, v5, v21
	v_cvt_f16_f32_e32 v18, v4
	v_exp_f32_e32 v21, v5
	v_cvt_i32_f32_e32 v22, v22
	v_cmp_nlt_f32_e32 vcc, s6, v19
	v_mul_f32_e32 v19, 0x3fb8aa3b, v6
	v_pk_mul_f16 v76, v18, v76 op_sel_hi:[0,1]
	v_pk_mul_f16 v77, v18, v77 op_sel_hi:[0,1]
	v_ldexp_f32 v18, v21, v22
	v_fma_f32 v21, v6, s8, -v19
	v_rndne_f32_e32 v22, v19
	v_fmac_f32_e32 v21, 0x32a5705f, v6
	v_sub_f32_e32 v19, v19, v22
	v_add_f32_e32 v19, v19, v21
	v_exp_f32_e32 v19, v19
	v_cvt_i32_f32_e32 v21, v22
	v_cndmask_b32_e32 v5, v20, v25, vcc
	v_cmp_ngt_f32_e32 vcc, s7, v7
	v_cndmask_b32_e32 v18, 0, v18, vcc
	v_cmp_nlt_f32_e32 vcc, s6, v7
	v_cndmask_b32_e32 v7, v20, v18, vcc
	v_ldexp_f32 v18, v19, v21
	v_cmp_ngt_f32_e32 vcc, s7, v6
	v_cndmask_b32_e32 v18, 0, v18, vcc
	v_cmp_nlt_f32_e32 vcc, s6, v6
	v_cndmask_b32_e32 v6, v20, v18, vcc
	v_pk_fma_f32 v[12:13], v[12:13], v[4:5], v[6:7]
	v_max_f32_e32 v4, v29, v29
	v_cvt_f16_f32_e32 v19, v5
	v_max_f32_e32 v5, v4, v17
	v_max_f32_e32 v4, v28, v28
	;; [unrolled: 1-line block ×3, first 2 shown]
	v_pk_add_f32 v[6:7], v[28:29], v[4:5] neg_lo:[0,1] neg_hi:[0,1]
	v_mul_f32_e32 v18, 0x3fb8aa3b, v7
	v_pk_mul_f16 v70, v19, v70 op_sel_hi:[0,1]
	v_pk_mul_f16 v71, v19, v71 op_sel_hi:[0,1]
	v_fma_f32 v19, v7, s8, -v18
	v_rndne_f32_e32 v21, v18
	v_fmac_f32_e32 v19, 0x32a5705f, v7
	v_sub_f32_e32 v18, v18, v21
	v_add_f32_e32 v18, v18, v19
	v_cvt_i32_f32_e32 v19, v21
	v_mul_f32_e32 v21, 0x3fb8aa3b, v6
	v_fma_f32 v22, v6, s8, -v21
	v_rndne_f32_e32 v23, v21
	v_fmac_f32_e32 v22, 0x32a5705f, v6
	v_sub_f32_e32 v21, v21, v23
	v_exp_f32_e32 v18, v18
	v_add_f32_e32 v21, v21, v22
	v_exp_f32_e32 v21, v21
	v_cvt_i32_f32_e32 v22, v23
	v_ldexp_f32 v18, v18, v19
	v_cmp_ngt_f32_e32 vcc, s7, v7
	v_cndmask_b32_e32 v23, 0, v18, vcc
	v_ldexp_f32 v18, v21, v22
	v_cmp_ngt_f32_e32 vcc, s7, v6
	v_cndmask_b32_e32 v18, 0, v18, vcc
	v_cmp_nlt_f32_e32 vcc, s6, v6
	v_cndmask_b32_e32 v6, v20, v18, vcc
	v_pk_add_f32 v[18:19], v[16:17], v[4:5] op_sel_hi:[0,1] neg_lo:[0,1] neg_hi:[0,1]
	v_mul_f32_e32 v22, 0x3fb8aa3b, v19
	v_fma_f32 v24, v19, s8, -v22
	v_rndne_f32_e32 v25, v22
	v_fmac_f32_e32 v24, 0x32a5705f, v19
	v_sub_f32_e32 v22, v22, v25
	v_add_f32_e32 v22, v22, v24
	v_cvt_f16_f32_e32 v21, v6
	v_exp_f32_e32 v22, v22
	v_cvt_i32_f32_e32 v24, v25
	v_cmp_nlt_f32_e32 vcc, s6, v7
	v_pk_mul_f16 v65, v21, v65 op_sel_hi:[0,1]
	v_pk_mul_f16 v66, v21, v66 op_sel_hi:[0,1]
	v_ldexp_f32 v21, v22, v24
	v_mul_f32_e32 v22, 0x3fb8aa3b, v18
	v_cndmask_b32_e32 v7, v20, v23, vcc
	v_fma_f32 v23, v18, s8, -v22
	v_rndne_f32_e32 v24, v22
	v_fmac_f32_e32 v23, 0x32a5705f, v18
	v_sub_f32_e32 v22, v22, v24
	v_add_f32_e32 v22, v22, v23
	v_exp_f32_e32 v22, v22
	v_cvt_i32_f32_e32 v23, v24
	v_cmp_ngt_f32_e32 vcc, s7, v19
	v_cndmask_b32_e32 v21, 0, v21, vcc
	v_cmp_nlt_f32_e32 vcc, s6, v19
	v_cndmask_b32_e32 v19, v20, v21, vcc
	v_ldexp_f32 v21, v22, v23
	v_cmp_ngt_f32_e32 vcc, s7, v18
	v_cndmask_b32_e32 v21, 0, v21, vcc
	v_cmp_nlt_f32_e32 vcc, s6, v18
	v_cndmask_b32_e32 v18, v20, v21, vcc
	v_pk_fma_f32 v[10:11], v[10:11], v[6:7], v[18:19]
	v_max_f32_e32 v6, v31, v31
	v_cvt_f16_f32_e32 v22, v7
	v_max_f32_e32 v7, v6, v17
	v_max_f32_e32 v6, v30, v30
	;; [unrolled: 1-line block ×3, first 2 shown]
	v_pk_add_f32 v[18:19], v[30:31], v[6:7] neg_lo:[0,1] neg_hi:[0,1]
	v_mul_f32_e32 v17, 0x3fb8aa3b, v19
	v_pk_mul_f16 v64, v22, v64 op_sel_hi:[0,1]
	v_pk_mul_f16 v63, v22, v63 op_sel_hi:[0,1]
	v_fma_f32 v21, v19, s8, -v17
	v_rndne_f32_e32 v22, v17
	v_fmac_f32_e32 v21, 0x32a5705f, v19
	v_sub_f32_e32 v17, v17, v22
	v_add_f32_e32 v17, v17, v21
	v_cvt_i32_f32_e32 v21, v22
	v_mul_f32_e32 v22, 0x3fb8aa3b, v18
	v_fma_f32 v23, v18, s8, -v22
	v_rndne_f32_e32 v24, v22
	v_fmac_f32_e32 v23, 0x32a5705f, v18
	v_sub_f32_e32 v22, v22, v24
	v_exp_f32_e32 v17, v17
	v_add_f32_e32 v22, v22, v23
	v_exp_f32_e32 v22, v22
	v_cvt_i32_f32_e32 v23, v24
	v_ldexp_f32 v17, v17, v21
	v_cmp_ngt_f32_e32 vcc, s7, v19
	v_cndmask_b32_e32 v21, 0, v17, vcc
	v_ldexp_f32 v17, v22, v23
	v_cmp_ngt_f32_e32 vcc, s7, v18
	v_cndmask_b32_e32 v17, 0, v17, vcc
	v_cmp_nlt_f32_e32 vcc, s6, v18
	v_cndmask_b32_e32 v18, v20, v17, vcc
	v_pk_add_f32 v[16:17], v[16:17], v[6:7] op_sel_hi:[0,1] neg_lo:[0,1] neg_hi:[0,1]
	v_mul_f32_e32 v23, 0x3fb8aa3b, v17
	v_fma_f32 v24, v17, s8, -v23
	v_rndne_f32_e32 v25, v23
	v_fmac_f32_e32 v24, 0x32a5705f, v17
	v_sub_f32_e32 v23, v23, v25
	v_cvt_f16_f32_e32 v22, v18
	v_add_f32_e32 v23, v23, v24
	v_exp_f32_e32 v23, v23
	v_cvt_i32_f32_e32 v24, v25
	v_cmp_nlt_f32_e32 vcc, s6, v19
	v_pk_mul_f16 v72, v22, v72 op_sel_hi:[0,1]
	v_pk_mul_f16 v73, v22, v73 op_sel_hi:[0,1]
	v_mul_f32_e32 v22, 0x3fb8aa3b, v16
	v_cndmask_b32_e32 v19, v20, v21, vcc
	v_ldexp_f32 v21, v23, v24
	v_fma_f32 v23, v16, s8, -v22
	v_rndne_f32_e32 v24, v22
	v_fmac_f32_e32 v23, 0x32a5705f, v16
	v_sub_f32_e32 v22, v22, v24
	v_add_f32_e32 v22, v22, v23
	v_exp_f32_e32 v22, v22
	v_cvt_i32_f32_e32 v23, v24
	v_cmp_ngt_f32_e32 vcc, s7, v17
	v_cndmask_b32_e32 v21, 0, v21, vcc
	v_cmp_nlt_f32_e32 vcc, s6, v17
	v_cndmask_b32_e32 v17, v20, v21, vcc
	v_ldexp_f32 v21, v22, v23
	v_cvt_f16_f32_e32 v22, v19
	v_cmp_ngt_f32_e32 vcc, s7, v16
	v_cndmask_b32_e32 v21, 0, v21, vcc
	v_cmp_nlt_f32_e32 vcc, s6, v16
	v_cndmask_b32_e32 v16, v20, v21, vcc
	v_pk_mov_b32 v[30:31], v[6:7], v[6:7] op_sel:[0,1]
	v_pk_fma_f32 v[8:9], v[8:9], v[18:19], v[16:17]
	v_pk_mul_f16 v69, v22, v69 op_sel_hi:[0,1]
	v_pk_mul_f16 v68, v22, v68 op_sel_hi:[0,1]
	v_pk_mov_b32 v[28:29], v[4:5], v[4:5] op_sel:[0,1]
	v_pk_mov_b32 v[26:27], v[2:3], v[2:3] op_sel:[0,1]
	;; [unrolled: 1-line block ×3, first 2 shown]
.LBB86_265:
	v_cmp_gt_i32_e32 vcc, s38, v57
	s_and_saveexec_b64 s[6:7], vcc
	s_cbranch_execz .LBB86_305
; %bb.266:
	s_load_dword s8, s[4:5], 0xd4
	v_mov_b32_e32 v0, 1.0
	s_waitcnt lgkmcnt(0)
	s_cmp_lg_u32 s8, 1
	s_cselect_b64 s[6:7], -1, 0
	s_cmp_eq_u32 s8, 1
	s_cselect_b64 s[10:11], -1, 0
	s_and_b64 vcc, exec, s[6:7]
	s_cbranch_vccnz .LBB86_268
; %bb.267:
	v_div_scale_f32 v0, s[4:5], v14, v14, 1.0
	v_rcp_f32_e32 v1, v0
	v_div_scale_f32 v2, vcc, 1.0, v14, 1.0
	v_fma_f32 v3, -v0, v1, 1.0
	v_fmac_f32_e32 v1, v3, v1
	v_mul_f32_e32 v3, v2, v1
	v_fma_f32 v4, -v0, v3, v2
	v_fmac_f32_e32 v3, v4, v1
	v_fma_f32 v0, -v0, v3, v2
	v_div_fmas_f32 v0, v0, v1, v3
	v_div_fixup_f32 v0, v0, v14, 1.0
.LBB86_268:
	s_mul_i32 s12, s33, s38
	s_add_i32 s12, s12, s42
	v_add_u32_e32 v1, s12, v55
	v_mul_lo_u32 v1, v1, s39
	v_add_u32_e32 v1, s34, v1
	v_mul_lo_u32 v1, s8, v1
	v_add_u32_e32 v2, s9, v1
	v_cvt_f32_f16_sdwa v7, v82 dst_sel:DWORD dst_unused:UNUSED_PAD src0_sel:WORD_1
	v_cvt_f32_f16_e32 v6, v82
	v_cvt_f32_f16_sdwa v17, v83 dst_sel:DWORD dst_unused:UNUSED_PAD src0_sel:WORD_1
	v_cvt_f32_f16_e32 v16, v83
	v_lshl_add_u32 v4, v2, 7, v45
	v_mov_b32_e32 v5, 0
	v_lshlrev_b64 v[4:5], 2, v[4:5]
	v_cmp_eq_u32_e32 vcc, 0, v56
	v_mov_b32_e32 v1, s29
	v_add_co_u32_e64 v18, s[4:5], s28, v4
	v_addc_co_u32_e64 v19, s[4:5], v1, v5, s[4:5]
	v_pk_mul_f32 v[4:5], v[0:1], v[6:7] op_sel_hi:[0,1]
	v_pk_mul_f32 v[6:7], v[0:1], v[16:17] op_sel_hi:[0,1]
	s_and_b64 s[6:7], vcc, s[6:7]
	global_store_dwordx4 v[18:19], v[4:7], off
	s_and_saveexec_b64 s[4:5], s[6:7]
	s_cbranch_execz .LBB86_270
; %bb.269:
	v_ashrrev_i32_e32 v3, 31, v2
	v_lshlrev_b64 v[0:1], 3, v[2:3]
	v_mov_b32_e32 v2, s31
	v_add_co_u32_e32 v0, vcc, s30, v0
	v_addc_co_u32_e32 v1, vcc, v2, v1, vcc
	v_mov_b32_e32 v2, v24
	v_mov_b32_e32 v3, v14
	global_store_dwordx2 v[0:1], v[2:3], off
.LBB86_270:
	s_or_b64 exec, exec, s[4:5]
	v_cmp_gt_i32_e32 vcc, s38, v54
	s_and_b64 exec, exec, vcc
	s_cbranch_execz .LBB86_305
; %bb.271:
	v_cndmask_b32_e64 v0, 0, 1, s[10:11]
	v_cmp_ne_u32_e64 s[4:5], 1, v0
	s_andn2_b64 vcc, exec, s[10:11]
	v_mov_b32_e32 v2, 1.0
	s_cbranch_vccnz .LBB86_273
; %bb.272:
	v_div_scale_f32 v0, s[10:11], v15, v15, 1.0
	v_rcp_f32_e32 v1, v0
	v_div_scale_f32 v2, vcc, 1.0, v15, 1.0
	v_fma_f32 v3, -v0, v1, 1.0
	v_fmac_f32_e32 v1, v3, v1
	v_mul_f32_e32 v3, v2, v1
	v_fma_f32 v4, -v0, v3, v2
	v_fmac_f32_e32 v3, v4, v1
	v_fma_f32 v0, -v0, v3, v2
	v_div_fmas_f32 v0, v0, v1, v3
	v_div_fixup_f32 v2, v0, v15, 1.0
.LBB86_273:
	v_add_u32_e32 v0, s12, v53
	v_mul_lo_u32 v0, v0, s39
	v_add_u32_e32 v0, s34, v0
	v_mul_lo_u32 v0, s8, v0
	v_add_u32_e32 v0, s9, v0
	v_cvt_f32_f16_sdwa v7, v79 dst_sel:DWORD dst_unused:UNUSED_PAD src0_sel:WORD_1
	v_cvt_f32_f16_e32 v6, v79
	v_cvt_f32_f16_sdwa v17, v80 dst_sel:DWORD dst_unused:UNUSED_PAD src0_sel:WORD_1
	v_cvt_f32_f16_e32 v16, v80
	v_lshl_add_u32 v4, v0, 7, v45
	v_mov_b32_e32 v5, 0
	v_lshlrev_b64 v[4:5], 2, v[4:5]
	v_mov_b32_e32 v1, s29
	v_add_co_u32_e32 v18, vcc, s28, v4
	v_addc_co_u32_e32 v19, vcc, v1, v5, vcc
	v_pk_mul_f32 v[4:5], v[2:3], v[6:7] op_sel_hi:[0,1]
	v_pk_mul_f32 v[6:7], v[2:3], v[16:17] op_sel_hi:[0,1]
	global_store_dwordx4 v[18:19], v[4:7], off
	s_and_saveexec_b64 s[10:11], s[6:7]
	s_cbranch_execz .LBB86_275
; %bb.274:
	v_ashrrev_i32_e32 v1, 31, v0
	v_lshlrev_b64 v[0:1], 3, v[0:1]
	v_mov_b32_e32 v2, s31
	v_add_co_u32_e32 v0, vcc, s30, v0
	v_addc_co_u32_e32 v1, vcc, v2, v1, vcc
	v_mov_b32_e32 v14, v25
	global_store_dwordx2 v[0:1], v[14:15], off
.LBB86_275:
	s_or_b64 exec, exec, s[10:11]
	v_cmp_gt_i32_e32 vcc, s38, v52
	s_and_b64 exec, exec, vcc
	s_cbranch_execz .LBB86_305
; %bb.276:
	s_and_b64 vcc, exec, s[4:5]
	v_mov_b32_e32 v2, 1.0
	s_cbranch_vccnz .LBB86_278
; %bb.277:
	v_div_scale_f32 v0, s[10:11], v12, v12, 1.0
	v_rcp_f32_e32 v1, v0
	v_div_scale_f32 v2, vcc, 1.0, v12, 1.0
	v_fma_f32 v3, -v0, v1, 1.0
	v_fmac_f32_e32 v1, v3, v1
	v_mul_f32_e32 v3, v2, v1
	v_fma_f32 v4, -v0, v3, v2
	v_fmac_f32_e32 v3, v4, v1
	v_fma_f32 v0, -v0, v3, v2
	v_div_fmas_f32 v0, v0, v1, v3
	v_div_fixup_f32 v2, v0, v12, 1.0
.LBB86_278:
	v_add_u32_e32 v0, s12, v51
	v_mul_lo_u32 v0, v0, s39
	v_add_u32_e32 v0, s34, v0
	v_mul_lo_u32 v0, s8, v0
	v_add_u32_e32 v0, s9, v0
	v_cvt_f32_f16_sdwa v7, v76 dst_sel:DWORD dst_unused:UNUSED_PAD src0_sel:WORD_1
	v_cvt_f32_f16_e32 v6, v76
	v_cvt_f32_f16_sdwa v15, v77 dst_sel:DWORD dst_unused:UNUSED_PAD src0_sel:WORD_1
	v_cvt_f32_f16_e32 v14, v77
	v_lshl_add_u32 v4, v0, 7, v45
	v_mov_b32_e32 v5, 0
	v_lshlrev_b64 v[4:5], 2, v[4:5]
	v_mov_b32_e32 v1, s29
	v_add_co_u32_e32 v16, vcc, s28, v4
	v_addc_co_u32_e32 v17, vcc, v1, v5, vcc
	v_pk_mul_f32 v[4:5], v[2:3], v[6:7] op_sel_hi:[0,1]
	v_pk_mul_f32 v[6:7], v[2:3], v[14:15] op_sel_hi:[0,1]
	global_store_dwordx4 v[16:17], v[4:7], off
	s_and_saveexec_b64 s[10:11], s[6:7]
	s_cbranch_execz .LBB86_280
; %bb.279:
	v_ashrrev_i32_e32 v1, 31, v0
	v_lshlrev_b64 v[0:1], 3, v[0:1]
	v_mov_b32_e32 v2, s31
	v_add_co_u32_e32 v0, vcc, s30, v0
	v_addc_co_u32_e32 v1, vcc, v2, v1, vcc
	v_mov_b32_e32 v2, v26
	v_mov_b32_e32 v3, v12
	global_store_dwordx2 v[0:1], v[2:3], off
.LBB86_280:
	s_or_b64 exec, exec, s[10:11]
	v_cmp_gt_i32_e32 vcc, s38, v50
	s_and_b64 exec, exec, vcc
	s_cbranch_execz .LBB86_305
; %bb.281:
	s_and_b64 vcc, exec, s[4:5]
	v_mov_b32_e32 v2, 1.0
	s_cbranch_vccnz .LBB86_283
; %bb.282:
	v_div_scale_f32 v0, s[10:11], v13, v13, 1.0
	v_rcp_f32_e32 v1, v0
	v_div_scale_f32 v2, vcc, 1.0, v13, 1.0
	v_fma_f32 v3, -v0, v1, 1.0
	v_fmac_f32_e32 v1, v3, v1
	v_mul_f32_e32 v3, v2, v1
	v_fma_f32 v4, -v0, v3, v2
	v_fmac_f32_e32 v3, v4, v1
	v_fma_f32 v0, -v0, v3, v2
	v_div_fmas_f32 v0, v0, v1, v3
	v_div_fixup_f32 v2, v0, v13, 1.0
.LBB86_283:
	v_add_u32_e32 v0, s12, v49
	v_mul_lo_u32 v0, v0, s39
	v_add_u32_e32 v0, s34, v0
	v_mul_lo_u32 v0, s8, v0
	v_add_u32_e32 v0, s9, v0
	v_cvt_f32_f16_sdwa v7, v70 dst_sel:DWORD dst_unused:UNUSED_PAD src0_sel:WORD_1
	v_cvt_f32_f16_e32 v6, v70
	v_cvt_f32_f16_sdwa v15, v71 dst_sel:DWORD dst_unused:UNUSED_PAD src0_sel:WORD_1
	v_cvt_f32_f16_e32 v14, v71
	v_lshl_add_u32 v4, v0, 7, v45
	v_mov_b32_e32 v5, 0
	v_lshlrev_b64 v[4:5], 2, v[4:5]
	v_mov_b32_e32 v1, s29
	v_add_co_u32_e32 v16, vcc, s28, v4
	v_addc_co_u32_e32 v17, vcc, v1, v5, vcc
	v_pk_mul_f32 v[4:5], v[2:3], v[6:7] op_sel_hi:[0,1]
	v_pk_mul_f32 v[6:7], v[2:3], v[14:15] op_sel_hi:[0,1]
	global_store_dwordx4 v[16:17], v[4:7], off
	s_and_saveexec_b64 s[10:11], s[6:7]
	s_cbranch_execz .LBB86_285
; %bb.284:
	v_ashrrev_i32_e32 v1, 31, v0
	v_lshlrev_b64 v[0:1], 3, v[0:1]
	v_mov_b32_e32 v2, s31
	v_add_co_u32_e32 v0, vcc, s30, v0
	v_addc_co_u32_e32 v1, vcc, v2, v1, vcc
	v_mov_b32_e32 v12, v27
	global_store_dwordx2 v[0:1], v[12:13], off
.LBB86_285:
	s_or_b64 exec, exec, s[10:11]
	v_cmp_gt_i32_e32 vcc, s38, v48
	s_and_b64 exec, exec, vcc
	s_cbranch_execz .LBB86_305
; %bb.286:
	s_and_b64 vcc, exec, s[4:5]
	v_mov_b32_e32 v2, 1.0
	s_cbranch_vccnz .LBB86_288
; %bb.287:
	v_div_scale_f32 v0, s[10:11], v10, v10, 1.0
	v_rcp_f32_e32 v1, v0
	v_div_scale_f32 v2, vcc, 1.0, v10, 1.0
	v_fma_f32 v3, -v0, v1, 1.0
	v_fmac_f32_e32 v1, v3, v1
	v_mul_f32_e32 v3, v2, v1
	v_fma_f32 v4, -v0, v3, v2
	v_fmac_f32_e32 v3, v4, v1
	v_fma_f32 v0, -v0, v3, v2
	v_div_fmas_f32 v0, v0, v1, v3
	v_div_fixup_f32 v2, v0, v10, 1.0
.LBB86_288:
	v_add_u32_e32 v0, s12, v47
	v_mul_lo_u32 v0, v0, s39
	v_add_u32_e32 v0, s34, v0
	v_mul_lo_u32 v0, s8, v0
	v_add_u32_e32 v0, s9, v0
	v_cvt_f32_f16_sdwa v7, v65 dst_sel:DWORD dst_unused:UNUSED_PAD src0_sel:WORD_1
	v_cvt_f32_f16_e32 v6, v65
	v_cvt_f32_f16_sdwa v13, v66 dst_sel:DWORD dst_unused:UNUSED_PAD src0_sel:WORD_1
	v_cvt_f32_f16_e32 v12, v66
	v_lshl_add_u32 v4, v0, 7, v45
	v_mov_b32_e32 v5, 0
	v_lshlrev_b64 v[4:5], 2, v[4:5]
	v_mov_b32_e32 v1, s29
	v_add_co_u32_e32 v14, vcc, s28, v4
	v_addc_co_u32_e32 v15, vcc, v1, v5, vcc
	v_pk_mul_f32 v[4:5], v[2:3], v[6:7] op_sel_hi:[0,1]
	v_pk_mul_f32 v[6:7], v[2:3], v[12:13] op_sel_hi:[0,1]
	global_store_dwordx4 v[14:15], v[4:7], off
	s_and_saveexec_b64 s[10:11], s[6:7]
	s_cbranch_execz .LBB86_290
; %bb.289:
	v_ashrrev_i32_e32 v1, 31, v0
	v_lshlrev_b64 v[0:1], 3, v[0:1]
	v_mov_b32_e32 v2, s31
	v_add_co_u32_e32 v0, vcc, s30, v0
	v_addc_co_u32_e32 v1, vcc, v2, v1, vcc
	v_mov_b32_e32 v2, v28
	v_mov_b32_e32 v3, v10
	global_store_dwordx2 v[0:1], v[2:3], off
.LBB86_290:
	s_or_b64 exec, exec, s[10:11]
	v_cmp_gt_i32_e32 vcc, s38, v46
	s_and_b64 exec, exec, vcc
	s_cbranch_execz .LBB86_305
; %bb.291:
	s_and_b64 vcc, exec, s[4:5]
	v_mov_b32_e32 v2, 1.0
	s_cbranch_vccnz .LBB86_293
; %bb.292:
	v_div_scale_f32 v0, s[10:11], v11, v11, 1.0
	v_rcp_f32_e32 v1, v0
	v_div_scale_f32 v2, vcc, 1.0, v11, 1.0
	v_fma_f32 v3, -v0, v1, 1.0
	v_fmac_f32_e32 v1, v3, v1
	v_mul_f32_e32 v3, v2, v1
	v_fma_f32 v4, -v0, v3, v2
	v_fmac_f32_e32 v3, v4, v1
	v_fma_f32 v0, -v0, v3, v2
	v_div_fmas_f32 v0, v0, v1, v3
	v_div_fixup_f32 v2, v0, v11, 1.0
.LBB86_293:
	v_add_u32_e32 v0, s12, v44
	v_mul_lo_u32 v0, v0, s39
	v_add_u32_e32 v0, s34, v0
	v_mul_lo_u32 v0, s8, v0
	v_add_u32_e32 v0, s9, v0
	v_cvt_f32_f16_sdwa v7, v64 dst_sel:DWORD dst_unused:UNUSED_PAD src0_sel:WORD_1
	v_cvt_f32_f16_e32 v6, v64
	v_cvt_f32_f16_sdwa v13, v63 dst_sel:DWORD dst_unused:UNUSED_PAD src0_sel:WORD_1
	v_cvt_f32_f16_e32 v12, v63
	v_lshl_add_u32 v4, v0, 7, v45
	v_mov_b32_e32 v5, 0
	v_lshlrev_b64 v[4:5], 2, v[4:5]
	v_mov_b32_e32 v1, s29
	v_add_co_u32_e32 v14, vcc, s28, v4
	v_addc_co_u32_e32 v15, vcc, v1, v5, vcc
	v_pk_mul_f32 v[4:5], v[2:3], v[6:7] op_sel_hi:[0,1]
	v_pk_mul_f32 v[6:7], v[2:3], v[12:13] op_sel_hi:[0,1]
	global_store_dwordx4 v[14:15], v[4:7], off
	s_and_saveexec_b64 s[10:11], s[6:7]
	s_cbranch_execz .LBB86_295
; %bb.294:
	v_ashrrev_i32_e32 v1, 31, v0
	v_lshlrev_b64 v[0:1], 3, v[0:1]
	v_mov_b32_e32 v2, s31
	v_add_co_u32_e32 v0, vcc, s30, v0
	v_addc_co_u32_e32 v1, vcc, v2, v1, vcc
	v_mov_b32_e32 v10, v29
	global_store_dwordx2 v[0:1], v[10:11], off
.LBB86_295:
	s_or_b64 exec, exec, s[10:11]
	v_cmp_gt_i32_e32 vcc, s38, v43
	s_and_b64 exec, exec, vcc
	s_cbranch_execz .LBB86_305
; %bb.296:
	s_and_b64 vcc, exec, s[4:5]
	v_mov_b32_e32 v2, 1.0
	s_cbranch_vccnz .LBB86_298
; %bb.297:
	v_div_scale_f32 v0, s[10:11], v8, v8, 1.0
	v_rcp_f32_e32 v1, v0
	v_div_scale_f32 v2, vcc, 1.0, v8, 1.0
	v_fma_f32 v3, -v0, v1, 1.0
	v_fmac_f32_e32 v1, v3, v1
	v_mul_f32_e32 v3, v2, v1
	v_fma_f32 v4, -v0, v3, v2
	v_fmac_f32_e32 v3, v4, v1
	v_fma_f32 v0, -v0, v3, v2
	v_div_fmas_f32 v0, v0, v1, v3
	v_div_fixup_f32 v2, v0, v8, 1.0
.LBB86_298:
	v_add_u32_e32 v0, s12, v42
	v_mul_lo_u32 v0, v0, s39
	v_add_u32_e32 v0, s34, v0
	v_mul_lo_u32 v0, s8, v0
	v_add_u32_e32 v0, s9, v0
	v_cvt_f32_f16_sdwa v7, v72 dst_sel:DWORD dst_unused:UNUSED_PAD src0_sel:WORD_1
	v_cvt_f32_f16_e32 v6, v72
	v_cvt_f32_f16_sdwa v11, v73 dst_sel:DWORD dst_unused:UNUSED_PAD src0_sel:WORD_1
	v_cvt_f32_f16_e32 v10, v73
	v_lshl_add_u32 v4, v0, 7, v45
	v_mov_b32_e32 v5, 0
	v_lshlrev_b64 v[4:5], 2, v[4:5]
	v_mov_b32_e32 v1, s29
	v_add_co_u32_e32 v12, vcc, s28, v4
	v_addc_co_u32_e32 v13, vcc, v1, v5, vcc
	v_pk_mul_f32 v[4:5], v[2:3], v[6:7] op_sel_hi:[0,1]
	v_pk_mul_f32 v[6:7], v[2:3], v[10:11] op_sel_hi:[0,1]
	global_store_dwordx4 v[12:13], v[4:7], off
	s_and_saveexec_b64 s[10:11], s[6:7]
	s_cbranch_execz .LBB86_300
; %bb.299:
	v_ashrrev_i32_e32 v1, 31, v0
	v_lshlrev_b64 v[0:1], 3, v[0:1]
	v_mov_b32_e32 v2, s31
	v_add_co_u32_e32 v0, vcc, s30, v0
	v_addc_co_u32_e32 v1, vcc, v2, v1, vcc
	v_mov_b32_e32 v2, v30
	v_mov_b32_e32 v3, v8
	global_store_dwordx2 v[0:1], v[2:3], off
.LBB86_300:
	s_or_b64 exec, exec, s[10:11]
	v_cmp_gt_i32_e32 vcc, s38, v41
	s_and_b64 exec, exec, vcc
	s_cbranch_execz .LBB86_305
; %bb.301:
	s_and_b64 vcc, exec, s[4:5]
	v_mov_b32_e32 v2, 1.0
	s_cbranch_vccnz .LBB86_303
; %bb.302:
	v_div_scale_f32 v0, s[4:5], v9, v9, 1.0
	v_rcp_f32_e32 v1, v0
	v_div_scale_f32 v2, vcc, 1.0, v9, 1.0
	v_fma_f32 v3, -v0, v1, 1.0
	v_fmac_f32_e32 v1, v3, v1
	v_mul_f32_e32 v3, v2, v1
	v_fma_f32 v4, -v0, v3, v2
	v_fmac_f32_e32 v3, v4, v1
	v_fma_f32 v0, -v0, v3, v2
	v_div_fmas_f32 v0, v0, v1, v3
	v_div_fixup_f32 v2, v0, v9, 1.0
.LBB86_303:
	v_add_u32_e32 v0, s12, v40
	v_mul_lo_u32 v0, v0, s39
	v_add_u32_e32 v0, s34, v0
	v_mul_lo_u32 v0, s8, v0
	v_add_u32_e32 v0, s9, v0
	v_cvt_f32_f16_sdwa v7, v69 dst_sel:DWORD dst_unused:UNUSED_PAD src0_sel:WORD_1
	v_cvt_f32_f16_e32 v6, v69
	v_cvt_f32_f16_sdwa v11, v68 dst_sel:DWORD dst_unused:UNUSED_PAD src0_sel:WORD_1
	v_cvt_f32_f16_e32 v10, v68
	v_lshl_add_u32 v4, v0, 7, v45
	v_mov_b32_e32 v5, 0
	v_lshlrev_b64 v[4:5], 2, v[4:5]
	v_mov_b32_e32 v1, s29
	v_add_co_u32_e32 v12, vcc, s28, v4
	v_addc_co_u32_e32 v13, vcc, v1, v5, vcc
	v_pk_mul_f32 v[4:5], v[2:3], v[6:7] op_sel_hi:[0,1]
	v_pk_mul_f32 v[6:7], v[2:3], v[10:11] op_sel_hi:[0,1]
	global_store_dwordx4 v[12:13], v[4:7], off
	s_and_b64 exec, exec, s[6:7]
	s_cbranch_execz .LBB86_305
; %bb.304:
	v_ashrrev_i32_e32 v1, 31, v0
	v_lshlrev_b64 v[0:1], 3, v[0:1]
	v_mov_b32_e32 v2, s31
	v_add_co_u32_e32 v0, vcc, s30, v0
	v_addc_co_u32_e32 v1, vcc, v2, v1, vcc
	v_mov_b32_e32 v8, v31
	global_store_dwordx2 v[0:1], v[8:9], off
.LBB86_305:
	s_endpgm
	.section	.rodata,"a",@progbits
	.p2align	6, 0x0
	.amdhsa_kernel _ZL15flash_attn_tileILi128ELi128ELi64ELi1ELb1EEvPKcS1_S1_S1_S1_PKiPfP15HIP_vector_typeIfLj2EEffffjfiS5_IjLj3EEiiiiiiiiiiiliiliiiiil
		.amdhsa_group_segment_fixed_size 29696
		.amdhsa_private_segment_fixed_size 32
		.amdhsa_kernarg_size 464
		.amdhsa_user_sgpr_count 8
		.amdhsa_user_sgpr_private_segment_buffer 1
		.amdhsa_user_sgpr_dispatch_ptr 0
		.amdhsa_user_sgpr_queue_ptr 0
		.amdhsa_user_sgpr_kernarg_segment_ptr 1
		.amdhsa_user_sgpr_dispatch_id 0
		.amdhsa_user_sgpr_flat_scratch_init 1
		.amdhsa_user_sgpr_kernarg_preload_length 0
		.amdhsa_user_sgpr_kernarg_preload_offset 0
		.amdhsa_user_sgpr_private_segment_size 0
		.amdhsa_uses_dynamic_stack 0
		.amdhsa_system_sgpr_private_segment_wavefront_offset 1
		.amdhsa_system_sgpr_workgroup_id_x 1
		.amdhsa_system_sgpr_workgroup_id_y 1
		.amdhsa_system_sgpr_workgroup_id_z 1
		.amdhsa_system_sgpr_workgroup_info 0
		.amdhsa_system_vgpr_workitem_id 1
		.amdhsa_next_free_vgpr 148
		.amdhsa_next_free_sgpr 56
		.amdhsa_accum_offset 148
		.amdhsa_reserve_vcc 1
		.amdhsa_reserve_flat_scratch 1
		.amdhsa_float_round_mode_32 0
		.amdhsa_float_round_mode_16_64 0
		.amdhsa_float_denorm_mode_32 3
		.amdhsa_float_denorm_mode_16_64 3
		.amdhsa_dx10_clamp 1
		.amdhsa_ieee_mode 1
		.amdhsa_fp16_overflow 0
		.amdhsa_tg_split 0
		.amdhsa_exception_fp_ieee_invalid_op 0
		.amdhsa_exception_fp_denorm_src 0
		.amdhsa_exception_fp_ieee_div_zero 0
		.amdhsa_exception_fp_ieee_overflow 0
		.amdhsa_exception_fp_ieee_underflow 0
		.amdhsa_exception_fp_ieee_inexact 0
		.amdhsa_exception_int_div_zero 0
	.end_amdhsa_kernel
	.section	.text._ZL15flash_attn_tileILi128ELi128ELi64ELi1ELb1EEvPKcS1_S1_S1_S1_PKiPfP15HIP_vector_typeIfLj2EEffffjfiS5_IjLj3EEiiiiiiiiiiiliiliiiiil,"axG",@progbits,_ZL15flash_attn_tileILi128ELi128ELi64ELi1ELb1EEvPKcS1_S1_S1_S1_PKiPfP15HIP_vector_typeIfLj2EEffffjfiS5_IjLj3EEiiiiiiiiiiiliiliiiiil,comdat
.Lfunc_end86:
	.size	_ZL15flash_attn_tileILi128ELi128ELi64ELi1ELb1EEvPKcS1_S1_S1_S1_PKiPfP15HIP_vector_typeIfLj2EEffffjfiS5_IjLj3EEiiiiiiiiiiiliiliiiiil, .Lfunc_end86-_ZL15flash_attn_tileILi128ELi128ELi64ELi1ELb1EEvPKcS1_S1_S1_S1_PKiPfP15HIP_vector_typeIfLj2EEffffjfiS5_IjLj3EEiiiiiiiiiiiliiliiiiil
                                        ; -- End function
	.section	.AMDGPU.csdata,"",@progbits
; Kernel info:
; codeLenInByte = 65296
; NumSgprs: 62
; NumVgprs: 148
; NumAgprs: 0
; TotalNumVgprs: 148
; ScratchSize: 32
; MemoryBound: 0
; FloatMode: 240
; IeeeMode: 1
; LDSByteSize: 29696 bytes/workgroup (compile time only)
; SGPRBlocks: 7
; VGPRBlocks: 18
; NumSGPRsForWavesPerEU: 62
; NumVGPRsForWavesPerEU: 148
; AccumOffset: 148
; Occupancy: 2
; WaveLimiterHint : 0
; COMPUTE_PGM_RSRC2:SCRATCH_EN: 1
; COMPUTE_PGM_RSRC2:USER_SGPR: 8
; COMPUTE_PGM_RSRC2:TRAP_HANDLER: 0
; COMPUTE_PGM_RSRC2:TGID_X_EN: 1
; COMPUTE_PGM_RSRC2:TGID_Y_EN: 1
; COMPUTE_PGM_RSRC2:TGID_Z_EN: 1
; COMPUTE_PGM_RSRC2:TIDIG_COMP_CNT: 1
; COMPUTE_PGM_RSRC3_GFX90A:ACCUM_OFFSET: 36
; COMPUTE_PGM_RSRC3_GFX90A:TG_SPLIT: 0
	.section	.text._ZL15flash_attn_tileILi128ELi128ELi32ELi1ELb1EEvPKcS1_S1_S1_S1_PKiPfP15HIP_vector_typeIfLj2EEffffjfiS5_IjLj3EEiiiiiiiiiiiliiliiiiil,"axG",@progbits,_ZL15flash_attn_tileILi128ELi128ELi32ELi1ELb1EEvPKcS1_S1_S1_S1_PKiPfP15HIP_vector_typeIfLj2EEffffjfiS5_IjLj3EEiiiiiiiiiiiliiliiiiil,comdat
	.globl	_ZL15flash_attn_tileILi128ELi128ELi32ELi1ELb1EEvPKcS1_S1_S1_S1_PKiPfP15HIP_vector_typeIfLj2EEffffjfiS5_IjLj3EEiiiiiiiiiiiliiliiiiil ; -- Begin function _ZL15flash_attn_tileILi128ELi128ELi32ELi1ELb1EEvPKcS1_S1_S1_S1_PKiPfP15HIP_vector_typeIfLj2EEffffjfiS5_IjLj3EEiiiiiiiiiiiliiliiiiil
	.p2align	8
	.type	_ZL15flash_attn_tileILi128ELi128ELi32ELi1ELb1EEvPKcS1_S1_S1_S1_PKiPfP15HIP_vector_typeIfLj2EEffffjfiS5_IjLj3EEiiiiiiiiiiiliiliiiiil,@function
_ZL15flash_attn_tileILi128ELi128ELi32ELi1ELb1EEvPKcS1_S1_S1_S1_PKiPfP15HIP_vector_typeIfLj2EEffffjfiS5_IjLj3EEiiiiiiiiiiiliiliiiiil: ; @_ZL15flash_attn_tileILi128ELi128ELi32ELi1ELb1EEvPKcS1_S1_S1_S1_PKiPfP15HIP_vector_typeIfLj2EEffffjfiS5_IjLj3EEiiiiiiiiiiiliiliiiiil
; %bb.0:
	s_load_dwordx4 s[36:39], s[4:5], 0x5c
	s_load_dwordx2 s[44:45], s[4:5], 0x80
	s_add_u32 flat_scratch_lo, s6, s11
	s_addc_u32 flat_scratch_hi, s7, 0
	s_add_u32 s0, s0, s11
	s_waitcnt lgkmcnt(0)
	v_cvt_f32_u32_e32 v1, s39
	s_addc_u32 s1, s1, 0
	s_sub_i32 s6, 0, s39
	s_load_dwordx16 s[16:31], s[4:5], 0x0
	v_rcp_iflag_f32_e32 v1, v1
	s_load_dwordx2 s[46:47], s[4:5], 0xb8
	s_mov_b64 s[34:35], 0
	v_mul_f32_e32 v1, 0x4f7ffffe, v1
	v_cvt_u32_f32_e32 v1, v1
	v_readfirstlane_b32 s7, v1
	s_mul_i32 s6, s6, s7
	s_mul_hi_u32 s6, s7, s6
	s_add_i32 s7, s7, s6
	s_mul_hi_u32 s6, s10, s7
	s_mul_i32 s7, s6, s39
	s_sub_i32 s7, s10, s7
	s_add_i32 s11, s6, 1
	s_sub_i32 s12, s7, s39
	s_cmp_ge_u32 s7, s39
	s_cselect_b32 s6, s11, s6
	s_cselect_b32 s7, s12, s7
	s_add_i32 s11, s6, 1
	s_cmp_ge_u32 s7, s39
	s_cselect_b32 s33, s11, s6
	s_abs_i32 s6, s45
	v_cvt_f32_u32_e32 v1, s6
	s_mul_i32 s12, s33, s39
	s_sub_i32 s13, 0, s6
	s_sub_i32 s14, s10, s12
	v_rcp_iflag_f32_e32 v1, v1
	s_abs_i32 s11, s39
	s_xor_b32 s7, s39, s45
	s_ashr_i32 s7, s7, 31
	v_mul_f32_e32 v1, 0x4f7ffffe, v1
	v_cvt_u32_f32_e32 v1, v1
	v_readfirstlane_b32 s10, v1
	s_mul_i32 s13, s13, s10
	s_mul_hi_u32 s12, s10, s13
	s_add_i32 s10, s10, s12
	s_mul_hi_u32 s10, s11, s10
	s_mul_i32 s12, s10, s6
	s_sub_i32 s11, s11, s12
	s_add_i32 s13, s10, 1
	s_sub_i32 s12, s11, s6
	s_cmp_ge_u32 s11, s6
	s_cselect_b32 s10, s13, s10
	s_cselect_b32 s11, s12, s11
	s_add_i32 s12, s10, 1
	s_cmp_ge_u32 s11, s6
	s_cselect_b32 s6, s12, s10
	s_xor_b32 s6, s6, s7
	s_sub_i32 s49, s6, s7
	s_abs_i32 s45, s49
	v_cvt_f32_u32_e32 v1, s45
	s_sub_i32 s6, 0, s45
	s_abs_i32 s48, s14
	v_rcp_iflag_f32_e32 v1, v1
	v_mul_f32_e32 v1, 0x4f7ffffe, v1
	v_cvt_u32_f32_e32 v1, v1
	v_readfirstlane_b32 s7, v1
	s_mul_i32 s6, s6, s7
	s_mul_hi_u32 s6, s7, s6
	s_add_i32 s6, s7, s6
	s_waitcnt lgkmcnt(0)
	s_cmp_eq_u64 s[22:23], 0
	s_cbranch_scc1 .LBB87_2
; %bb.1:
	s_abs_i32 s7, s46
	v_cvt_f32_u32_e32 v1, s7
	s_sub_i32 s15, 0, s7
	s_abs_i32 s13, s33
	s_ashr_i32 s12, s33, 31
	v_rcp_iflag_f32_e32 v1, v1
	s_load_dwordx2 s[10:11], s[4:5], 0xc8
	v_mul_f32_e32 v1, 0x4f7ffffe, v1
	v_cvt_u32_f32_e32 v1, v1
	v_readfirstlane_b32 s34, v1
	s_mul_i32 s15, s15, s34
	s_mul_hi_u32 s15, s34, s15
	s_add_i32 s34, s34, s15
	s_mul_hi_u32 s15, s13, s34
	s_mul_i32 s15, s15, s7
	s_sub_i32 s13, s13, s15
	s_sub_i32 s15, s13, s7
	s_cmp_ge_u32 s13, s7
	s_cselect_b32 s13, s15, s13
	s_sub_i32 s15, s13, s7
	s_cmp_ge_u32 s13, s7
	s_cselect_b32 s7, s15, s13
	s_xor_b32 s7, s7, s12
	s_sub_i32 s7, s7, s12
	s_ashr_i32 s12, s7, 31
	s_waitcnt lgkmcnt(0)
	s_mul_i32 s11, s7, s11
	s_mul_hi_u32 s13, s7, s10
	s_add_i32 s11, s13, s11
	s_mul_i32 s12, s12, s10
	s_add_i32 s11, s11, s12
	s_mul_i32 s7, s7, s10
	s_add_u32 s34, s22, s7
	s_addc_u32 s35, s23, s11
.LBB87_2:
	s_load_dwordx4 s[40:43], s[4:5], 0x40
	s_load_dwordx2 s[22:23], s[4:5], 0x50
	s_mul_hi_u32 s46, s48, s6
	v_mov_b32_e32 v44, 1.0
	s_waitcnt lgkmcnt(0)
	v_cmp_le_f32_e64 s[6:7], s41, 0
	s_and_b64 vcc, exec, s[6:7]
	s_cbranch_vccnz .LBB87_4
; %bb.3:
	s_sub_i32 s6, s14, s22
	s_lshl_b32 s6, s6, 1
	s_add_i32 s10, s14, 1
	s_or_b32 s11, s6, 1
	s_cmp_lt_u32 s14, s22
	s_cselect_b64 vcc, -1, 0
	s_and_b64 s[6:7], vcc, exec
	v_mov_b32_e32 v1, s43
	v_mov_b32_e32 v2, s42
	s_cselect_b32 s6, s10, s11
	v_cndmask_b32_e32 v18, v1, v2, vcc
	v_cvt_f32_i32_e32 v1, s6
	v_cmp_neq_f32_e32 vcc, 1.0, v18
	s_mov_b32 s6, 0x3f2aaaab
	s_movk_i32 s10, 0x204
	v_cndmask_b32_e32 v19, 1.0, v1, vcc
	v_cmp_eq_f32_e32 vcc, 0, v19
	v_cndmask_b32_e64 v20, |v18|, 1.0, vcc
	v_frexp_mant_f32_e32 v1, v20
	v_cmp_gt_f32_e64 s[6:7], s6, v1
	v_cndmask_b32_e64 v2, 1.0, 2.0, s[6:7]
	v_mul_f32_e32 v1, v1, v2
	v_add_f32_e32 v2, 1.0, v1
	v_rcp_f32_e32 v10, v2
	v_add_f32_e32 v3, -1.0, v2
	v_sub_f32_e32 v5, v1, v3
	v_add_f32_e32 v3, -1.0, v1
	v_mul_f32_e32 v1, v3, v10
	v_mul_f32_e32 v4, v2, v1
	v_fma_f32 v6, v1, v2, -v4
	v_fmac_f32_e32 v6, v1, v5
	v_add_f32_e32 v2, v4, v6
	v_sub_f32_e32 v5, v3, v2
	v_pk_add_f32 v[8:9], v[2:3], v[4:5] neg_lo:[0,1] neg_hi:[0,1]
	v_mov_b32_e32 v7, v2
	v_pk_add_f32 v[2:3], v[8:9], v[6:7] neg_lo:[0,1] neg_hi:[0,1]
	v_add_f32_e32 v2, v2, v3
	v_add_f32_e32 v2, v5, v2
	v_mul_f32_e32 v3, v10, v2
	v_add_f32_e32 v2, v1, v3
	v_sub_f32_e32 v1, v2, v1
	v_sub_f32_e32 v1, v3, v1
	v_mul_f32_e32 v3, v2, v2
	v_fma_f32 v5, v2, v2, -v3
	v_add_f32_e32 v4, v1, v1
	v_fmac_f32_e32 v5, v2, v4
	v_add_f32_e32 v4, v3, v5
	v_mov_b32_e32 v6, 0x3e91f4c4
	v_fmac_f32_e32 v6, 0x3e76c4e1, v4
	v_mov_b32_e32 v7, 0x3ecccdef
	v_fmac_f32_e32 v7, v4, v6
	v_sub_f32_e32 v3, v4, v3
	v_sub_f32_e32 v12, v5, v3
	v_mul_f32_e32 v3, v4, v7
	v_fma_f32 v5, v4, v7, -v3
	v_fmac_f32_e32 v5, v12, v7
	v_add_f32_e32 v6, v3, v5
	v_add_f32_e32 v7, 0x3f2aaaaa, v6
	v_sub_f32_e32 v3, v6, v3
	v_sub_f32_e32 v3, v5, v3
	v_add_f32_e32 v5, 0xbf2aaaaa, v7
	v_add_f32_e32 v3, 0x31739010, v3
	v_sub_f32_e32 v5, v6, v5
	v_pk_mul_f32 v[8:9], v[2:3], v[4:5]
	v_fma_f32 v6, v4, v2, -v8
	v_pk_add_f32 v[10:11], v[2:3], v[4:5]
	v_fmac_f32_e32 v6, v4, v1
	v_mov_b32_e32 v9, v11
	v_fmac_f32_e32 v6, v12, v2
	v_pk_add_f32 v[4:5], v[8:9], v[6:7]
	v_sub_f32_e32 v3, v4, v8
	v_sub_f32_e32 v3, v6, v3
	;; [unrolled: 1-line block ×3, first 2 shown]
	v_add_f32_e32 v9, v11, v6
	v_mov_b32_e32 v6, v5
	v_pk_mul_f32 v[6:7], v[4:5], v[6:7]
	v_cvt_f64_f32_e32 v[10:11], v20
	v_frexp_exp_i32_f64_e32 v7, v[10:11]
	v_subbrev_co_u32_e64 v7, s[6:7], 0, v7, s[6:7]
	v_cvt_f32_i32_e32 v7, v7
	v_fma_f32 v8, v4, v5, -v6
	v_fmac_f32_e32 v8, v4, v9
	s_mov_b32 s6, 0x3f317218
	v_mul_f32_e32 v4, 0x3f317218, v7
	v_fmac_f32_e32 v8, v3, v5
	v_fma_f32 v10, v7, s6, -v4
	v_fmac_f32_e32 v10, 0xb102e308, v7
	v_ldexp_f32 v11, v2, 1
	v_add_f32_e32 v5, v6, v8
	v_pk_add_f32 v[2:3], v[4:5], v[10:11]
	v_mov_b32_e32 v12, v5
	v_mov_b32_e32 v13, v3
	;; [unrolled: 1-line block ×3, first 2 shown]
	v_pk_add_f32 v[6:7], v[12:13], v[6:7] neg_lo:[0,1] neg_hi:[0,1]
	v_mov_b32_e32 v9, v5
	v_ldexp_f32 v1, v1, 1
	v_pk_add_f32 v[6:7], v[8:9], v[6:7] neg_lo:[0,1] neg_hi:[0,1]
	v_add_f32_e32 v1, v1, v6
	v_add_f32_e32 v5, v1, v7
	v_pk_add_f32 v[6:7], v[2:3], v[4:5] neg_lo:[0,1] neg_hi:[0,1]
	v_pk_add_f32 v[8:9], v[2:3], v[4:5]
	v_mov_b32_e32 v12, v6
	v_mov_b32_e32 v13, v9
	;; [unrolled: 1-line block ×3, first 2 shown]
	v_pk_add_f32 v[12:13], v[10:11], v[12:13]
	v_mov_b32_e32 v4, v13
	v_pk_add_f32 v[14:15], v[4:5], v[2:3] neg_lo:[0,1] neg_hi:[0,1]
	v_mov_b32_e32 v1, v14
	v_mov_b32_e32 v12, v9
	;; [unrolled: 1-line block ×4, first 2 shown]
	v_pk_add_f32 v[6:7], v[10:11], v[6:7] neg_lo:[0,1] neg_hi:[0,1]
	v_pk_add_f32 v[16:17], v[8:9], v[0:1] neg_lo:[0,1] neg_hi:[0,1]
	;; [unrolled: 1-line block ×3, first 2 shown]
	v_mov_b32_e32 v10, v5
	v_pk_add_f32 v[2:3], v[10:11], v[2:3] neg_lo:[0,1] neg_hi:[0,1]
	v_mov_b32_e32 v16, v6
	v_pk_add_f32 v[8:9], v[16:17], v[2:3]
	v_mov_b32_e32 v10, v9
	v_pk_add_f32 v[10:11], v[8:9], v[10:11]
	v_pk_add_f32 v[4:5], v[4:5], v[10:11]
	v_mov_b32_e32 v7, v13
	v_mov_b32_e32 v9, v4
	v_pk_add_f32 v[12:13], v[8:9], v[6:7] neg_lo:[0,1] neg_hi:[0,1]
	v_mov_b32_e32 v3, v10
	v_sub_f32_e32 v1, v8, v12
	v_pk_add_f32 v[2:3], v[2:3], v[12:13] neg_lo:[0,1] neg_hi:[0,1]
	v_sub_f32_e32 v1, v6, v1
	v_add_f32_e32 v1, v2, v1
	v_add_f32_e32 v1, v1, v3
	;; [unrolled: 1-line block ×3, first 2 shown]
	v_sub_f32_e32 v3, v2, v4
	v_sub_f32_e32 v1, v1, v3
	v_mul_f32_e32 v3, v19, v2
	v_fma_f32 v2, v19, v2, -v3
	v_fmac_f32_e32 v2, v19, v1
	v_add_f32_e32 v1, v3, v2
	v_cmp_class_f32_e64 s[6:7], v3, s10
	v_sub_f32_e32 v4, v1, v3
	v_cndmask_b32_e64 v1, v1, v3, s[6:7]
	s_mov_b32 s12, 0x42b17218
	v_mov_b32_e32 v3, 0x37000000
	v_cmp_eq_f32_e64 s[6:7], s12, v1
	v_cndmask_b32_e64 v3, 0, v3, s[6:7]
	v_sub_f32_e32 v2, v2, v4
	v_sub_f32_e32 v4, v1, v3
	s_mov_b32 s6, 0x3fb8aa3b
	v_mul_f32_e32 v5, 0x3fb8aa3b, v4
	v_fma_f32 v6, v4, s6, -v5
	v_rndne_f32_e32 v7, v5
	v_fmac_f32_e32 v6, 0x32a5705f, v4
	v_sub_f32_e32 v5, v5, v7
	v_add_f32_e32 v5, v5, v6
	v_exp_f32_e32 v5, v5
	v_cvt_i32_f32_e32 v6, v7
	s_mov_b32 s11, 0x7f800000
	v_cmp_neq_f32_e64 s[6:7], |v1|, s11
	v_cndmask_b32_e64 v1, 0, v2, s[6:7]
	s_mov_b32 s6, 0xc2ce8ed0
	v_ldexp_f32 v2, v5, v6
	v_cmp_ngt_f32_e64 s[6:7], s6, v4
	v_add_f32_e32 v1, v3, v1
	v_cndmask_b32_e64 v2, 0, v2, s[6:7]
	v_mov_b32_e32 v3, 0x7f800000
	v_cmp_nlt_f32_e64 s[6:7], s12, v4
	v_cndmask_b32_e64 v2, v3, v2, s[6:7]
	v_fma_f32 v1, v2, v1, v2
	v_cmp_class_f32_e64 s[6:7], v2, s10
	v_trunc_f32_e32 v4, v19
	v_cndmask_b32_e64 v1, v1, v2, s[6:7]
	v_cndmask_b32_e64 v2, v18, 1.0, vcc
	v_cmp_eq_f32_e32 vcc, v4, v19
	v_mul_f32_e32 v4, 0.5, v19
	v_trunc_f32_e32 v6, v4
	v_cmp_neq_f32_e64 s[6:7], v6, v4
	s_and_b64 s[6:7], vcc, s[6:7]
	v_cndmask_b32_e64 v4, 1.0, v2, s[6:7]
	s_brev_b32 s15, -2
	v_mov_b32_e32 v5, 0x7fc00000
	v_bfi_b32 v1, s15, v1, v4
	v_cndmask_b32_e32 v4, v5, v1, vcc
	v_cmp_gt_f32_e32 vcc, 0, v2
	v_cndmask_b32_e32 v1, v1, v4, vcc
	v_cmp_eq_f32_e32 vcc, s11, v20
	v_cmp_eq_f32_e64 s[10:11], 0, v2
	v_cmp_gt_f32_e64 s[12:13], 0, v19
	s_xor_b64 s[12:13], s[12:13], s[10:11]
	v_cndmask_b32_e64 v3, v3, 0, s[12:13]
	v_cndmask_b32_e64 v4, 0, v2, s[6:7]
	v_bfi_b32 v3, s15, v3, v4
	s_or_b64 vcc, vcc, s[10:11]
	v_cndmask_b32_e32 v1, v1, v3, vcc
	v_cmp_o_f32_e32 vcc, v2, v2
	v_cndmask_b32_e32 v44, v5, v1, vcc
.LBB87_4:
	s_load_dwordx4 s[52:55], s[4:5], 0x70
	s_ashr_i32 s15, s14, 31
	s_ashr_i32 s6, s49, 31
	s_lshl_b32 s42, s8, 5
	v_bfe_u32 v42, v0, 10, 10
	s_waitcnt lgkmcnt(0)
	s_mul_i32 s7, s33, s54
	s_ashr_i32 s11, s7, 31
	s_mul_i32 s10, s14, s53
	s_add_u32 s7, s16, s7
	s_addc_u32 s11, s17, s11
	s_ashr_i32 s12, s10, 31
	v_lshlrev_b32_e32 v38, 2, v42
	v_and_b32_e32 v39, 0x3ff, v0
	s_add_u32 s7, s7, s10
	v_lshlrev_b32_e32 v0, 4, v39
	v_add_u32_e32 v40, s42, v38
	v_add_co_u32_e32 v18, vcc, s7, v0
	v_mul_hi_u32 v0, v40, s36
	v_add_u32_e32 v0, v40, v0
	v_lshrrev_b32_e32 v0, s37, v0
	s_addc_u32 s10, s11, s12
	s_ashr_i32 s12, s52, 31
	v_mul_lo_u32 v0, v0, s38
	v_mov_b32_e32 v2, s52
	v_sub_u32_e32 v0, v40, v0
	v_alignbit_b32 v14, s12, v2, 2
	v_mov_b32_e32 v1, s10
	v_mad_u64_u32 v[2:3], s[10:11], v14, v0, 0
	v_mov_b32_e32 v4, v3
	s_lshr_b32 s7, s12, 2
	v_mad_u64_u32 v[4:5], s[10:11], s7, v0, v[4:5]
	v_mov_b32_e32 v3, v4
	v_or_b32_e32 v36, 1, v38
	v_addc_co_u32_e32 v1, vcc, 0, v1, vcc
	v_lshlrev_b64 v[2:3], 2, v[2:3]
	v_add_u32_e32 v37, s42, v36
	v_add_co_u32_e32 v10, vcc, v18, v2
	v_mul_hi_u32 v2, v37, s36
	v_add_u32_e32 v2, v37, v2
	v_lshrrev_b32_e32 v2, s37, v2
	v_mul_lo_u32 v2, v2, s38
	v_sub_u32_e32 v5, v37, v2
	v_addc_co_u32_e32 v11, vcc, v1, v3, vcc
	v_mad_u64_u32 v[2:3], s[10:11], v14, v5, 0
	v_mov_b32_e32 v4, v3
	v_mad_u64_u32 v[4:5], s[10:11], s7, v5, v[4:5]
	v_mov_b32_e32 v3, v4
	v_lshlrev_b64 v[2:3], 2, v[2:3]
	v_or_b32_e32 v33, 2, v38
	v_add_co_u32_e32 v12, vcc, v18, v2
	v_add_u32_e32 v34, s42, v33
	v_addc_co_u32_e32 v13, vcc, v1, v3, vcc
	global_load_dwordx4 v[2:5], v[10:11], off
	global_load_dwordx4 v[6:9], v[12:13], off
	v_mul_hi_u32 v10, v34, s36
	v_add_u32_e32 v10, v34, v10
	v_lshrrev_b32_e32 v10, s37, v10
	v_mul_lo_u32 v10, v10, s38
	v_sub_u32_e32 v13, v34, v10
	v_or_b32_e32 v21, 3, v38
	v_mad_u64_u32 v[10:11], s[10:11], v14, v13, 0
	v_add_u32_e32 v32, s42, v21
	v_mov_b32_e32 v12, v11
	v_mul_hi_u32 v15, v32, s36
	v_mad_u64_u32 v[12:13], s[10:11], s7, v13, v[12:13]
	v_add_u32_e32 v15, v32, v15
	v_mov_b32_e32 v11, v12
	v_lshrrev_b32_e32 v15, s37, v15
	v_lshlrev_b64 v[10:11], 2, v[10:11]
	v_mul_lo_u32 v15, v15, s38
	v_add_co_u32_e32 v10, vcc, v18, v10
	v_sub_u32_e32 v17, v32, v15
	v_addc_co_u32_e32 v11, vcc, v1, v11, vcc
	v_mad_u64_u32 v[14:15], s[10:11], v14, v17, 0
	global_load_dwordx4 v[10:13], v[10:11], off
	v_mov_b32_e32 v16, v15
	v_mad_u64_u32 v[16:17], s[10:11], s7, v17, v[16:17]
	v_mov_b32_e32 v15, v16
	v_lshlrev_b64 v[14:15], 2, v[14:15]
	v_add_co_u32_e32 v14, vcc, v18, v14
	v_addc_co_u32_e32 v15, vcc, v1, v15, vcc
	global_load_dwordx4 v[14:17], v[14:15], off
	v_lshlrev_b32_e32 v1, 1, v39
	s_cmp_eq_u64 s[26:27], 0
	s_waitcnt vmcnt(3)
	v_pk_mul_f32 v[2:3], v[2:3], s[40:41] op_sel_hi:[1,0]
	v_pk_mul_f32 v[4:5], v[4:5], s[40:41] op_sel_hi:[1,0]
	v_cvt_f16_f32_e32 v18, v3
	v_cvt_f16_f32_e32 v3, v5
	v_cvt_f16_f32_e32 v4, v4
	v_cvt_f16_f32_e32 v2, v2
	v_lshlrev_b32_e32 v5, 8, v42
	v_add_lshl_u32 v5, v5, v1, 2
	v_pack_b32_f16 v3, v4, v3
	v_pack_b32_f16 v2, v2, v18
	ds_write_b64 v5, v[2:3] offset:9216
	s_waitcnt vmcnt(2)
	v_pk_mul_f32 v[2:3], v[6:7], s[40:41] op_sel_hi:[1,0]
	v_pk_mul_f32 v[4:5], v[8:9], s[40:41] op_sel_hi:[1,0]
	v_cvt_f16_f32_e32 v6, v3
	v_cvt_f16_f32_e32 v3, v5
	v_cvt_f16_f32_e32 v4, v4
	v_cvt_f16_f32_e32 v2, v2
	v_lshlrev_b32_e32 v5, 6, v36
	v_add_lshl_u32 v5, v5, v1, 2
	v_pack_b32_f16 v3, v4, v3
	v_pack_b32_f16 v2, v2, v6
	ds_write_b64 v5, v[2:3] offset:9216
	;; [unrolled: 12-line block ×4, first 2 shown]
	s_waitcnt lgkmcnt(0)
	s_barrier
	s_cbranch_scc1 .LBB87_6
; %bb.5:
	s_load_dword s7, s[4:5], 0xd0
	s_mov_b32 s11, 0
	s_waitcnt lgkmcnt(0)
	s_mul_i32 s7, s7, s33
	s_add_i32 s10, s7, s8
	s_lshl_b64 s[10:11], s[10:11], 2
	s_add_u32 s10, s26, s10
	s_addc_u32 s11, s27, s11
	s_load_dword s44, s[10:11], 0x0
.LBB87_6:
	s_nop 0
	s_load_dwordx2 s[10:11], s[4:5], 0x8c
	s_load_dwordx4 s[52:55], s[4:5], 0x98
	s_ashr_i32 s7, s33, 31
	s_ashr_i32 s26, s47, 1
	s_mul_i32 s17, s46, s45
	s_waitcnt lgkmcnt(0)
	s_ashr_i32 s27, s10, 2
	s_mul_i32 s10, s33, s53
	s_mul_hi_u32 s16, s33, s52
	s_add_i32 s10, s16, s10
	s_mul_i32 s16, s7, s52
	s_ashr_i32 s8, s54, 2
	s_add_i32 s10, s10, s16
	s_mul_i32 s16, s33, s52
	s_add_u32 s16, s18, s16
	s_addc_u32 s10, s19, s10
	s_sub_i32 s17, s48, s17
	s_xor_b32 s6, s15, s6
	s_add_i32 s18, s46, 1
	s_sub_i32 s19, s17, s45
	s_cmp_ge_u32 s17, s45
	s_cselect_b32 s18, s18, s46
	s_cselect_b32 s17, s19, s17
	s_add_i32 s19, s18, 1
	s_cmp_ge_u32 s17, s45
	s_cselect_b32 s17, s19, s18
	s_load_dwordx2 s[12:13], s[4:5], 0xa8
	s_xor_b32 s17, s17, s6
	s_sub_i32 s6, s17, s6
	s_mul_i32 s11, s6, s11
	s_ashr_i32 s17, s11, 31
	s_add_u32 s40, s16, s11
	s_addc_u32 s41, s10, s17
	s_waitcnt lgkmcnt(0)
	s_mul_i32 s10, s33, s13
	s_mul_hi_u32 s11, s33, s12
	s_add_i32 s10, s11, s10
	s_mul_i32 s7, s7, s12
	s_add_i32 s10, s10, s7
	s_mul_i32 s7, s33, s12
	s_add_u32 s7, s20, s7
	s_mul_i32 s6, s6, s55
	s_addc_u32 s10, s21, s10
	s_ashr_i32 s11, s6, 31
	s_add_u32 s18, s7, s6
	v_lshlrev_b32_e32 v35, 2, v39
	s_addc_u32 s19, s10, s11
	s_lshl_b32 s20, s9, 6
	s_sub_i32 s21, s44, 64
	s_mov_b32 s48, 0xfeffffff
	s_cmp_ge_i32 s20, s21
	v_mov_b32_e32 v11, 0
	v_mov_b32_e32 v49, 0
	v_mul_lo_u32 v56, v0, s26
	v_lshrrev_b32_e32 v1, 3, v39
	v_and_b32_e32 v0, 28, v35
	v_or_b32_e32 v54, 1, v40
	v_or_b32_e32 v53, 2, v40
	;; [unrolled: 1-line block ×3, first 2 shown]
	v_lshlrev_b32_e32 v41, 3, v39
	v_lshrrev_b32_e32 v43, 4, v39
	v_and_b32_e32 v20, 60, v35
	v_mbcnt_lo_u32_b32 v55, -1, 0
	s_cbranch_scc1 .LBB87_62
; %bb.7:
	v_mov_b32_e32 v6, 0x2400
	v_lshl_add_u32 v60, v42, 10, v6
	v_mul_hi_u32 v6, s36, v54
	v_add_u32_e32 v6, v54, v6
	v_lshrrev_b32_e32 v6, s37, v6
	v_mul_lo_u32 v6, v6, s38
	v_sub_u32_e32 v6, v54, v6
	v_mul_lo_u32 v61, v6, s26
	v_mul_hi_u32 v6, s36, v53
	v_add_u32_e32 v6, v53, v6
	v_lshrrev_b32_e32 v6, s37, v6
	v_mul_lo_u32 v6, v6, s38
	v_sub_u32_e32 v6, v53, v6
	v_mul_lo_u32 v62, v6, s26
	;; [unrolled: 6-line block ×3, first 2 shown]
	v_mov_b32_e32 v6, 0x4400
	v_add_u32_e32 v2, v1, v38
	v_lshlrev_b32_e32 v3, 2, v0
	s_movk_i32 s6, 0x90
	s_cmp_lg_u64 s[34:35], 0
	v_lshl_add_u32 v64, v42, 9, v6
	v_lshl_add_u32 v6, v42, 1, v43
	v_lshlrev_b32_e32 v7, 2, v20
	v_mad_u32_u24 v57, v2, s6, v3
	v_mul_lo_u32 v2, s27, v2
	s_cselect_b64 s[10:11], -1, 0
	v_lshl_or_b32 v65, v6, 8, v7
	v_mul_lo_u32 v6, s8, v6
	s_add_u32 s12, s4, 0xd0
	v_lshl_add_u32 v4, s27, 5, v2
	v_lshl_add_u32 v8, s8, 4, v6
	s_addc_u32 s13, s5, 0
	v_mov_b32_e32 v46, 0
	v_ashrrev_i32_e32 v3, 31, v2
	v_ashrrev_i32_e32 v5, 31, v4
	;; [unrolled: 1-line block ×4, first 2 shown]
	s_add_u32 s43, s34, 64
	v_mov_b32_e32 v18, 0xfeffffff
	v_add_u32_e32 v58, 0x1200, v57
	v_mul_u32_u24_e32 v59, 0x90, v39
	v_add_u32_e32 v66, 0x1000, v65
	s_mov_b32 s22, s23
	s_addc_u32 s45, s35, 0
	v_lshlrev_b64 v[2:3], 2, v[2:3]
	v_lshlrev_b32_e32 v67, 2, v0
	v_lshlrev_b64 v[4:5], 2, v[4:5]
	s_mov_b32 s46, 0x3f200000
	s_mov_b32 s47, 0x3fb8aa3b
	;; [unrolled: 1-line block ×4, first 2 shown]
	v_mov_b32_e32 v68, 0xbd5c1c4e
	v_mov_b32_e32 v69, 0x3e088382
	;; [unrolled: 1-line block ×3, first 2 shown]
	s_brev_b32 s50, -2
	v_mbcnt_hi_u32_b32 v71, -1, v55
	v_lshlrev_b64 v[6:7], 2, v[6:7]
	v_lshlrev_b32_e32 v72, 2, v20
	v_lshlrev_b64 v[16:17], 2, v[8:9]
	v_mov_b32_e32 v73, 0x7f800000
	v_mov_b32_e32 v50, 0
	;; [unrolled: 1-line block ×15, first 2 shown]
.LBB87_8:                               ; =>This Inner Loop Header: Depth=1
	s_mul_hi_i32 s7, s20, s27
	s_mul_i32 s6, s20, s27
	s_lshl_b64 s[6:7], s[6:7], 2
	s_add_u32 s6, s40, s6
	s_addc_u32 s7, s41, s7
	v_mov_b32_e32 v14, s7
	v_add_co_u32_e32 v15, vcc, s6, v2
	v_addc_co_u32_e32 v22, vcc, v14, v3, vcc
	v_add_co_u32_e32 v14, vcc, v15, v67
	v_addc_co_u32_e32 v15, vcc, 0, v22, vcc
	v_mov_b32_e32 v22, s7
	v_add_co_u32_e32 v23, vcc, s6, v4
	v_addc_co_u32_e32 v24, vcc, v22, v5, vcc
	v_add_co_u32_e32 v22, vcc, v23, v67
	v_addc_co_u32_e32 v23, vcc, 0, v24, vcc
	global_load_dwordx4 v[76:79], v[14:15], off
	global_load_dwordx4 v[80:83], v[22:23], off
	v_mov_b32_e32 v25, 0
	v_mov_b32_e32 v31, 0
	;; [unrolled: 1-line block ×8, first 2 shown]
	s_waitcnt vmcnt(1)
	ds_write_b128 v57, v[76:79]
	s_waitcnt vmcnt(0)
	ds_write_b128 v58, v[80:83]
	s_waitcnt lgkmcnt(0)
	s_barrier
	ds_read_b128 v[76:79], v60
	ds_read_b128 v[80:83], v59
	ds_read_b128 v[84:87], v59 offset:4608
	ds_read_b128 v[88:91], v60 offset:256
	;; [unrolled: 1-line block ×4, first 2 shown]
	s_waitcnt lgkmcnt(4)
	;;#ASMSTART
	v_dot2_f32_f16 v25, v80, v76, v25
	;;#ASMEND
	;;#ASMSTART
	v_dot2_f32_f16 v25, v81, v77, v25
	;;#ASMEND
	;;#ASMSTART
	v_dot2_f32_f16 v25, v82, v78, v25
	;;#ASMEND
	;;#ASMSTART
	v_dot2_f32_f16 v25, v83, v79, v25
	;;#ASMEND
	s_waitcnt lgkmcnt(2)
	;;#ASMSTART
	v_dot2_f32_f16 v31, v80, v88, v31
	;;#ASMEND
	;;#ASMSTART
	v_dot2_f32_f16 v31, v81, v89, v31
	;;#ASMEND
	;;#ASMSTART
	v_dot2_f32_f16 v31, v82, v90, v31
	;;#ASMEND
	;;#ASMSTART
	v_dot2_f32_f16 v31, v83, v91, v31
	;;#ASMEND
	;; [unrolled: 13-line block ×4, first 2 shown]
	;;#ASMSTART
	v_dot2_f32_f16 v75, v84, v76, v75
	;;#ASMEND
	;;#ASMSTART
	v_dot2_f32_f16 v75, v85, v77, v75
	;;#ASMEND
	;; [unrolled: 3-line block ×16, first 2 shown]
	ds_read_b128 v[76:79], v60 offset:16
	ds_read_b128 v[80:83], v59 offset:16
	;; [unrolled: 1-line block ×6, first 2 shown]
	s_waitcnt lgkmcnt(4)
	;;#ASMSTART
	v_dot2_f32_f16 v25, v80, v76, v25
	;;#ASMEND
	;;#ASMSTART
	v_dot2_f32_f16 v25, v81, v77, v25
	;;#ASMEND
	;;#ASMSTART
	v_dot2_f32_f16 v25, v82, v78, v25
	;;#ASMEND
	;;#ASMSTART
	v_dot2_f32_f16 v25, v83, v79, v25
	;;#ASMEND
	s_waitcnt lgkmcnt(2)
	;;#ASMSTART
	v_dot2_f32_f16 v31, v80, v88, v31
	;;#ASMEND
	;;#ASMSTART
	v_dot2_f32_f16 v31, v81, v89, v31
	;;#ASMEND
	;;#ASMSTART
	v_dot2_f32_f16 v31, v82, v90, v31
	;;#ASMEND
	;;#ASMSTART
	v_dot2_f32_f16 v31, v83, v91, v31
	;;#ASMEND
	;; [unrolled: 13-line block ×4, first 2 shown]
	;;#ASMSTART
	v_dot2_f32_f16 v75, v84, v76, v75
	;;#ASMEND
	;;#ASMSTART
	v_dot2_f32_f16 v75, v85, v77, v75
	;;#ASMEND
	;; [unrolled: 3-line block ×16, first 2 shown]
	ds_read_b128 v[76:79], v60 offset:32
	ds_read_b128 v[80:83], v59 offset:32
	;; [unrolled: 1-line block ×6, first 2 shown]
	s_waitcnt lgkmcnt(4)
	;;#ASMSTART
	v_dot2_f32_f16 v25, v80, v76, v25
	;;#ASMEND
	;;#ASMSTART
	v_dot2_f32_f16 v25, v81, v77, v25
	;;#ASMEND
	;;#ASMSTART
	v_dot2_f32_f16 v25, v82, v78, v25
	;;#ASMEND
	;;#ASMSTART
	v_dot2_f32_f16 v25, v83, v79, v25
	;;#ASMEND
	s_waitcnt lgkmcnt(2)
	;;#ASMSTART
	v_dot2_f32_f16 v31, v80, v88, v31
	;;#ASMEND
	;;#ASMSTART
	v_dot2_f32_f16 v31, v81, v89, v31
	;;#ASMEND
	;;#ASMSTART
	v_dot2_f32_f16 v31, v82, v90, v31
	;;#ASMEND
	;;#ASMSTART
	v_dot2_f32_f16 v31, v83, v91, v31
	;;#ASMEND
	;; [unrolled: 13-line block ×4, first 2 shown]
	;;#ASMSTART
	v_dot2_f32_f16 v75, v84, v76, v75
	;;#ASMEND
	;;#ASMSTART
	v_dot2_f32_f16 v75, v85, v77, v75
	;;#ASMEND
	;;#ASMSTART
	v_dot2_f32_f16 v75, v86, v78, v75
	;;#ASMEND
	;;#ASMSTART
	v_dot2_f32_f16 v75, v87, v79, v75
	;;#ASMEND
	;;#ASMSTART
	v_dot2_f32_f16 v74, v84, v88, v74
	;;#ASMEND
	;;#ASMSTART
	v_dot2_f32_f16 v74, v85, v89, v74
	;;#ASMEND
	;;#ASMSTART
	v_dot2_f32_f16 v74, v86, v90, v74
	;;#ASMEND
	;;#ASMSTART
	v_dot2_f32_f16 v74, v87, v91, v74
	;;#ASMEND
	;;#ASMSTART
	v_dot2_f32_f16 v27, v84, v92, v27
	;;#ASMEND
	;;#ASMSTART
	v_dot2_f32_f16 v27, v85, v93, v27
	;;#ASMEND
	;;#ASMSTART
	v_dot2_f32_f16 v27, v86, v94, v27
	;;#ASMEND
	;;#ASMSTART
	v_dot2_f32_f16 v27, v87, v95, v27
	;;#ASMEND
	;;#ASMSTART
	v_dot2_f32_f16 v30, v84, v96, v30
	;;#ASMEND
	;;#ASMSTART
	v_dot2_f32_f16 v30, v85, v97, v30
	;;#ASMEND
	;;#ASMSTART
	v_dot2_f32_f16 v30, v86, v98, v30
	;;#ASMEND
	;;#ASMSTART
	v_dot2_f32_f16 v30, v87, v99, v30
	;;#ASMEND
	ds_read_b128 v[76:79], v60 offset:48
	ds_read_b128 v[80:83], v59 offset:48
	;; [unrolled: 1-line block ×6, first 2 shown]
	s_waitcnt lgkmcnt(4)
	;;#ASMSTART
	v_dot2_f32_f16 v25, v80, v76, v25
	;;#ASMEND
	;;#ASMSTART
	v_dot2_f32_f16 v25, v81, v77, v25
	;;#ASMEND
	;;#ASMSTART
	v_dot2_f32_f16 v25, v82, v78, v25
	;;#ASMEND
	;;#ASMSTART
	v_dot2_f32_f16 v25, v83, v79, v25
	;;#ASMEND
	s_waitcnt lgkmcnt(2)
	;;#ASMSTART
	v_dot2_f32_f16 v31, v80, v88, v31
	;;#ASMEND
	;;#ASMSTART
	v_dot2_f32_f16 v31, v81, v89, v31
	;;#ASMEND
	;;#ASMSTART
	v_dot2_f32_f16 v31, v82, v90, v31
	;;#ASMEND
	;;#ASMSTART
	v_dot2_f32_f16 v31, v83, v91, v31
	;;#ASMEND
	;; [unrolled: 13-line block ×4, first 2 shown]
	;;#ASMSTART
	v_dot2_f32_f16 v75, v84, v76, v75
	;;#ASMEND
	;;#ASMSTART
	v_dot2_f32_f16 v75, v85, v77, v75
	;;#ASMEND
	;; [unrolled: 3-line block ×16, first 2 shown]
	ds_read_b128 v[76:79], v60 offset:64
	ds_read_b128 v[80:83], v59 offset:64
	;; [unrolled: 1-line block ×6, first 2 shown]
	s_waitcnt lgkmcnt(4)
	;;#ASMSTART
	v_dot2_f32_f16 v25, v80, v76, v25
	;;#ASMEND
	;;#ASMSTART
	v_dot2_f32_f16 v25, v81, v77, v25
	;;#ASMEND
	;;#ASMSTART
	v_dot2_f32_f16 v25, v82, v78, v25
	;;#ASMEND
	;;#ASMSTART
	v_dot2_f32_f16 v25, v83, v79, v25
	;;#ASMEND
	s_waitcnt lgkmcnt(2)
	;;#ASMSTART
	v_dot2_f32_f16 v31, v80, v88, v31
	;;#ASMEND
	;;#ASMSTART
	v_dot2_f32_f16 v31, v81, v89, v31
	;;#ASMEND
	;;#ASMSTART
	v_dot2_f32_f16 v31, v82, v90, v31
	;;#ASMEND
	;;#ASMSTART
	v_dot2_f32_f16 v31, v83, v91, v31
	;;#ASMEND
	;; [unrolled: 13-line block ×4, first 2 shown]
	;;#ASMSTART
	v_dot2_f32_f16 v75, v84, v76, v75
	;;#ASMEND
	;;#ASMSTART
	v_dot2_f32_f16 v75, v85, v77, v75
	;;#ASMEND
	;; [unrolled: 3-line block ×16, first 2 shown]
	ds_read_b128 v[76:79], v60 offset:80
	ds_read_b128 v[80:83], v59 offset:80
	;; [unrolled: 1-line block ×6, first 2 shown]
	s_waitcnt lgkmcnt(4)
	;;#ASMSTART
	v_dot2_f32_f16 v25, v80, v76, v25
	;;#ASMEND
	;;#ASMSTART
	v_dot2_f32_f16 v25, v81, v77, v25
	;;#ASMEND
	;;#ASMSTART
	v_dot2_f32_f16 v25, v82, v78, v25
	;;#ASMEND
	;;#ASMSTART
	v_dot2_f32_f16 v25, v83, v79, v25
	;;#ASMEND
	s_waitcnt lgkmcnt(2)
	;;#ASMSTART
	v_dot2_f32_f16 v31, v80, v88, v31
	;;#ASMEND
	;;#ASMSTART
	v_dot2_f32_f16 v31, v81, v89, v31
	;;#ASMEND
	;;#ASMSTART
	v_dot2_f32_f16 v31, v82, v90, v31
	;;#ASMEND
	;;#ASMSTART
	v_dot2_f32_f16 v31, v83, v91, v31
	;;#ASMEND
	;; [unrolled: 13-line block ×4, first 2 shown]
	;;#ASMSTART
	v_dot2_f32_f16 v75, v84, v76, v75
	;;#ASMEND
	;;#ASMSTART
	v_dot2_f32_f16 v75, v85, v77, v75
	;;#ASMEND
	;; [unrolled: 3-line block ×16, first 2 shown]
	ds_read_b128 v[76:79], v60 offset:96
	ds_read_b128 v[80:83], v59 offset:96
	;; [unrolled: 1-line block ×6, first 2 shown]
	s_waitcnt lgkmcnt(4)
	;;#ASMSTART
	v_dot2_f32_f16 v25, v80, v76, v25
	;;#ASMEND
	;;#ASMSTART
	v_dot2_f32_f16 v25, v81, v77, v25
	;;#ASMEND
	;;#ASMSTART
	v_dot2_f32_f16 v25, v82, v78, v25
	;;#ASMEND
	;;#ASMSTART
	v_dot2_f32_f16 v25, v83, v79, v25
	;;#ASMEND
	s_waitcnt lgkmcnt(2)
	;;#ASMSTART
	v_dot2_f32_f16 v31, v80, v88, v31
	;;#ASMEND
	;;#ASMSTART
	v_dot2_f32_f16 v31, v81, v89, v31
	;;#ASMEND
	;;#ASMSTART
	v_dot2_f32_f16 v31, v82, v90, v31
	;;#ASMEND
	;;#ASMSTART
	v_dot2_f32_f16 v31, v83, v91, v31
	;;#ASMEND
	;; [unrolled: 13-line block ×4, first 2 shown]
	;;#ASMSTART
	v_dot2_f32_f16 v75, v84, v76, v75
	;;#ASMEND
	;;#ASMSTART
	v_dot2_f32_f16 v75, v85, v77, v75
	;;#ASMEND
	;; [unrolled: 3-line block ×16, first 2 shown]
	ds_read_b128 v[76:79], v60 offset:112
	ds_read_b128 v[80:83], v59 offset:112
	;; [unrolled: 1-line block ×6, first 2 shown]
	s_waitcnt lgkmcnt(4)
	;;#ASMSTART
	v_dot2_f32_f16 v25, v80, v76, v25
	;;#ASMEND
	;;#ASMSTART
	v_dot2_f32_f16 v25, v81, v77, v25
	;;#ASMEND
	;;#ASMSTART
	v_dot2_f32_f16 v25, v82, v78, v25
	;;#ASMEND
	;;#ASMSTART
	v_dot2_f32_f16 v25, v83, v79, v25
	;;#ASMEND
	s_waitcnt lgkmcnt(2)
	;;#ASMSTART
	v_dot2_f32_f16 v31, v80, v88, v31
	;;#ASMEND
	;;#ASMSTART
	v_dot2_f32_f16 v31, v81, v89, v31
	;;#ASMEND
	;;#ASMSTART
	v_dot2_f32_f16 v31, v82, v90, v31
	;;#ASMEND
	;;#ASMSTART
	v_dot2_f32_f16 v31, v83, v91, v31
	;;#ASMEND
	;; [unrolled: 13-line block ×4, first 2 shown]
	;;#ASMSTART
	v_dot2_f32_f16 v75, v84, v76, v75
	;;#ASMEND
	;;#ASMSTART
	v_dot2_f32_f16 v75, v85, v77, v75
	;;#ASMEND
	;; [unrolled: 3-line block ×16, first 2 shown]
	s_barrier
	global_load_dwordx4 v[76:79], v[14:15], off offset:128
	global_load_dwordx4 v[80:83], v[22:23], off offset:128
	s_waitcnt vmcnt(1)
	ds_write_b128 v57, v[76:79]
	s_waitcnt vmcnt(0)
	ds_write_b128 v58, v[80:83]
	s_waitcnt lgkmcnt(0)
	s_barrier
	ds_read_b128 v[76:79], v60 offset:128
	ds_read_b128 v[80:83], v59
	ds_read_b128 v[84:87], v59 offset:4608
	ds_read_b128 v[88:91], v60 offset:384
	ds_read_b128 v[92:95], v60 offset:640
	ds_read_b128 v[96:99], v60 offset:896
	s_waitcnt lgkmcnt(4)
	;;#ASMSTART
	v_dot2_f32_f16 v25, v80, v76, v25
	;;#ASMEND
	;;#ASMSTART
	v_dot2_f32_f16 v25, v81, v77, v25
	;;#ASMEND
	;;#ASMSTART
	v_dot2_f32_f16 v25, v82, v78, v25
	;;#ASMEND
	;;#ASMSTART
	v_dot2_f32_f16 v25, v83, v79, v25
	;;#ASMEND
	s_waitcnt lgkmcnt(2)
	;;#ASMSTART
	v_dot2_f32_f16 v31, v80, v88, v31
	;;#ASMEND
	;;#ASMSTART
	v_dot2_f32_f16 v31, v81, v89, v31
	;;#ASMEND
	;;#ASMSTART
	v_dot2_f32_f16 v31, v82, v90, v31
	;;#ASMEND
	;;#ASMSTART
	v_dot2_f32_f16 v31, v83, v91, v31
	;;#ASMEND
	;; [unrolled: 13-line block ×4, first 2 shown]
	;;#ASMSTART
	v_dot2_f32_f16 v75, v84, v76, v75
	;;#ASMEND
	;;#ASMSTART
	v_dot2_f32_f16 v75, v85, v77, v75
	;;#ASMEND
	;; [unrolled: 3-line block ×16, first 2 shown]
	ds_read_b128 v[76:79], v60 offset:144
	ds_read_b128 v[80:83], v59 offset:16
	;; [unrolled: 1-line block ×6, first 2 shown]
	s_waitcnt lgkmcnt(4)
	;;#ASMSTART
	v_dot2_f32_f16 v25, v80, v76, v25
	;;#ASMEND
	;;#ASMSTART
	v_dot2_f32_f16 v25, v81, v77, v25
	;;#ASMEND
	;;#ASMSTART
	v_dot2_f32_f16 v25, v82, v78, v25
	;;#ASMEND
	;;#ASMSTART
	v_dot2_f32_f16 v25, v83, v79, v25
	;;#ASMEND
	s_waitcnt lgkmcnt(2)
	;;#ASMSTART
	v_dot2_f32_f16 v31, v80, v88, v31
	;;#ASMEND
	;;#ASMSTART
	v_dot2_f32_f16 v31, v81, v89, v31
	;;#ASMEND
	;;#ASMSTART
	v_dot2_f32_f16 v31, v82, v90, v31
	;;#ASMEND
	;;#ASMSTART
	v_dot2_f32_f16 v31, v83, v91, v31
	;;#ASMEND
	;; [unrolled: 13-line block ×4, first 2 shown]
	;;#ASMSTART
	v_dot2_f32_f16 v75, v84, v76, v75
	;;#ASMEND
	;;#ASMSTART
	v_dot2_f32_f16 v75, v85, v77, v75
	;;#ASMEND
	;; [unrolled: 3-line block ×16, first 2 shown]
	ds_read_b128 v[76:79], v60 offset:160
	ds_read_b128 v[80:83], v59 offset:32
	;; [unrolled: 1-line block ×6, first 2 shown]
	s_waitcnt lgkmcnt(4)
	;;#ASMSTART
	v_dot2_f32_f16 v25, v80, v76, v25
	;;#ASMEND
	;;#ASMSTART
	v_dot2_f32_f16 v25, v81, v77, v25
	;;#ASMEND
	;;#ASMSTART
	v_dot2_f32_f16 v25, v82, v78, v25
	;;#ASMEND
	;;#ASMSTART
	v_dot2_f32_f16 v25, v83, v79, v25
	;;#ASMEND
	s_waitcnt lgkmcnt(2)
	;;#ASMSTART
	v_dot2_f32_f16 v31, v80, v88, v31
	;;#ASMEND
	;;#ASMSTART
	v_dot2_f32_f16 v31, v81, v89, v31
	;;#ASMEND
	;;#ASMSTART
	v_dot2_f32_f16 v31, v82, v90, v31
	;;#ASMEND
	;;#ASMSTART
	v_dot2_f32_f16 v31, v83, v91, v31
	;;#ASMEND
	;; [unrolled: 13-line block ×4, first 2 shown]
	;;#ASMSTART
	v_dot2_f32_f16 v75, v84, v76, v75
	;;#ASMEND
	;;#ASMSTART
	v_dot2_f32_f16 v75, v85, v77, v75
	;;#ASMEND
	;;#ASMSTART
	v_dot2_f32_f16 v75, v86, v78, v75
	;;#ASMEND
	;;#ASMSTART
	v_dot2_f32_f16 v75, v87, v79, v75
	;;#ASMEND
	;;#ASMSTART
	v_dot2_f32_f16 v74, v84, v88, v74
	;;#ASMEND
	;;#ASMSTART
	v_dot2_f32_f16 v74, v85, v89, v74
	;;#ASMEND
	;;#ASMSTART
	v_dot2_f32_f16 v74, v86, v90, v74
	;;#ASMEND
	;;#ASMSTART
	v_dot2_f32_f16 v74, v87, v91, v74
	;;#ASMEND
	;;#ASMSTART
	v_dot2_f32_f16 v27, v84, v92, v27
	;;#ASMEND
	;;#ASMSTART
	v_dot2_f32_f16 v27, v85, v93, v27
	;;#ASMEND
	;;#ASMSTART
	v_dot2_f32_f16 v27, v86, v94, v27
	;;#ASMEND
	;;#ASMSTART
	v_dot2_f32_f16 v27, v87, v95, v27
	;;#ASMEND
	;;#ASMSTART
	v_dot2_f32_f16 v30, v84, v96, v30
	;;#ASMEND
	;;#ASMSTART
	v_dot2_f32_f16 v30, v85, v97, v30
	;;#ASMEND
	;;#ASMSTART
	v_dot2_f32_f16 v30, v86, v98, v30
	;;#ASMEND
	;;#ASMSTART
	v_dot2_f32_f16 v30, v87, v99, v30
	;;#ASMEND
	ds_read_b128 v[76:79], v60 offset:176
	ds_read_b128 v[80:83], v59 offset:48
	;; [unrolled: 1-line block ×6, first 2 shown]
	s_waitcnt lgkmcnt(4)
	;;#ASMSTART
	v_dot2_f32_f16 v25, v80, v76, v25
	;;#ASMEND
	;;#ASMSTART
	v_dot2_f32_f16 v25, v81, v77, v25
	;;#ASMEND
	;;#ASMSTART
	v_dot2_f32_f16 v25, v82, v78, v25
	;;#ASMEND
	;;#ASMSTART
	v_dot2_f32_f16 v25, v83, v79, v25
	;;#ASMEND
	s_waitcnt lgkmcnt(2)
	;;#ASMSTART
	v_dot2_f32_f16 v31, v80, v88, v31
	;;#ASMEND
	;;#ASMSTART
	v_dot2_f32_f16 v31, v81, v89, v31
	;;#ASMEND
	;;#ASMSTART
	v_dot2_f32_f16 v31, v82, v90, v31
	;;#ASMEND
	;;#ASMSTART
	v_dot2_f32_f16 v31, v83, v91, v31
	;;#ASMEND
	;; [unrolled: 13-line block ×4, first 2 shown]
	;;#ASMSTART
	v_dot2_f32_f16 v75, v84, v76, v75
	;;#ASMEND
	;;#ASMSTART
	v_dot2_f32_f16 v75, v85, v77, v75
	;;#ASMEND
	;; [unrolled: 3-line block ×16, first 2 shown]
	ds_read_b128 v[76:79], v60 offset:192
	ds_read_b128 v[80:83], v59 offset:64
	;; [unrolled: 1-line block ×6, first 2 shown]
	s_waitcnt lgkmcnt(4)
	;;#ASMSTART
	v_dot2_f32_f16 v25, v80, v76, v25
	;;#ASMEND
	;;#ASMSTART
	v_dot2_f32_f16 v25, v81, v77, v25
	;;#ASMEND
	;;#ASMSTART
	v_dot2_f32_f16 v25, v82, v78, v25
	;;#ASMEND
	;;#ASMSTART
	v_dot2_f32_f16 v25, v83, v79, v25
	;;#ASMEND
	s_waitcnt lgkmcnt(2)
	;;#ASMSTART
	v_dot2_f32_f16 v31, v80, v88, v31
	;;#ASMEND
	;;#ASMSTART
	v_dot2_f32_f16 v31, v81, v89, v31
	;;#ASMEND
	;;#ASMSTART
	v_dot2_f32_f16 v31, v82, v90, v31
	;;#ASMEND
	;;#ASMSTART
	v_dot2_f32_f16 v31, v83, v91, v31
	;;#ASMEND
	;; [unrolled: 13-line block ×4, first 2 shown]
	;;#ASMSTART
	v_dot2_f32_f16 v75, v84, v76, v75
	;;#ASMEND
	;;#ASMSTART
	v_dot2_f32_f16 v75, v85, v77, v75
	;;#ASMEND
	;; [unrolled: 3-line block ×16, first 2 shown]
	ds_read_b128 v[76:79], v60 offset:208
	ds_read_b128 v[80:83], v59 offset:80
	;; [unrolled: 1-line block ×6, first 2 shown]
	s_waitcnt lgkmcnt(4)
	;;#ASMSTART
	v_dot2_f32_f16 v25, v80, v76, v25
	;;#ASMEND
	;;#ASMSTART
	v_dot2_f32_f16 v25, v81, v77, v25
	;;#ASMEND
	;;#ASMSTART
	v_dot2_f32_f16 v25, v82, v78, v25
	;;#ASMEND
	;;#ASMSTART
	v_dot2_f32_f16 v25, v83, v79, v25
	;;#ASMEND
	s_waitcnt lgkmcnt(2)
	;;#ASMSTART
	v_dot2_f32_f16 v31, v80, v88, v31
	;;#ASMEND
	;;#ASMSTART
	v_dot2_f32_f16 v31, v81, v89, v31
	;;#ASMEND
	;;#ASMSTART
	v_dot2_f32_f16 v31, v82, v90, v31
	;;#ASMEND
	;;#ASMSTART
	v_dot2_f32_f16 v31, v83, v91, v31
	;;#ASMEND
	;; [unrolled: 13-line block ×4, first 2 shown]
	;;#ASMSTART
	v_dot2_f32_f16 v75, v84, v76, v75
	;;#ASMEND
	;;#ASMSTART
	v_dot2_f32_f16 v75, v85, v77, v75
	;;#ASMEND
	;; [unrolled: 3-line block ×16, first 2 shown]
	ds_read_b128 v[76:79], v60 offset:224
	ds_read_b128 v[80:83], v59 offset:96
	;; [unrolled: 1-line block ×6, first 2 shown]
	s_waitcnt lgkmcnt(4)
	;;#ASMSTART
	v_dot2_f32_f16 v25, v80, v76, v25
	;;#ASMEND
	;;#ASMSTART
	v_dot2_f32_f16 v25, v81, v77, v25
	;;#ASMEND
	;;#ASMSTART
	v_dot2_f32_f16 v25, v82, v78, v25
	;;#ASMEND
	;;#ASMSTART
	v_dot2_f32_f16 v25, v83, v79, v25
	;;#ASMEND
	s_waitcnt lgkmcnt(2)
	;;#ASMSTART
	v_dot2_f32_f16 v31, v80, v88, v31
	;;#ASMEND
	;;#ASMSTART
	v_dot2_f32_f16 v31, v81, v89, v31
	;;#ASMEND
	;;#ASMSTART
	v_dot2_f32_f16 v31, v82, v90, v31
	;;#ASMEND
	;;#ASMSTART
	v_dot2_f32_f16 v31, v83, v91, v31
	;;#ASMEND
	;; [unrolled: 13-line block ×4, first 2 shown]
	;;#ASMSTART
	v_dot2_f32_f16 v75, v84, v76, v75
	;;#ASMEND
	;;#ASMSTART
	v_dot2_f32_f16 v75, v85, v77, v75
	;;#ASMEND
	;; [unrolled: 3-line block ×16, first 2 shown]
	ds_read_b128 v[76:79], v60 offset:240
	ds_read_b128 v[80:83], v59 offset:112
	;; [unrolled: 1-line block ×6, first 2 shown]
	s_waitcnt lgkmcnt(4)
	;;#ASMSTART
	v_dot2_f32_f16 v25, v80, v76, v25
	;;#ASMEND
	;;#ASMSTART
	v_dot2_f32_f16 v25, v81, v77, v25
	;;#ASMEND
	;;#ASMSTART
	v_dot2_f32_f16 v25, v82, v78, v25
	;;#ASMEND
	;;#ASMSTART
	v_dot2_f32_f16 v25, v83, v79, v25
	;;#ASMEND
	s_waitcnt lgkmcnt(2)
	;;#ASMSTART
	v_dot2_f32_f16 v31, v80, v88, v31
	;;#ASMEND
	;;#ASMSTART
	v_dot2_f32_f16 v31, v81, v89, v31
	;;#ASMEND
	;;#ASMSTART
	v_dot2_f32_f16 v31, v82, v90, v31
	;;#ASMEND
	;;#ASMSTART
	v_dot2_f32_f16 v31, v83, v91, v31
	;;#ASMEND
	;; [unrolled: 13-line block ×4, first 2 shown]
	;;#ASMSTART
	v_dot2_f32_f16 v75, v84, v76, v75
	;;#ASMEND
	;;#ASMSTART
	v_dot2_f32_f16 v75, v85, v77, v75
	;;#ASMEND
	;; [unrolled: 3-line block ×15, first 2 shown]
	v_cmp_nlt_f32_e64 s[6:7], |v25|, s46
	;;#ASMSTART
	v_dot2_f32_f16 v30, v87, v99, v30
	;;#ASMEND
                                        ; implicit-def: $vgpr23
	s_and_saveexec_b64 s[16:17], s[6:7]
	s_xor_b64 s[6:7], exec, s[16:17]
	s_cbranch_execz .LBB87_10
; %bb.9:                                ;   in Loop: Header=BB87_8 Depth=1
	v_add_f32_e64 v14, |v25|, |v25|
	v_mul_f32_e32 v15, 0x3fb8aa3b, v14
	v_rndne_f32_e32 v22, v15
	v_sub_f32_e32 v23, v15, v22
	v_fma_f32 v15, v14, s47, -v15
	v_fmac_f32_e32 v15, 0x32a5705f, v14
	v_add_f32_e32 v15, v23, v15
	v_cvt_i32_f32_e32 v22, v22
	v_exp_f32_e32 v15, v15
	v_cmp_ngt_f32_e32 vcc, s48, v14
	v_ldexp_f32 v15, v15, v22
	v_cndmask_b32_e32 v15, 0, v15, vcc
	v_cmp_nlt_f32_e32 vcc, s49, v14
	v_cndmask_b32_e32 v14, v73, v15, vcc
	v_add_f32_e32 v14, 1.0, v14
	v_rcp_f32_e32 v14, v14
	v_fma_f32 v23, v14, -2.0, 1.0
.LBB87_10:                              ;   in Loop: Header=BB87_8 Depth=1
	s_andn2_saveexec_b64 s[6:7], s[6:7]
; %bb.11:                               ;   in Loop: Header=BB87_8 Depth=1
	v_mul_f32_e32 v14, v25, v25
	v_mov_b32_e32 v15, 0x3ca908c9
	v_fmac_f32_e32 v15, 0xbbbac73d, v14
	v_fma_f32 v15, v14, v15, v68
	v_fma_f32 v15, v14, v15, v69
	v_fma_f32 v15, v14, v15, v70
	v_mul_f32_e64 v15, |v25|, v15
	v_fma_f32 v23, v14, v15, |v25|
; %bb.12:                               ;   in Loop: Header=BB87_8 Depth=1
	s_or_b64 exec, exec, s[6:7]
	v_add_u32_e32 v78, s20, v39
	v_add_u32_e32 v14, v78, v56
	v_cndmask_b32_e64 v15, 0, 1, s[10:11]
	v_cmp_ne_u32_e64 s[6:7], 1, v15
	s_andn2_b64 vcc, exec, s[10:11]
	v_ashrrev_i32_e32 v15, 31, v14
	s_cbranch_vccnz .LBB87_58
; %bb.13:                               ;   in Loop: Header=BB87_8 Depth=1
	v_lshlrev_b64 v[76:77], 1, v[14:15]
	v_mov_b32_e32 v22, s35
	v_add_co_u32_e32 v76, vcc, s34, v76
	v_addc_co_u32_e32 v77, vcc, v22, v77, vcc
	flat_load_ushort v22, v[76:77]
	s_waitcnt vmcnt(0) lgkmcnt(0)
	v_cvt_f32_f16_e32 v22, v22
	v_mul_f32_e32 v24, v44, v22
	v_cmp_nlt_f32_e64 s[16:17], |v75|, s46
                                        ; implicit-def: $vgpr76
	s_and_saveexec_b64 s[52:53], s[16:17]
	s_xor_b64 s[16:17], exec, s[52:53]
	s_cbranch_execz .LBB87_15
.LBB87_14:                              ;   in Loop: Header=BB87_8 Depth=1
	v_add_f32_e64 v22, |v75|, |v75|
	v_mul_f32_e32 v76, 0x3fb8aa3b, v22
	v_rndne_f32_e32 v77, v76
	v_sub_f32_e32 v79, v76, v77
	v_fma_f32 v76, v22, s47, -v76
	v_fmac_f32_e32 v76, 0x32a5705f, v22
	v_add_f32_e32 v76, v79, v76
	v_cvt_i32_f32_e32 v77, v77
	v_exp_f32_e32 v76, v76
	v_cmp_ngt_f32_e32 vcc, s48, v22
	v_ldexp_f32 v76, v76, v77
	v_cndmask_b32_e32 v76, 0, v76, vcc
	v_cmp_nlt_f32_e32 vcc, s49, v22
	v_cndmask_b32_e32 v22, v73, v76, vcc
	v_add_f32_e32 v22, 1.0, v22
	v_rcp_f32_e32 v22, v22
	v_fma_f32 v76, v22, -2.0, 1.0
.LBB87_15:                              ;   in Loop: Header=BB87_8 Depth=1
	s_andn2_saveexec_b64 s[16:17], s[16:17]
	s_cbranch_execz .LBB87_18
; %bb.16:                               ;   in Loop: Header=BB87_8 Depth=1
	v_mul_f32_e32 v22, v75, v75
	v_mov_b32_e32 v76, 0x3ca908c9
	v_fmac_f32_e32 v76, 0xbbbac73d, v22
	v_fma_f32 v76, v22, v76, v68
	v_fma_f32 v76, v22, v76, v69
	;; [unrolled: 1-line block ×3, first 2 shown]
	v_mul_f32_e64 v76, |v75|, v76
	v_fma_f32 v76, v22, v76, |v75|
	s_or_b64 exec, exec, s[16:17]
	s_and_b64 vcc, exec, s[6:7]
	s_cbranch_vccz .LBB87_19
.LBB87_17:                              ;   in Loop: Header=BB87_8 Depth=1
	v_mov_b32_e32 v22, 0
	s_branch .LBB87_20
.LBB87_18:                              ;   in Loop: Header=BB87_8 Depth=1
	s_or_b64 exec, exec, s[16:17]
	s_and_b64 vcc, exec, s[6:7]
	s_cbranch_vccnz .LBB87_17
.LBB87_19:                              ;   in Loop: Header=BB87_8 Depth=1
	v_lshlrev_b64 v[14:15], 1, v[14:15]
	v_mov_b32_e32 v22, s45
	v_add_co_u32_e32 v14, vcc, s43, v14
	v_addc_co_u32_e32 v15, vcc, v22, v15, vcc
	flat_load_ushort v14, v[14:15]
	s_waitcnt vmcnt(0) lgkmcnt(0)
	v_cvt_f32_f16_e32 v14, v14
	v_mul_f32_e32 v22, v44, v14
.LBB87_20:                              ;   in Loop: Header=BB87_8 Depth=1
	v_bfi_b32 v15, s50, v23, v25
	v_and_b32_e32 v23, 0x60, v71
	v_bfi_b32 v14, s50, v76, v75
	v_add_u32_e32 v23, 32, v23
	v_xor_b32_e32 v25, 16, v71
	v_fmac_f32_e32 v24, s23, v15
	v_cmp_lt_i32_e32 vcc, v25, v23
	v_fmac_f32_e32 v22, s23, v14
	v_add_f32_e32 v15, 0x40051340, v24
	v_cndmask_b32_e32 v25, v71, v25, vcc
	v_add_f32_e32 v14, 0x40051340, v22
	v_lshlrev_b32_e32 v77, 2, v25
	v_max3_f32 v14, v18, v15, v14
	ds_bpermute_b32 v15, v77, v14
	v_xor_b32_e32 v25, 8, v71
	v_cmp_lt_i32_e32 vcc, v25, v23
	v_cndmask_b32_e32 v25, v71, v25, vcc
	v_lshlrev_b32_e32 v82, 2, v25
	s_waitcnt lgkmcnt(0)
	v_max_f32_e32 v15, v15, v15
	v_max_f32_e32 v14, v14, v15
	ds_bpermute_b32 v15, v82, v14
	v_xor_b32_e32 v25, 4, v71
	v_cmp_lt_i32_e32 vcc, v25, v23
	v_cndmask_b32_e32 v25, v71, v25, vcc
	v_lshlrev_b32_e32 v81, 2, v25
	s_waitcnt lgkmcnt(0)
	v_max_f32_e32 v15, v15, v15
	v_max_f32_e32 v14, v14, v15
	;; [unrolled: 8-line block ×4, first 2 shown]
	ds_bpermute_b32 v76, v79, v75
	v_cmp_nlt_f32_e64 s[16:17], |v31|, s46
                                        ; implicit-def: $vgpr83
	s_and_saveexec_b64 s[52:53], s[16:17]
	s_xor_b64 s[16:17], exec, s[52:53]
	s_cbranch_execz .LBB87_22
; %bb.21:                               ;   in Loop: Header=BB87_8 Depth=1
	v_add_f32_e64 v14, |v31|, |v31|
	v_mul_f32_e32 v15, 0x3fb8aa3b, v14
	v_rndne_f32_e32 v23, v15
	v_sub_f32_e32 v25, v15, v23
	v_fma_f32 v15, v14, s47, -v15
	v_fmac_f32_e32 v15, 0x32a5705f, v14
	v_add_f32_e32 v15, v25, v15
	v_cvt_i32_f32_e32 v23, v23
	v_exp_f32_e32 v15, v15
	v_cmp_ngt_f32_e32 vcc, s48, v14
	v_ldexp_f32 v15, v15, v23
	v_cndmask_b32_e32 v15, 0, v15, vcc
	v_cmp_nlt_f32_e32 vcc, s49, v14
	v_cndmask_b32_e32 v14, v73, v15, vcc
	v_add_f32_e32 v14, 1.0, v14
	v_rcp_f32_e32 v14, v14
	v_fma_f32 v83, v14, -2.0, 1.0
.LBB87_22:                              ;   in Loop: Header=BB87_8 Depth=1
	s_andn2_saveexec_b64 s[16:17], s[16:17]
; %bb.23:                               ;   in Loop: Header=BB87_8 Depth=1
	v_mul_f32_e32 v14, v31, v31
	v_mov_b32_e32 v15, 0x3ca908c9
	v_fmac_f32_e32 v15, 0xbbbac73d, v14
	v_fma_f32 v15, v14, v15, v68
	v_fma_f32 v15, v14, v15, v69
	;; [unrolled: 1-line block ×3, first 2 shown]
	v_mul_f32_e64 v15, |v31|, v15
	v_fma_f32 v83, v14, v15, |v31|
; %bb.24:                               ;   in Loop: Header=BB87_8 Depth=1
	s_or_b64 exec, exec, s[16:17]
	v_add_u32_e32 v14, v78, v61
	s_and_b64 vcc, exec, s[6:7]
	v_ashrrev_i32_e32 v15, 31, v14
	s_cbranch_vccnz .LBB87_59
; %bb.25:                               ;   in Loop: Header=BB87_8 Depth=1
	v_lshlrev_b64 v[84:85], 1, v[14:15]
	v_mov_b32_e32 v23, s35
	v_add_co_u32_e32 v84, vcc, s34, v84
	v_addc_co_u32_e32 v85, vcc, v23, v85, vcc
	flat_load_ushort v23, v[84:85]
	s_waitcnt vmcnt(0) lgkmcnt(0)
	v_cvt_f32_f16_e32 v23, v23
	v_mul_f32_e32 v25, v44, v23
	v_cmp_nlt_f32_e64 s[16:17], |v74|, s46
                                        ; implicit-def: $vgpr84
	s_and_saveexec_b64 s[52:53], s[16:17]
	s_xor_b64 s[16:17], exec, s[52:53]
	s_cbranch_execz .LBB87_27
.LBB87_26:                              ;   in Loop: Header=BB87_8 Depth=1
	v_add_f32_e64 v23, |v74|, |v74|
	v_mul_f32_e32 v84, 0x3fb8aa3b, v23
	v_rndne_f32_e32 v85, v84
	v_sub_f32_e32 v86, v84, v85
	v_fma_f32 v84, v23, s47, -v84
	v_fmac_f32_e32 v84, 0x32a5705f, v23
	v_add_f32_e32 v84, v86, v84
	v_cvt_i32_f32_e32 v85, v85
	v_exp_f32_e32 v84, v84
	v_cmp_ngt_f32_e32 vcc, s48, v23
	v_ldexp_f32 v84, v84, v85
	v_cndmask_b32_e32 v84, 0, v84, vcc
	v_cmp_nlt_f32_e32 vcc, s49, v23
	v_cndmask_b32_e32 v23, v73, v84, vcc
	v_add_f32_e32 v23, 1.0, v23
	v_rcp_f32_e32 v23, v23
	v_fma_f32 v84, v23, -2.0, 1.0
.LBB87_27:                              ;   in Loop: Header=BB87_8 Depth=1
	s_andn2_saveexec_b64 s[16:17], s[16:17]
	s_cbranch_execz .LBB87_30
; %bb.28:                               ;   in Loop: Header=BB87_8 Depth=1
	v_mul_f32_e32 v23, v74, v74
	v_mov_b32_e32 v84, 0x3ca908c9
	v_fmac_f32_e32 v84, 0xbbbac73d, v23
	v_fma_f32 v84, v23, v84, v68
	v_fma_f32 v84, v23, v84, v69
	;; [unrolled: 1-line block ×3, first 2 shown]
	v_mul_f32_e64 v84, |v74|, v84
	v_fma_f32 v84, v23, v84, |v74|
	s_or_b64 exec, exec, s[16:17]
	s_and_b64 vcc, exec, s[6:7]
	s_cbranch_vccz .LBB87_31
.LBB87_29:                              ;   in Loop: Header=BB87_8 Depth=1
	v_mov_b32_e32 v23, 0
	s_branch .LBB87_32
.LBB87_30:                              ;   in Loop: Header=BB87_8 Depth=1
	s_or_b64 exec, exec, s[16:17]
	s_and_b64 vcc, exec, s[6:7]
	s_cbranch_vccnz .LBB87_29
.LBB87_31:                              ;   in Loop: Header=BB87_8 Depth=1
	v_lshlrev_b64 v[14:15], 1, v[14:15]
	v_mov_b32_e32 v23, s45
	v_add_co_u32_e32 v14, vcc, s43, v14
	v_addc_co_u32_e32 v15, vcc, v23, v15, vcc
	flat_load_ushort v14, v[14:15]
	s_waitcnt vmcnt(0) lgkmcnt(0)
	v_cvt_f32_f16_e32 v14, v14
	v_mul_f32_e32 v23, v44, v14
.LBB87_32:                              ;   in Loop: Header=BB87_8 Depth=1
	v_bfi_b32 v14, s50, v84, v74
	v_bfi_b32 v15, s50, v83, v31
	v_fmac_f32_e32 v25, s23, v15
	v_fmac_f32_e32 v23, s23, v14
	v_add_f32_e32 v15, 0x40051340, v25
	v_add_f32_e32 v14, 0x40051340, v23
	v_max3_f32 v14, v19, v15, v14
	ds_bpermute_b32 v15, v77, v14
	v_cmp_nlt_f32_e64 s[16:17], |v26|, s46
                                        ; implicit-def: $vgpr85
	s_waitcnt lgkmcnt(0)
	v_max_f32_e32 v15, v15, v15
	v_max_f32_e32 v14, v14, v15
	ds_bpermute_b32 v15, v82, v14
	s_waitcnt lgkmcnt(0)
	v_max_f32_e32 v15, v15, v15
	v_max_f32_e32 v14, v14, v15
	ds_bpermute_b32 v15, v81, v14
	;; [unrolled: 4-line block ×4, first 2 shown]
	s_and_saveexec_b64 s[52:53], s[16:17]
	s_xor_b64 s[16:17], exec, s[52:53]
	s_cbranch_execz .LBB87_34
; %bb.33:                               ;   in Loop: Header=BB87_8 Depth=1
	v_add_f32_e64 v14, |v26|, |v26|
	v_mul_f32_e32 v15, 0x3fb8aa3b, v14
	v_rndne_f32_e32 v31, v15
	v_sub_f32_e32 v84, v15, v31
	v_fma_f32 v15, v14, s47, -v15
	v_fmac_f32_e32 v15, 0x32a5705f, v14
	v_add_f32_e32 v15, v84, v15
	v_cvt_i32_f32_e32 v31, v31
	v_exp_f32_e32 v15, v15
	v_cmp_ngt_f32_e32 vcc, s48, v14
	v_ldexp_f32 v15, v15, v31
	v_cndmask_b32_e32 v15, 0, v15, vcc
	v_cmp_nlt_f32_e32 vcc, s49, v14
	v_cndmask_b32_e32 v14, v73, v15, vcc
	v_add_f32_e32 v14, 1.0, v14
	v_rcp_f32_e32 v14, v14
	v_fma_f32 v85, v14, -2.0, 1.0
.LBB87_34:                              ;   in Loop: Header=BB87_8 Depth=1
	s_andn2_saveexec_b64 s[16:17], s[16:17]
; %bb.35:                               ;   in Loop: Header=BB87_8 Depth=1
	v_mul_f32_e32 v14, v26, v26
	v_mov_b32_e32 v15, 0x3ca908c9
	v_fmac_f32_e32 v15, 0xbbbac73d, v14
	v_fma_f32 v15, v14, v15, v68
	v_fma_f32 v15, v14, v15, v69
	;; [unrolled: 1-line block ×3, first 2 shown]
	v_mul_f32_e64 v15, |v26|, v15
	v_fma_f32 v85, v14, v15, |v26|
; %bb.36:                               ;   in Loop: Header=BB87_8 Depth=1
	s_or_b64 exec, exec, s[16:17]
	v_add_u32_e32 v14, v78, v62
	s_and_b64 vcc, exec, s[6:7]
	v_ashrrev_i32_e32 v15, 31, v14
	s_cbranch_vccnz .LBB87_60
; %bb.37:                               ;   in Loop: Header=BB87_8 Depth=1
	v_lshlrev_b64 v[86:87], 1, v[14:15]
	v_mov_b32_e32 v31, s35
	v_add_co_u32_e32 v86, vcc, s34, v86
	v_addc_co_u32_e32 v87, vcc, v31, v87, vcc
	flat_load_ushort v31, v[86:87]
	s_waitcnt vmcnt(0) lgkmcnt(0)
	v_cvt_f32_f16_e32 v31, v31
	v_mul_f32_e32 v31, v44, v31
	v_cmp_nlt_f32_e64 s[16:17], |v27|, s46
                                        ; implicit-def: $vgpr86
	s_and_saveexec_b64 s[52:53], s[16:17]
	s_xor_b64 s[16:17], exec, s[52:53]
	s_cbranch_execz .LBB87_39
.LBB87_38:                              ;   in Loop: Header=BB87_8 Depth=1
	v_add_f32_e64 v84, |v27|, |v27|
	v_mul_f32_e32 v86, 0x3fb8aa3b, v84
	v_rndne_f32_e32 v87, v86
	v_sub_f32_e32 v88, v86, v87
	v_fma_f32 v86, v84, s47, -v86
	v_fmac_f32_e32 v86, 0x32a5705f, v84
	v_add_f32_e32 v86, v88, v86
	v_cvt_i32_f32_e32 v87, v87
	v_exp_f32_e32 v86, v86
	v_cmp_ngt_f32_e32 vcc, s48, v84
	v_ldexp_f32 v86, v86, v87
	v_cndmask_b32_e32 v86, 0, v86, vcc
	v_cmp_nlt_f32_e32 vcc, s49, v84
	v_cndmask_b32_e32 v84, v73, v86, vcc
	v_add_f32_e32 v84, 1.0, v84
	v_rcp_f32_e32 v84, v84
	v_fma_f32 v86, v84, -2.0, 1.0
.LBB87_39:                              ;   in Loop: Header=BB87_8 Depth=1
	s_andn2_saveexec_b64 s[16:17], s[16:17]
	s_cbranch_execz .LBB87_42
; %bb.40:                               ;   in Loop: Header=BB87_8 Depth=1
	v_mul_f32_e32 v84, v27, v27
	v_mov_b32_e32 v86, 0x3ca908c9
	v_fmac_f32_e32 v86, 0xbbbac73d, v84
	v_fma_f32 v86, v84, v86, v68
	v_fma_f32 v86, v84, v86, v69
	;; [unrolled: 1-line block ×3, first 2 shown]
	v_mul_f32_e64 v86, |v27|, v86
	v_fma_f32 v86, v84, v86, |v27|
	s_or_b64 exec, exec, s[16:17]
	s_and_b64 vcc, exec, s[6:7]
	s_cbranch_vccz .LBB87_43
.LBB87_41:                              ;   in Loop: Header=BB87_8 Depth=1
	v_mov_b32_e32 v84, 0
	s_branch .LBB87_44
.LBB87_42:                              ;   in Loop: Header=BB87_8 Depth=1
	s_or_b64 exec, exec, s[16:17]
	s_and_b64 vcc, exec, s[6:7]
	s_cbranch_vccnz .LBB87_41
.LBB87_43:                              ;   in Loop: Header=BB87_8 Depth=1
	v_lshlrev_b64 v[14:15], 1, v[14:15]
	v_mov_b32_e32 v84, s45
	v_add_co_u32_e32 v14, vcc, s43, v14
	v_addc_co_u32_e32 v15, vcc, v84, v15, vcc
	flat_load_ushort v14, v[14:15]
	s_waitcnt vmcnt(0) lgkmcnt(0)
	v_cvt_f32_f16_e32 v14, v14
	v_mul_f32_e32 v84, v44, v14
.LBB87_44:                              ;   in Loop: Header=BB87_8 Depth=1
	v_bfi_b32 v14, s50, v86, v27
	v_bfi_b32 v15, s50, v85, v26
	v_fmac_f32_e32 v31, s23, v15
	v_fmac_f32_e32 v84, s23, v14
	v_add_f32_e32 v15, 0x40051340, v31
	v_add_f32_e32 v14, 0x40051340, v84
	v_max3_f32 v14, v12, v15, v14
	ds_bpermute_b32 v15, v77, v14
	v_cmp_nlt_f32_e64 s[16:17], |v28|, s46
                                        ; implicit-def: $vgpr87
	s_waitcnt lgkmcnt(0)
	v_max_f32_e32 v15, v15, v15
	v_max_f32_e32 v14, v14, v15
	ds_bpermute_b32 v15, v82, v14
	s_waitcnt lgkmcnt(0)
	v_max_f32_e32 v15, v15, v15
	v_max_f32_e32 v14, v14, v15
	ds_bpermute_b32 v15, v81, v14
	;; [unrolled: 4-line block ×4, first 2 shown]
	s_and_saveexec_b64 s[52:53], s[16:17]
	s_xor_b64 s[16:17], exec, s[52:53]
	s_cbranch_execz .LBB87_46
; %bb.45:                               ;   in Loop: Header=BB87_8 Depth=1
	v_add_f32_e64 v14, |v28|, |v28|
	v_mul_f32_e32 v15, 0x3fb8aa3b, v14
	v_rndne_f32_e32 v26, v15
	v_sub_f32_e32 v27, v15, v26
	v_fma_f32 v15, v14, s47, -v15
	v_fmac_f32_e32 v15, 0x32a5705f, v14
	v_add_f32_e32 v15, v27, v15
	v_cvt_i32_f32_e32 v26, v26
	v_exp_f32_e32 v15, v15
	v_cmp_ngt_f32_e32 vcc, s48, v14
	v_ldexp_f32 v15, v15, v26
	v_cndmask_b32_e32 v15, 0, v15, vcc
	v_cmp_nlt_f32_e32 vcc, s49, v14
	v_cndmask_b32_e32 v14, v73, v15, vcc
	v_add_f32_e32 v14, 1.0, v14
	v_rcp_f32_e32 v14, v14
	v_fma_f32 v87, v14, -2.0, 1.0
.LBB87_46:                              ;   in Loop: Header=BB87_8 Depth=1
	s_andn2_saveexec_b64 s[16:17], s[16:17]
; %bb.47:                               ;   in Loop: Header=BB87_8 Depth=1
	v_mul_f32_e32 v14, v28, v28
	v_mov_b32_e32 v15, 0x3ca908c9
	v_fmac_f32_e32 v15, 0xbbbac73d, v14
	v_fma_f32 v15, v14, v15, v68
	v_fma_f32 v15, v14, v15, v69
	;; [unrolled: 1-line block ×3, first 2 shown]
	v_mul_f32_e64 v15, |v28|, v15
	v_fma_f32 v87, v14, v15, |v28|
; %bb.48:                               ;   in Loop: Header=BB87_8 Depth=1
	s_or_b64 exec, exec, s[16:17]
	v_add_u32_e32 v26, v78, v63
	s_and_b64 vcc, exec, s[6:7]
	v_ashrrev_i32_e32 v27, 31, v26
	s_cbranch_vccnz .LBB87_61
; %bb.49:                               ;   in Loop: Header=BB87_8 Depth=1
	v_lshlrev_b64 v[14:15], 1, v[26:27]
	v_mov_b32_e32 v78, s35
	v_add_co_u32_e32 v14, vcc, s34, v14
	v_addc_co_u32_e32 v15, vcc, v78, v15, vcc
	flat_load_ushort v14, v[14:15]
	s_waitcnt vmcnt(0) lgkmcnt(0)
	v_cvt_f32_f16_e32 v14, v14
	v_mul_f32_e32 v14, v44, v14
	v_cmp_nlt_f32_e64 s[16:17], |v30|, s46
                                        ; implicit-def: $vgpr78
	s_and_saveexec_b64 s[52:53], s[16:17]
	s_xor_b64 s[16:17], exec, s[52:53]
	s_cbranch_execz .LBB87_51
.LBB87_50:                              ;   in Loop: Header=BB87_8 Depth=1
	v_add_f32_e64 v15, |v30|, |v30|
	v_mul_f32_e32 v78, 0x3fb8aa3b, v15
	v_rndne_f32_e32 v88, v78
	v_sub_f32_e32 v89, v78, v88
	v_fma_f32 v78, v15, s47, -v78
	v_fmac_f32_e32 v78, 0x32a5705f, v15
	v_add_f32_e32 v78, v89, v78
	v_cvt_i32_f32_e32 v88, v88
	v_exp_f32_e32 v78, v78
	v_cmp_ngt_f32_e32 vcc, s48, v15
	v_ldexp_f32 v78, v78, v88
	v_cndmask_b32_e32 v78, 0, v78, vcc
	v_cmp_nlt_f32_e32 vcc, s49, v15
	v_cndmask_b32_e32 v15, v73, v78, vcc
	v_add_f32_e32 v15, 1.0, v15
	v_rcp_f32_e32 v15, v15
	v_fma_f32 v78, v15, -2.0, 1.0
.LBB87_51:                              ;   in Loop: Header=BB87_8 Depth=1
	s_andn2_saveexec_b64 s[16:17], s[16:17]
	s_cbranch_execz .LBB87_54
; %bb.52:                               ;   in Loop: Header=BB87_8 Depth=1
	v_mul_f32_e32 v15, v30, v30
	v_mov_b32_e32 v78, 0x3ca908c9
	v_fmac_f32_e32 v78, 0xbbbac73d, v15
	v_fma_f32 v78, v15, v78, v68
	v_fma_f32 v78, v15, v78, v69
	v_fma_f32 v78, v15, v78, v70
	v_mul_f32_e64 v78, |v30|, v78
	v_fma_f32 v78, v15, v78, |v30|
	s_or_b64 exec, exec, s[16:17]
	s_and_b64 vcc, exec, s[6:7]
	s_cbranch_vccz .LBB87_55
.LBB87_53:                              ;   in Loop: Header=BB87_8 Depth=1
	v_mov_b32_e32 v15, 0
	s_branch .LBB87_56
.LBB87_54:                              ;   in Loop: Header=BB87_8 Depth=1
	s_or_b64 exec, exec, s[16:17]
	s_and_b64 vcc, exec, s[6:7]
	s_cbranch_vccnz .LBB87_53
.LBB87_55:                              ;   in Loop: Header=BB87_8 Depth=1
	v_lshlrev_b64 v[26:27], 1, v[26:27]
	v_mov_b32_e32 v15, s45
	v_add_co_u32_e32 v26, vcc, s43, v26
	v_addc_co_u32_e32 v27, vcc, v15, v27, vcc
	flat_load_ushort v15, v[26:27]
	s_waitcnt vmcnt(0) lgkmcnt(0)
	v_cvt_f32_f16_e32 v15, v15
	v_mul_f32_e32 v15, v44, v15
.LBB87_56:                              ;   in Loop: Header=BB87_8 Depth=1
	v_bfi_b32 v27, s50, v78, v30
	v_bfi_b32 v26, s50, v87, v28
	v_pk_fma_f32 v[88:89], v[26:27], s[22:23], v[14:15]
	v_add_f32_e32 v14, 0x40051340, v88
	v_add_f32_e32 v15, 0x40051340, v89
	v_max3_f32 v14, v13, v14, v15
	ds_bpermute_b32 v15, v77, v14
	v_max_f32_e32 v27, v85, v85
	s_mul_hi_i32 s7, s20, s8
	s_mul_i32 s6, s20, s8
	s_lshl_b64 s[6:7], s[6:7], 2
	s_waitcnt lgkmcnt(0)
	v_max_f32_e32 v15, v15, v15
	v_max_f32_e32 v15, v14, v15
	ds_bpermute_b32 v26, v82, v15
	v_max_f32_e32 v14, v86, v86
	v_max_f32_e32 v14, v27, v14
	v_sub_f32_e32 v27, v31, v14
	v_mul_f32_e32 v28, 0x3fb8aa3b, v27
	s_waitcnt lgkmcnt(0)
	v_max_f32_e32 v26, v26, v26
	v_max_f32_e32 v15, v15, v26
	ds_bpermute_b32 v26, v81, v15
	v_fma_f32 v30, v27, s47, -v28
	v_rndne_f32_e32 v31, v28
	v_fmac_f32_e32 v30, 0x32a5705f, v27
	v_sub_f32_e32 v28, v28, v31
	s_waitcnt lgkmcnt(0)
	v_max_f32_e32 v26, v26, v26
	v_max_f32_e32 v15, v15, v26
	ds_bpermute_b32 v26, v80, v15
	v_add_f32_e32 v28, v28, v30
	v_cvt_i32_f32_e32 v31, v31
	v_exp_f32_e32 v28, v28
	v_sub_f32_e32 v30, v84, v14
	s_waitcnt lgkmcnt(0)
	v_max_f32_e32 v26, v26, v26
	v_max_f32_e32 v15, v15, v26
	ds_bpermute_b32 v26, v79, v15
	v_ldexp_f32 v28, v28, v31
	v_cmp_ngt_f32_e32 vcc, s48, v27
	v_cndmask_b32_e32 v28, 0, v28, vcc
	v_cmp_nlt_f32_e32 vcc, s49, v27
	s_waitcnt lgkmcnt(0)
	v_max_f32_e32 v26, v26, v26
	v_max_f32_e32 v15, v15, v26
	v_mul_f32_e32 v26, 0x3fb8aa3b, v30
	v_fma_f32 v31, v30, s47, -v26
	v_rndne_f32_e32 v77, v26
	v_fmac_f32_e32 v31, 0x32a5705f, v30
	v_sub_f32_e32 v26, v26, v77
	v_add_f32_e32 v26, v26, v31
	v_exp_f32_e32 v31, v26
	v_cvt_i32_f32_e32 v77, v77
	v_cndmask_b32_e32 v26, v73, v28, vcc
	v_cmp_ngt_f32_e32 vcc, s48, v30
	v_pk_add_f32 v[12:13], v[12:13], v[14:15] neg_lo:[0,1] neg_hi:[0,1]
	v_ldexp_f32 v27, v31, v77
	v_cndmask_b32_e32 v27, 0, v27, vcc
	v_cmp_nlt_f32_e32 vcc, s49, v30
	v_cndmask_b32_e32 v28, v73, v27, vcc
	v_mul_f32_e32 v27, 0x3fb8aa3b, v13
	v_fma_f32 v30, v13, s47, -v27
	v_rndne_f32_e32 v31, v27
	v_fmac_f32_e32 v30, 0x32a5705f, v13
	v_sub_f32_e32 v27, v27, v31
	v_add_f32_e32 v27, v27, v30
	v_cvt_i32_f32_e32 v30, v31
	v_mul_f32_e32 v31, 0x3fb8aa3b, v12
	v_fma_f32 v77, v12, s47, -v31
	v_rndne_f32_e32 v78, v31
	v_fmac_f32_e32 v77, 0x32a5705f, v12
	v_sub_f32_e32 v31, v31, v78
	v_exp_f32_e32 v27, v27
	v_add_f32_e32 v31, v31, v77
	v_exp_f32_e32 v31, v31
	v_cvt_i32_f32_e32 v77, v78
	v_ldexp_f32 v27, v27, v30
	v_cmp_ngt_f32_e32 vcc, s48, v13
	v_cndmask_b32_e32 v27, 0, v27, vcc
	v_ldexp_f32 v30, v31, v77
	v_cmp_ngt_f32_e32 vcc, s48, v12
	v_cndmask_b32_e32 v30, 0, v30, vcc
	v_cmp_nlt_f32_e32 vcc, s49, v12
	v_cndmask_b32_e32 v30, v73, v30, vcc
	v_mov_b32_e32 v12, v15
	v_cvt_f16_f32_e32 v90, v30
	v_pk_add_f32 v[78:79], v[88:89], v[12:13] op_sel_hi:[1,0] neg_lo:[0,1] neg_hi:[0,1]
	v_mul_f32_e32 v12, 0x3fb8aa3b, v79
	v_fma_f32 v31, v79, s47, -v12
	v_rndne_f32_e32 v77, v12
	v_fmac_f32_e32 v31, 0x32a5705f, v79
	v_sub_f32_e32 v12, v12, v77
	v_cmp_nlt_f32_e32 vcc, s49, v13
	v_mul_f32_e32 v13, 0x3fb8aa3b, v78
	v_add_f32_e32 v12, v12, v31
	v_cndmask_b32_e32 v31, v73, v27, vcc
	v_pk_mul_f16 v88, v90, v29 op_sel_hi:[0,1]
	v_fma_f32 v27, v78, s47, -v13
	v_rndne_f32_e32 v29, v13
	v_exp_f32_e32 v12, v12
	v_cvt_i32_f32_e32 v77, v77
	v_fmac_f32_e32 v27, 0x32a5705f, v78
	v_sub_f32_e32 v13, v13, v29
	v_add_f32_e32 v13, v13, v27
	v_exp_f32_e32 v13, v13
	v_cvt_i32_f32_e32 v27, v29
	v_ldexp_f32 v12, v12, v77
	v_cmp_ngt_f32_e32 vcc, s48, v79
	v_cndmask_b32_e32 v12, 0, v12, vcc
	v_cmp_nlt_f32_e32 vcc, s49, v79
	v_cndmask_b32_e32 v29, v73, v12, vcc
	v_ldexp_f32 v12, v13, v27
	v_cmp_ngt_f32_e32 vcc, s48, v78
	v_cndmask_b32_e32 v12, 0, v12, vcc
	v_cmp_nlt_f32_e32 vcc, s49, v78
	v_cndmask_b32_e32 v27, v73, v12, vcc
	v_max_f32_e32 v12, v83, v83
	v_max_f32_e32 v13, v74, v74
	;; [unrolled: 1-line block ×6, first 2 shown]
	v_pk_add_f32 v[24:25], v[24:25], v[12:13] neg_lo:[0,1] neg_hi:[0,1]
	v_mul_f32_e32 v74, 0x3fb8aa3b, v25
	v_fma_f32 v75, v25, s47, -v74
	v_rndne_f32_e32 v76, v74
	v_fmac_f32_e32 v75, 0x32a5705f, v25
	v_sub_f32_e32 v74, v74, v76
	v_add_f32_e32 v74, v74, v75
	v_cvt_f16_f32_e32 v77, v31
	v_exp_f32_e32 v74, v74
	v_cvt_i32_f32_e32 v75, v76
	s_add_u32 s6, s18, s6
	v_pk_mul_f16 v92, v77, v50 op_sel_hi:[0,1]
	v_cmp_ngt_f32_e32 vcc, s48, v25
	v_ldexp_f32 v50, v74, v75
	v_mul_f32_e32 v74, 0x3fb8aa3b, v24
	v_fma_f32 v75, v24, s47, -v74
	v_rndne_f32_e32 v76, v74
	v_fmac_f32_e32 v75, 0x32a5705f, v24
	v_sub_f32_e32 v74, v74, v76
	v_add_f32_e32 v74, v74, v75
	s_addc_u32 s7, s19, s7
	v_cndmask_b32_e32 v50, 0, v50, vcc
	v_exp_f32_e32 v93, v74
	v_mov_b32_e32 v74, s7
	v_add_co_u32_e32 v75, vcc, s6, v6
	v_addc_co_u32_e32 v74, vcc, v74, v7, vcc
	v_add_co_u32_e32 v82, vcc, v75, v72
	v_addc_co_u32_e32 v83, vcc, 0, v74, vcc
	v_mov_b32_e32 v74, s7
	v_add_co_u32_e32 v75, vcc, s6, v16
	v_addc_co_u32_e32 v74, vcc, v74, v17, vcc
	v_add_co_u32_e32 v84, vcc, v75, v72
	s_barrier
	v_pk_mul_f16 v46, v77, v46 op_sel_hi:[0,1]
	v_cvt_i32_f32_e32 v94, v76
	v_addc_co_u32_e32 v85, vcc, 0, v74, vcc
	global_load_dwordx4 v[74:77], v[82:83], off
	global_load_dwordx4 v[78:81], v[84:85], off
	v_pk_add_f32 v[22:23], v[22:23], v[12:13] neg_lo:[0,1] neg_hi:[0,1]
	v_mul_f32_e32 v82, 0x3fb8aa3b, v23
	v_fma_f32 v83, v23, s47, -v82
	v_rndne_f32_e32 v84, v82
	v_fmac_f32_e32 v83, 0x32a5705f, v23
	v_sub_f32_e32 v82, v82, v84
	v_add_f32_e32 v82, v82, v83
	v_exp_f32_e32 v82, v82
	v_cvt_i32_f32_e32 v83, v84
	v_cmp_nlt_f32_e32 vcc, s49, v25
	v_cndmask_b32_e32 v25, v73, v50, vcc
	v_ldexp_f32 v50, v93, v94
	v_cmp_ngt_f32_e32 vcc, s48, v24
	v_cndmask_b32_e32 v50, 0, v50, vcc
	v_cmp_nlt_f32_e32 vcc, s49, v24
	v_cndmask_b32_e32 v24, v73, v50, vcc
	v_ldexp_f32 v50, v82, v83
	v_mul_f32_e32 v82, 0x3fb8aa3b, v22
	v_fma_f32 v83, v22, s47, -v82
	v_rndne_f32_e32 v93, v82
	v_fmac_f32_e32 v83, 0x32a5705f, v22
	v_sub_f32_e32 v82, v82, v93
	v_add_f32_e32 v82, v82, v83
	v_exp_f32_e32 v82, v82
	v_cvt_i32_f32_e32 v83, v93
	v_cmp_ngt_f32_e32 vcc, s48, v23
	v_cndmask_b32_e32 v50, 0, v50, vcc
	v_cmp_nlt_f32_e32 vcc, s49, v23
	v_cndmask_b32_e32 v23, v73, v50, vcc
	v_ldexp_f32 v50, v82, v83
	v_cmp_ngt_f32_e32 vcc, s48, v22
	v_cndmask_b32_e32 v50, 0, v50, vcc
	v_cmp_nlt_f32_e32 vcc, s49, v22
	v_pk_add_f32 v[18:19], v[18:19], v[12:13] neg_lo:[0,1] neg_hi:[0,1]
	v_cndmask_b32_e32 v22, v73, v50, vcc
	v_mul_f32_e32 v50, 0x3fb8aa3b, v19
	v_fma_f32 v82, v19, s47, -v50
	v_rndne_f32_e32 v83, v50
	v_fmac_f32_e32 v82, 0x32a5705f, v19
	v_sub_f32_e32 v50, v50, v83
	v_add_f32_e32 v50, v50, v82
	v_cvt_i32_f32_e32 v82, v83
	v_mul_f32_e32 v83, 0x3fb8aa3b, v18
	v_fma_f32 v93, v18, s47, -v83
	v_rndne_f32_e32 v94, v83
	v_fmac_f32_e32 v93, 0x32a5705f, v18
	v_sub_f32_e32 v83, v83, v94
	v_exp_f32_e32 v50, v50
	v_add_f32_e32 v83, v83, v93
	v_exp_f32_e32 v83, v83
	v_cvt_i32_f32_e32 v93, v94
	v_ldexp_f32 v50, v50, v82
	v_cmp_ngt_f32_e32 vcc, s48, v19
	v_cndmask_b32_e32 v50, 0, v50, vcc
	v_ldexp_f32 v82, v83, v93
	v_cmp_ngt_f32_e32 vcc, s48, v18
	v_cndmask_b32_e32 v82, 0, v82, vcc
	v_cmp_nlt_f32_e32 vcc, s49, v18
	v_cndmask_b32_e32 v18, v73, v82, vcc
	v_cvt_f16_f32_e32 v93, v18
	v_cvt_f16_f32_e32 v86, v26
	;; [unrolled: 1-line block ×9, first 2 shown]
	v_cmp_nlt_f32_e32 vcc, s49, v19
	v_cndmask_b32_e32 v19, v73, v50, vcc
	v_pk_mul_f16 v95, v93, v51 op_sel_hi:[0,1]
	v_pk_add_f32 v[50:51], v[24:25], v[22:23]
	v_pk_add_f32 v[22:23], v[26:27], v[28:29]
	v_pk_fma_f32 v[10:11], v[10:11], v[30:31], v[22:23]
	v_add_u32_e32 v26, v64, v41
	v_pack_b32_f16 v23, v86, v89
	v_pack_b32_f16 v22, v85, v84
	;; [unrolled: 1-line block ×4, first 2 shown]
	ds_write2_b64 v26, v[22:23], v[24:25] offset1:32
	s_waitcnt vmcnt(1)
	ds_write_b128 v65, v[74:77]
	s_waitcnt vmcnt(0)
	ds_write_b128 v66, v[78:81]
	s_waitcnt lgkmcnt(0)
	s_barrier
	ds_read2_b64 v[22:25], v41 offset1:32
	ds_read_b128 v[26:29], v64
	v_cvt_f16_f32_e32 v94, v19
	v_pk_fma_f32 v[8:9], v[8:9], v[18:19], v[50:51]
	ds_read_b128 v[74:77], v64 offset:16
	ds_read_b128 v[78:81], v64 offset:32
	;; [unrolled: 1-line block ×3, first 2 shown]
	s_or_b32 s6, s20, 32
	v_pk_mul_f16 v48, v94, v48 op_sel_hi:[0,1]
	s_waitcnt lgkmcnt(3)
	v_pk_mul_f16 v18, v22, v26 op_sel_hi:[1,0]
	v_pk_mul_f16 v19, v22, v26 op_sel:[0,1]
	v_pk_mul_f16 v30, v22, v27 op_sel_hi:[1,0]
	v_pk_fma_f16 v18, v93, v49, v18 op_sel_hi:[0,1,1]
	v_pk_fma_f16 v19, v94, v47, v19 op_sel_hi:[0,1,1]
	;; [unrolled: 1-line block ×4, first 2 shown]
	v_pk_fma_f16 v26, v23, v26, v48 op_sel:[0,1,0]
	v_pk_fma_f16 v45, v23, v27, v88 op_sel_hi:[1,0,1]
	v_pk_fma_f16 v23, v23, v27, v46 op_sel:[0,1,0]
	ds_read2_b64 v[46:49], v41 offset0:64 offset1:96
	v_pk_fma_f16 v22, v22, v27, v92 op_sel:[0,1,0]
	v_pk_fma_f16 v27, v24, v29, v30 op_sel_hi:[1,0,1]
	v_pk_fma_f16 v22, v24, v29, v22 op_sel:[0,1,0]
	v_pk_fma_f16 v18, v24, v28, v18 op_sel_hi:[1,0,1]
	;; [unrolled: 2-line block ×4, first 2 shown]
	v_pk_fma_f16 v23, v25, v29, v23 op_sel:[0,1,0]
	s_waitcnt lgkmcnt(0)
	v_pk_fma_f16 v25, v46, v75, v27 op_sel_hi:[1,0,1]
	v_pk_fma_f16 v22, v46, v75, v22 op_sel:[0,1,0]
	v_pk_fma_f16 v27, v47, v74, v24 op_sel_hi:[1,0,1]
	v_pk_fma_f16 v29, v47, v75, v23 op_sel:[0,1,0]
	;; [unrolled: 2-line block ×3, first 2 shown]
	ds_read2_b64 v[22:25], v41 offset0:128 offset1:160
	v_pk_fma_f16 v18, v46, v74, v18 op_sel_hi:[1,0,1]
	v_pk_fma_f16 v19, v46, v74, v19 op_sel:[0,1,0]
	v_pk_fma_f16 v26, v47, v74, v26 op_sel:[0,1,0]
	v_pk_fma_f16 v28, v47, v75, v28 op_sel_hi:[1,0,1]
	v_pk_fma_f16 v18, v48, v76, v18 op_sel_hi:[1,0,1]
	v_pk_fma_f16 v19, v48, v76, v19 op_sel:[0,1,0]
	v_pk_fma_f16 v27, v49, v76, v27 op_sel_hi:[1,0,1]
	v_pk_fma_f16 v26, v49, v76, v26 op_sel:[0,1,0]
	;; [unrolled: 2-line block ×3, first 2 shown]
	s_waitcnt lgkmcnt(0)
	v_pk_fma_f16 v18, v22, v78, v18 op_sel_hi:[1,0,1]
	v_pk_fma_f16 v19, v22, v78, v19 op_sel:[0,1,0]
	v_pk_fma_f16 v30, v22, v79, v30 op_sel_hi:[1,0,1]
	v_pk_fma_f16 v22, v22, v79, v31 op_sel:[0,1,0]
	;; [unrolled: 2-line block ×4, first 2 shown]
	ds_read2_b64 v[26:29], v41 offset0:192 offset1:224
	v_pk_fma_f16 v18, v24, v80, v18 op_sel_hi:[1,0,1]
	v_pk_fma_f16 v19, v24, v80, v19 op_sel:[0,1,0]
	v_pk_fma_f16 v30, v24, v81, v30 op_sel_hi:[1,0,1]
	v_pk_fma_f16 v22, v24, v81, v22 op_sel:[0,1,0]
	;; [unrolled: 2-line block ×3, first 2 shown]
	s_waitcnt lgkmcnt(0)
	v_pk_fma_f16 v18, v26, v82, v18 op_sel_hi:[1,0,1]
	v_pk_fma_f16 v45, v25, v81, v46 op_sel_hi:[1,0,1]
	v_pk_fma_f16 v23, v25, v81, v23 op_sel:[0,1,0]
	v_pk_fma_f16 v19, v26, v82, v19 op_sel:[0,1,0]
	v_pk_fma_f16 v25, v26, v83, v30 op_sel_hi:[1,0,1]
	v_pk_fma_f16 v22, v26, v83, v22 op_sel:[0,1,0]
	v_pk_fma_f16 v24, v27, v82, v24 op_sel_hi:[1,0,1]
	;; [unrolled: 2-line block ×3, first 2 shown]
	v_add_u32_e32 v18, 0x800, v41
	v_pk_fma_f16 v30, v27, v83, v45 op_sel_hi:[1,0,1]
	v_pk_fma_f16 v27, v27, v83, v23 op_sel:[0,1,0]
	v_pk_fma_f16 v45, v28, v85, v25 op_sel_hi:[1,0,1]
	v_pk_fma_f16 v50, v28, v85, v22 op_sel:[0,1,0]
	v_pk_fma_f16 v51, v29, v84, v24 op_sel_hi:[1,0,1]
	ds_read2_b64 v[22:25], v18 offset1:32
	ds_read_b128 v[46:49], v64 offset:64
	v_pk_fma_f16 v19, v28, v84, v19 op_sel:[0,1,0]
	v_pk_fma_f16 v74, v29, v84, v26 op_sel:[0,1,0]
	v_pk_fma_f16 v30, v29, v85, v30 op_sel_hi:[1,0,1]
	v_pk_fma_f16 v75, v29, v85, v27 op_sel:[0,1,0]
	ds_read_b128 v[26:29], v64 offset:80
	s_waitcnt lgkmcnt(1)
	v_pk_fma_f16 v31, v22, v46, v31 op_sel_hi:[1,0,1]
	v_pk_fma_f16 v19, v22, v46, v19 op_sel:[0,1,0]
	v_pk_fma_f16 v45, v22, v47, v45 op_sel_hi:[1,0,1]
	v_pk_fma_f16 v22, v22, v47, v50 op_sel:[0,1,0]
	;; [unrolled: 2-line block ×4, first 2 shown]
	ds_read2_b64 v[74:77], v18 offset0:64 offset1:96
	v_pk_fma_f16 v31, v24, v48, v31 op_sel_hi:[1,0,1]
	v_pk_fma_f16 v19, v24, v48, v19 op_sel:[0,1,0]
	v_pk_fma_f16 v45, v24, v49, v45 op_sel_hi:[1,0,1]
	v_pk_fma_f16 v22, v24, v49, v22 op_sel:[0,1,0]
	;; [unrolled: 2-line block ×4, first 2 shown]
	s_waitcnt lgkmcnt(0)
	v_pk_fma_f16 v25, v74, v26, v31 op_sel_hi:[1,0,1]
	v_pk_fma_f16 v22, v74, v27, v22 op_sel:[0,1,0]
	v_pk_fma_f16 v24, v75, v26, v24 op_sel_hi:[1,0,1]
	v_pk_fma_f16 v19, v74, v26, v19 op_sel:[0,1,0]
	;; [unrolled: 2-line block ×5, first 2 shown]
	v_pk_fma_f16 v51, v77, v28, v24 op_sel_hi:[1,0,1]
	ds_read2_b64 v[22:25], v18 offset0:128 offset1:160
	ds_read_b128 v[46:49], v64 offset:96
	v_pk_fma_f16 v19, v76, v28, v19 op_sel:[0,1,0]
	v_pk_fma_f16 v31, v76, v29, v31 op_sel_hi:[1,0,1]
	v_pk_fma_f16 v74, v77, v28, v26 op_sel:[0,1,0]
	v_pk_fma_f16 v30, v77, v29, v30 op_sel_hi:[1,0,1]
	v_pk_fma_f16 v75, v77, v29, v27 op_sel:[0,1,0]
	ds_read_b128 v[26:29], v64 offset:112
	s_waitcnt lgkmcnt(1)
	v_pk_fma_f16 v45, v22, v46, v45 op_sel_hi:[1,0,1]
	v_pk_fma_f16 v19, v22, v46, v19 op_sel:[0,1,0]
	v_pk_fma_f16 v31, v22, v47, v31 op_sel_hi:[1,0,1]
	v_pk_fma_f16 v22, v22, v47, v50 op_sel:[0,1,0]
	;; [unrolled: 2-line block ×4, first 2 shown]
	ds_read2_b64 v[74:77], v18 offset0:192 offset1:224
	v_pk_fma_f16 v19, v24, v48, v19 op_sel:[0,1,0]
	v_pk_fma_f16 v45, v24, v48, v45 op_sel_hi:[1,0,1]
	v_pk_fma_f16 v31, v24, v49, v31 op_sel_hi:[1,0,1]
	v_pk_fma_f16 v22, v24, v49, v22 op_sel:[0,1,0]
	v_pk_fma_f16 v24, v25, v48, v50 op_sel_hi:[1,0,1]
	s_waitcnt lgkmcnt(0)
	v_pk_fma_f16 v19, v74, v26, v19 op_sel:[0,1,0]
	v_pk_fma_f16 v46, v25, v48, v46 op_sel:[0,1,0]
	v_pk_fma_f16 v30, v25, v49, v30 op_sel_hi:[1,0,1]
	v_pk_fma_f16 v23, v25, v49, v23 op_sel:[0,1,0]
	v_pk_fma_f16 v25, v74, v26, v45 op_sel_hi:[1,0,1]
	;; [unrolled: 2-line block ×3, first 2 shown]
	v_pk_fma_f16 v50, v76, v28, v19 op_sel:[0,1,0]
	v_add_u32_e32 v19, 0x1000, v41
	v_pk_fma_f16 v31, v74, v27, v31 op_sel_hi:[1,0,1]
	v_pk_fma_f16 v26, v75, v26, v46 op_sel:[0,1,0]
	v_pk_fma_f16 v30, v75, v27, v30 op_sel_hi:[1,0,1]
	v_pk_fma_f16 v27, v75, v27, v23 op_sel:[0,1,0]
	v_pk_fma_f16 v45, v76, v28, v25 op_sel_hi:[1,0,1]
	v_pk_fma_f16 v51, v76, v29, v22 op_sel:[0,1,0]
	v_pk_fma_f16 v74, v77, v28, v24 op_sel_hi:[1,0,1]
	ds_read2_b64 v[22:25], v19 offset1:32
	ds_read_b128 v[46:49], v64 offset:128
	v_pk_fma_f16 v31, v76, v29, v31 op_sel_hi:[1,0,1]
	v_pk_fma_f16 v75, v77, v28, v26 op_sel:[0,1,0]
	v_pk_fma_f16 v30, v77, v29, v30 op_sel_hi:[1,0,1]
	v_pk_fma_f16 v76, v77, v29, v27 op_sel:[0,1,0]
	ds_read_b128 v[26:29], v64 offset:144
	s_waitcnt lgkmcnt(1)
	v_pk_fma_f16 v45, v22, v46, v45 op_sel_hi:[1,0,1]
	v_pk_fma_f16 v50, v22, v46, v50 op_sel:[0,1,0]
	v_pk_fma_f16 v31, v22, v47, v31 op_sel_hi:[1,0,1]
	v_pk_fma_f16 v22, v22, v47, v51 op_sel:[0,1,0]
	;; [unrolled: 2-line block ×4, first 2 shown]
	ds_read2_b64 v[74:77], v19 offset0:64 offset1:96
	v_pk_fma_f16 v45, v24, v48, v45 op_sel_hi:[1,0,1]
	v_pk_fma_f16 v47, v24, v48, v50 op_sel:[0,1,0]
	v_pk_fma_f16 v31, v24, v49, v31 op_sel_hi:[1,0,1]
	v_pk_fma_f16 v22, v24, v49, v22 op_sel:[0,1,0]
	;; [unrolled: 2-line block ×4, first 2 shown]
	s_waitcnt lgkmcnt(0)
	v_pk_fma_f16 v25, v74, v26, v45 op_sel_hi:[1,0,1]
	v_pk_fma_f16 v22, v74, v27, v22 op_sel:[0,1,0]
	v_pk_fma_f16 v24, v75, v26, v24 op_sel_hi:[1,0,1]
	v_pk_fma_f16 v45, v74, v26, v47 op_sel:[0,1,0]
	;; [unrolled: 2-line block ×5, first 2 shown]
	v_pk_fma_f16 v74, v77, v28, v24 op_sel_hi:[1,0,1]
	ds_read2_b64 v[22:25], v19 offset0:128 offset1:160
	ds_read_b128 v[46:49], v64 offset:160
	s_mul_hi_i32 s7, s6, s8
	s_mul_i32 s6, s6, s8
	s_lshl_b64 s[6:7], s[6:7], 2
	v_pk_fma_f16 v45, v76, v28, v45 op_sel:[0,1,0]
	v_pk_fma_f16 v31, v76, v29, v31 op_sel_hi:[1,0,1]
	v_pk_fma_f16 v75, v77, v28, v26 op_sel:[0,1,0]
	v_pk_fma_f16 v30, v77, v29, v30 op_sel_hi:[1,0,1]
	v_pk_fma_f16 v76, v77, v29, v27 op_sel:[0,1,0]
	s_add_u32 s6, s18, s6
	s_waitcnt lgkmcnt(0)
	v_pk_fma_f16 v50, v22, v46, v50 op_sel_hi:[1,0,1]
	v_pk_fma_f16 v45, v22, v46, v45 op_sel:[0,1,0]
	v_pk_fma_f16 v31, v22, v47, v31 op_sel_hi:[1,0,1]
	v_pk_fma_f16 v22, v22, v47, v51 op_sel:[0,1,0]
	;; [unrolled: 2-line block ×4, first 2 shown]
	s_addc_u32 s7, s19, s7
	v_pk_fma_f16 v47, v24, v48, v50 op_sel_hi:[1,0,1]
	v_pk_fma_f16 v45, v24, v48, v45 op_sel:[0,1,0]
	v_pk_fma_f16 v50, v24, v49, v31 op_sel_hi:[1,0,1]
	v_pk_fma_f16 v114, v24, v49, v22 op_sel:[0,1,0]
	;; [unrolled: 2-line block ×4, first 2 shown]
	v_mov_b32_e32 v24, s7
	v_add_co_u32_e32 v25, vcc, s6, v6
	v_addc_co_u32_e32 v30, vcc, v24, v7, vcc
	ds_read_b128 v[26:29], v64 offset:176
	ds_read2_b64 v[74:77], v19 offset0:192 offset1:224
	v_add_co_u32_e32 v24, vcc, v25, v72
	v_addc_co_u32_e32 v25, vcc, 0, v30, vcc
	v_mov_b32_e32 v30, s7
	v_add_co_u32_e32 v31, vcc, s6, v16
	v_addc_co_u32_e32 v106, vcc, v30, v17, vcc
	v_add_u32_e32 v22, 0x1800, v41
	v_add_co_u32_e32 v30, vcc, v31, v72
	s_waitcnt lgkmcnt(0)
	v_pk_fma_f16 v117, v74, v26, v47 op_sel_hi:[1,0,1]
	ds_read2_b64 v[46:49], v22 offset1:32
	ds_read2_b64 v[78:81], v22 offset0:64 offset1:96
	ds_read_b128 v[82:85], v64 offset:192
	ds_read_b128 v[86:89], v64 offset:208
	ds_read2_b64 v[90:93], v22 offset0:128 offset1:160
	ds_read2_b64 v[94:97], v22 offset0:192 offset1:224
	ds_read_b128 v[98:101], v64 offset:224
	ds_read_b128 v[102:105], v64 offset:240
	s_waitcnt lgkmcnt(0)
	s_barrier
	v_addc_co_u32_e32 v31, vcc, 0, v106, vcc
	global_load_dwordx4 v[106:109], v[24:25], off
	global_load_dwordx4 v[110:113], v[30:31], off
	v_pk_fma_f16 v24, v74, v26, v45 op_sel:[0,1,0]
	v_pk_fma_f16 v25, v74, v27, v50 op_sel_hi:[1,0,1]
	v_pk_fma_f16 v30, v74, v27, v114 op_sel:[0,1,0]
	v_pk_fma_f16 v31, v75, v26, v51 op_sel_hi:[1,0,1]
	;; [unrolled: 2-line block ×11, first 2 shown]
	v_pk_fma_f16 v27, v48, v84, v27 op_sel_hi:[1,0,1]
	v_pk_fma_f16 v24, v48, v84, v24 op_sel:[0,1,0]
	v_pk_fma_f16 v25, v48, v85, v25 op_sel_hi:[1,0,1]
	v_pk_fma_f16 v29, v48, v85, v29 op_sel:[0,1,0]
	v_pk_fma_f16 v30, v49, v84, v30 op_sel_hi:[1,0,1]
	v_pk_fma_f16 v26, v49, v84, v26 op_sel:[0,1,0]
	v_pk_fma_f16 v28, v49, v85, v28 op_sel_hi:[1,0,1]
	v_pk_fma_f16 v27, v78, v86, v27 op_sel_hi:[1,0,1]
	v_pk_fma_f16 v24, v78, v86, v24 op_sel:[0,1,0]
	v_pk_fma_f16 v25, v78, v87, v25 op_sel_hi:[1,0,1]
	v_pk_fma_f16 v29, v78, v87, v29 op_sel:[0,1,0]
	v_pk_fma_f16 v30, v79, v86, v30 op_sel_hi:[1,0,1]
	v_pk_fma_f16 v26, v79, v86, v26 op_sel:[0,1,0]
	v_pk_fma_f16 v28, v79, v87, v28 op_sel_hi:[1,0,1]
	;; [unrolled: 7-line block ×5, first 2 shown]
	v_pk_fma_f16 v23, v47, v83, v23 op_sel:[0,1,0]
	v_pk_fma_f16 v27, v94, v102, v27 op_sel_hi:[1,0,1]
	v_pk_fma_f16 v24, v94, v102, v24 op_sel:[0,1,0]
	v_pk_fma_f16 v25, v94, v103, v25 op_sel_hi:[1,0,1]
	;; [unrolled: 2-line block ×8, first 2 shown]
	s_waitcnt vmcnt(1)
	ds_write_b128 v65, v[106:109]
	s_waitcnt vmcnt(0)
	ds_write_b128 v66, v[110:113]
	s_waitcnt lgkmcnt(0)
	s_barrier
	ds_read2_b64 v[24:27], v41 offset1:32
	ds_read_b128 v[28:31], v64 offset:256
	v_pk_fma_f16 v23, v79, v87, v23 op_sel:[0,1,0]
	v_pk_fma_f16 v23, v81, v89, v23 op_sel:[0,1,0]
	;; [unrolled: 1-line block ×3, first 2 shown]
	ds_read_b128 v[46:49], v64 offset:272
	ds_read_b128 v[74:77], v64 offset:288
	;; [unrolled: 1-line block ×3, first 2 shown]
	s_waitcnt lgkmcnt(3)
	v_pk_fma_f16 v45, v24, v28, v45 op_sel_hi:[1,0,1]
	v_pk_fma_f16 v50, v24, v28, v50 op_sel:[0,1,0]
	v_pk_fma_f16 v51, v24, v29, v51 op_sel_hi:[1,0,1]
	v_pk_fma_f16 v24, v24, v29, v82 op_sel:[0,1,0]
	;; [unrolled: 2-line block ×3, first 2 shown]
	v_pk_fma_f16 v87, v25, v29, v85 op_sel_hi:[1,0,1]
	ds_read2_b64 v[82:85], v41 offset0:64 offset1:96
	v_pk_fma_f16 v23, v93, v101, v23 op_sel:[0,1,0]
	v_pk_fma_f16 v23, v95, v103, v23 op_sel:[0,1,0]
	;; [unrolled: 1-line block ×4, first 2 shown]
	v_pk_fma_f16 v25, v26, v30, v45 op_sel_hi:[1,0,1]
	v_pk_fma_f16 v29, v26, v30, v50 op_sel:[0,1,0]
	v_pk_fma_f16 v24, v26, v31, v24 op_sel:[0,1,0]
	v_pk_fma_f16 v45, v26, v31, v51 op_sel_hi:[1,0,1]
	v_pk_fma_f16 v26, v27, v30, v86 op_sel_hi:[1,0,1]
	v_pk_fma_f16 v28, v27, v30, v28 op_sel:[0,1,0]
	v_pk_fma_f16 v30, v27, v31, v87 op_sel_hi:[1,0,1]
	v_pk_fma_f16 v23, v27, v31, v23 op_sel:[0,1,0]
	s_waitcnt lgkmcnt(0)
	v_pk_fma_f16 v25, v82, v46, v25 op_sel_hi:[1,0,1]
	v_pk_fma_f16 v27, v82, v46, v29 op_sel:[0,1,0]
	v_pk_fma_f16 v24, v82, v47, v24 op_sel:[0,1,0]
	v_pk_fma_f16 v29, v82, v47, v45 op_sel_hi:[1,0,1]
	v_pk_fma_f16 v31, v83, v46, v26 op_sel_hi:[1,0,1]
	v_pk_fma_f16 v28, v83, v46, v28 op_sel:[0,1,0]
	v_pk_fma_f16 v30, v83, v47, v30 op_sel_hi:[1,0,1]
	v_pk_fma_f16 v23, v83, v47, v23 op_sel:[0,1,0]
	;; [unrolled: 2-line block ×3, first 2 shown]
	v_pk_fma_f16 v47, v84, v49, v24 op_sel:[0,1,0]
	ds_read2_b64 v[24:27], v41 offset0:128 offset1:160
	v_pk_fma_f16 v29, v84, v49, v29 op_sel_hi:[1,0,1]
	v_pk_fma_f16 v31, v85, v48, v31 op_sel_hi:[1,0,1]
	v_pk_fma_f16 v28, v85, v48, v28 op_sel:[0,1,0]
	v_pk_fma_f16 v30, v85, v49, v30 op_sel_hi:[1,0,1]
	v_pk_fma_f16 v23, v85, v49, v23 op_sel:[0,1,0]
	s_waitcnt lgkmcnt(0)
	v_pk_fma_f16 v45, v24, v74, v45 op_sel_hi:[1,0,1]
	v_pk_fma_f16 v46, v24, v74, v46 op_sel:[0,1,0]
	v_pk_fma_f16 v29, v24, v75, v29 op_sel_hi:[1,0,1]
	v_pk_fma_f16 v24, v24, v75, v47 op_sel:[0,1,0]
	;; [unrolled: 2-line block ×5, first 2 shown]
	v_pk_fma_f16 v46, v26, v77, v29 op_sel_hi:[1,0,1]
	ds_read2_b64 v[28:31], v41 offset0:192 offset1:224
	v_pk_fma_f16 v24, v26, v77, v24 op_sel:[0,1,0]
	v_pk_fma_f16 v26, v27, v76, v47 op_sel_hi:[1,0,1]
	v_pk_fma_f16 v47, v27, v76, v48 op_sel:[0,1,0]
	v_pk_fma_f16 v48, v27, v77, v49 op_sel_hi:[1,0,1]
	v_pk_fma_f16 v23, v27, v77, v23 op_sel:[0,1,0]
	s_waitcnt lgkmcnt(0)
	v_pk_fma_f16 v25, v28, v78, v25 op_sel_hi:[1,0,1]
	v_pk_fma_f16 v27, v28, v78, v45 op_sel:[0,1,0]
	v_pk_fma_f16 v24, v28, v79, v24 op_sel:[0,1,0]
	v_pk_fma_f16 v26, v29, v78, v26 op_sel_hi:[1,0,1]
	v_pk_fma_f16 v45, v28, v79, v46 op_sel_hi:[1,0,1]
	v_pk_fma_f16 v28, v29, v78, v47 op_sel:[0,1,0]
	v_pk_fma_f16 v50, v29, v79, v48 op_sel_hi:[1,0,1]
	v_pk_fma_f16 v51, v30, v80, v25 op_sel_hi:[1,0,1]
	v_pk_fma_f16 v74, v30, v80, v27 op_sel:[0,1,0]
	v_pk_fma_f16 v75, v30, v81, v24 op_sel:[0,1,0]
	v_pk_fma_f16 v76, v31, v80, v26 op_sel_hi:[1,0,1]
	ds_read2_b64 v[24:27], v18 offset1:32
	ds_read_b128 v[46:49], v64 offset:320
	v_pk_fma_f16 v23, v29, v79, v23 op_sel:[0,1,0]
	v_pk_fma_f16 v45, v30, v81, v45 op_sel_hi:[1,0,1]
	v_pk_fma_f16 v77, v31, v80, v28 op_sel:[0,1,0]
	v_pk_fma_f16 v50, v31, v81, v50 op_sel_hi:[1,0,1]
	v_pk_fma_f16 v23, v31, v81, v23 op_sel:[0,1,0]
	s_waitcnt lgkmcnt(0)
	v_pk_fma_f16 v74, v24, v46, v74 op_sel:[0,1,0]
	ds_read_b128 v[28:31], v64 offset:336
	v_pk_fma_f16 v51, v24, v46, v51 op_sel_hi:[1,0,1]
	v_pk_fma_f16 v45, v24, v47, v45 op_sel_hi:[1,0,1]
	v_pk_fma_f16 v24, v24, v47, v75 op_sel:[0,1,0]
	v_pk_fma_f16 v78, v25, v46, v76 op_sel_hi:[1,0,1]
	v_pk_fma_f16 v46, v25, v46, v77 op_sel:[0,1,0]
	;; [unrolled: 2-line block ×3, first 2 shown]
	v_pk_fma_f16 v47, v26, v48, v74 op_sel:[0,1,0]
	ds_read2_b64 v[74:77], v18 offset0:64 offset1:96
	v_pk_fma_f16 v25, v26, v48, v51 op_sel_hi:[1,0,1]
	v_pk_fma_f16 v45, v26, v49, v45 op_sel_hi:[1,0,1]
	v_pk_fma_f16 v24, v26, v49, v24 op_sel:[0,1,0]
	v_pk_fma_f16 v26, v27, v48, v78 op_sel_hi:[1,0,1]
	v_pk_fma_f16 v46, v27, v48, v46 op_sel:[0,1,0]
	v_pk_fma_f16 v48, v27, v49, v50 op_sel_hi:[1,0,1]
	v_pk_fma_f16 v23, v27, v49, v23 op_sel:[0,1,0]
	s_waitcnt lgkmcnt(0)
	v_pk_fma_f16 v25, v74, v28, v25 op_sel_hi:[1,0,1]
	v_pk_fma_f16 v27, v74, v28, v47 op_sel:[0,1,0]
	v_pk_fma_f16 v45, v74, v29, v45 op_sel_hi:[1,0,1]
	v_pk_fma_f16 v24, v74, v29, v24 op_sel:[0,1,0]
	;; [unrolled: 2-line block ×6, first 2 shown]
	v_pk_fma_f16 v76, v77, v30, v26 op_sel_hi:[1,0,1]
	ds_read2_b64 v[24:27], v18 offset0:128 offset1:160
	ds_read_b128 v[46:49], v64 offset:352
	v_pk_fma_f16 v50, v77, v31, v50 op_sel_hi:[1,0,1]
	v_pk_fma_f16 v23, v77, v31, v23 op_sel:[0,1,0]
	v_pk_fma_f16 v78, v77, v30, v28 op_sel:[0,1,0]
	ds_read_b128 v[28:31], v64 offset:368
	s_waitcnt lgkmcnt(1)
	v_pk_fma_f16 v74, v24, v46, v74 op_sel:[0,1,0]
	v_pk_fma_f16 v51, v24, v46, v51 op_sel_hi:[1,0,1]
	v_pk_fma_f16 v45, v24, v47, v45 op_sel_hi:[1,0,1]
	v_pk_fma_f16 v24, v24, v47, v75 op_sel:[0,1,0]
	v_pk_fma_f16 v79, v25, v46, v76 op_sel_hi:[1,0,1]
	v_pk_fma_f16 v50, v25, v47, v50 op_sel_hi:[1,0,1]
	v_pk_fma_f16 v23, v25, v47, v23 op_sel:[0,1,0]
	v_pk_fma_f16 v47, v26, v48, v74 op_sel:[0,1,0]
	ds_read2_b64 v[74:77], v18 offset0:192 offset1:224
	v_pk_fma_f16 v46, v25, v46, v78 op_sel:[0,1,0]
	v_pk_fma_f16 v25, v26, v48, v51 op_sel_hi:[1,0,1]
	v_pk_fma_f16 v24, v26, v49, v24 op_sel:[0,1,0]
	v_pk_fma_f16 v45, v26, v49, v45 op_sel_hi:[1,0,1]
	v_pk_fma_f16 v18, v27, v48, v79 op_sel_hi:[1,0,1]
	v_pk_fma_f16 v26, v27, v48, v46 op_sel:[0,1,0]
	v_pk_fma_f16 v46, v27, v49, v50 op_sel_hi:[1,0,1]
	v_pk_fma_f16 v23, v27, v49, v23 op_sel:[0,1,0]
	s_waitcnt lgkmcnt(0)
	v_pk_fma_f16 v25, v74, v28, v25 op_sel_hi:[1,0,1]
	v_pk_fma_f16 v27, v74, v28, v47 op_sel:[0,1,0]
	v_pk_fma_f16 v24, v74, v29, v24 op_sel:[0,1,0]
	v_pk_fma_f16 v45, v74, v29, v45 op_sel_hi:[1,0,1]
	v_pk_fma_f16 v18, v75, v28, v18 op_sel_hi:[1,0,1]
	v_pk_fma_f16 v28, v75, v28, v26 op_sel:[0,1,0]
	v_pk_fma_f16 v50, v75, v29, v46 op_sel_hi:[1,0,1]
	v_pk_fma_f16 v23, v75, v29, v23 op_sel:[0,1,0]
	;; [unrolled: 2-line block ×3, first 2 shown]
	v_pk_fma_f16 v75, v76, v31, v24 op_sel:[0,1,0]
	ds_read2_b64 v[24:27], v19 offset1:32
	ds_read_b128 v[46:49], v64 offset:384
	v_pk_fma_f16 v45, v76, v31, v45 op_sel_hi:[1,0,1]
	v_pk_fma_f16 v18, v77, v30, v18 op_sel_hi:[1,0,1]
	v_pk_fma_f16 v76, v77, v30, v28 op_sel:[0,1,0]
	v_pk_fma_f16 v50, v77, v31, v50 op_sel_hi:[1,0,1]
	v_pk_fma_f16 v23, v77, v31, v23 op_sel:[0,1,0]
	s_waitcnt lgkmcnt(0)
	v_pk_fma_f16 v74, v24, v46, v74 op_sel:[0,1,0]
	ds_read_b128 v[28:31], v64 offset:400
	v_pk_fma_f16 v51, v24, v46, v51 op_sel_hi:[1,0,1]
	v_pk_fma_f16 v45, v24, v47, v45 op_sel_hi:[1,0,1]
	v_pk_fma_f16 v24, v24, v47, v75 op_sel:[0,1,0]
	v_pk_fma_f16 v18, v25, v46, v18 op_sel_hi:[1,0,1]
	v_pk_fma_f16 v46, v25, v46, v76 op_sel:[0,1,0]
	;; [unrolled: 2-line block ×3, first 2 shown]
	v_pk_fma_f16 v47, v26, v48, v74 op_sel:[0,1,0]
	ds_read2_b64 v[74:77], v19 offset0:64 offset1:96
	v_pk_fma_f16 v25, v26, v48, v51 op_sel_hi:[1,0,1]
	v_pk_fma_f16 v24, v26, v49, v24 op_sel:[0,1,0]
	v_pk_fma_f16 v45, v26, v49, v45 op_sel_hi:[1,0,1]
	v_pk_fma_f16 v18, v27, v48, v18 op_sel_hi:[1,0,1]
	v_pk_fma_f16 v26, v27, v48, v46 op_sel:[0,1,0]
	v_pk_fma_f16 v46, v27, v49, v50 op_sel_hi:[1,0,1]
	v_pk_fma_f16 v23, v27, v49, v23 op_sel:[0,1,0]
	s_waitcnt lgkmcnt(0)
	v_pk_fma_f16 v25, v74, v28, v25 op_sel_hi:[1,0,1]
	v_pk_fma_f16 v27, v74, v28, v47 op_sel:[0,1,0]
	v_pk_fma_f16 v24, v74, v29, v24 op_sel:[0,1,0]
	v_pk_fma_f16 v45, v74, v29, v45 op_sel_hi:[1,0,1]
	v_pk_fma_f16 v18, v75, v28, v18 op_sel_hi:[1,0,1]
	v_pk_fma_f16 v28, v75, v28, v26 op_sel:[0,1,0]
	v_pk_fma_f16 v50, v75, v29, v46 op_sel_hi:[1,0,1]
	v_pk_fma_f16 v23, v75, v29, v23 op_sel:[0,1,0]
	;; [unrolled: 2-line block ×3, first 2 shown]
	v_pk_fma_f16 v75, v76, v31, v24 op_sel:[0,1,0]
	ds_read2_b64 v[24:27], v19 offset0:128 offset1:160
	ds_read_b128 v[46:49], v64 offset:416
	v_pk_fma_f16 v45, v76, v31, v45 op_sel_hi:[1,0,1]
	v_pk_fma_f16 v18, v77, v30, v18 op_sel_hi:[1,0,1]
	v_pk_fma_f16 v76, v77, v30, v28 op_sel:[0,1,0]
	v_pk_fma_f16 v50, v77, v31, v50 op_sel_hi:[1,0,1]
	v_pk_fma_f16 v23, v77, v31, v23 op_sel:[0,1,0]
	s_waitcnt lgkmcnt(0)
	v_pk_fma_f16 v74, v24, v46, v74 op_sel:[0,1,0]
	ds_read_b128 v[28:31], v64 offset:432
	v_pk_fma_f16 v51, v24, v46, v51 op_sel_hi:[1,0,1]
	v_pk_fma_f16 v45, v24, v47, v45 op_sel_hi:[1,0,1]
	v_pk_fma_f16 v24, v24, v47, v75 op_sel:[0,1,0]
	v_pk_fma_f16 v18, v25, v46, v18 op_sel_hi:[1,0,1]
	v_pk_fma_f16 v46, v25, v46, v76 op_sel:[0,1,0]
	;; [unrolled: 2-line block ×3, first 2 shown]
	v_pk_fma_f16 v47, v26, v48, v74 op_sel:[0,1,0]
	ds_read2_b64 v[74:77], v19 offset0:192 offset1:224
	v_pk_fma_f16 v25, v26, v48, v51 op_sel_hi:[1,0,1]
	v_pk_fma_f16 v24, v26, v49, v24 op_sel:[0,1,0]
	v_pk_fma_f16 v45, v26, v49, v45 op_sel_hi:[1,0,1]
	v_pk_fma_f16 v18, v27, v48, v18 op_sel_hi:[1,0,1]
	v_pk_fma_f16 v19, v27, v48, v46 op_sel:[0,1,0]
	v_pk_fma_f16 v26, v27, v49, v50 op_sel_hi:[1,0,1]
	v_pk_fma_f16 v23, v27, v49, v23 op_sel:[0,1,0]
	s_waitcnt lgkmcnt(0)
	v_pk_fma_f16 v25, v74, v28, v25 op_sel_hi:[1,0,1]
	v_pk_fma_f16 v27, v74, v28, v47 op_sel:[0,1,0]
	v_pk_fma_f16 v24, v74, v29, v24 op_sel:[0,1,0]
	v_pk_fma_f16 v45, v74, v29, v45 op_sel_hi:[1,0,1]
	v_pk_fma_f16 v18, v75, v28, v18 op_sel_hi:[1,0,1]
	v_pk_fma_f16 v19, v75, v28, v19 op_sel:[0,1,0]
	v_pk_fma_f16 v28, v75, v29, v26 op_sel_hi:[1,0,1]
	v_pk_fma_f16 v50, v76, v30, v25 op_sel_hi:[1,0,1]
	v_pk_fma_f16 v51, v76, v30, v27 op_sel:[0,1,0]
	v_pk_fma_f16 v74, v76, v31, v24 op_sel:[0,1,0]
	ds_read2_b64 v[24:27], v22 offset1:32
	ds_read_b128 v[46:49], v64 offset:448
	v_pk_fma_f16 v23, v75, v29, v23 op_sel:[0,1,0]
	v_pk_fma_f16 v45, v76, v31, v45 op_sel_hi:[1,0,1]
	v_pk_fma_f16 v18, v77, v30, v18 op_sel_hi:[1,0,1]
	v_pk_fma_f16 v19, v77, v30, v19 op_sel:[0,1,0]
	v_pk_fma_f16 v75, v77, v31, v28 op_sel_hi:[1,0,1]
	v_pk_fma_f16 v23, v77, v31, v23 op_sel:[0,1,0]
	ds_read_b128 v[28:31], v64 offset:464
	s_waitcnt lgkmcnt(1)
	v_pk_fma_f16 v50, v24, v46, v50 op_sel_hi:[1,0,1]
	v_pk_fma_f16 v51, v24, v46, v51 op_sel:[0,1,0]
	v_pk_fma_f16 v45, v24, v47, v45 op_sel_hi:[1,0,1]
	v_pk_fma_f16 v24, v24, v47, v74 op_sel:[0,1,0]
	;; [unrolled: 2-line block ×3, first 2 shown]
	v_pk_fma_f16 v46, v25, v47, v75 op_sel_hi:[1,0,1]
	ds_read2_b64 v[74:77], v22 offset0:64 offset1:96
	v_pk_fma_f16 v23, v25, v47, v23 op_sel:[0,1,0]
	v_pk_fma_f16 v25, v26, v48, v50 op_sel_hi:[1,0,1]
	v_pk_fma_f16 v47, v26, v48, v51 op_sel:[0,1,0]
	v_pk_fma_f16 v24, v26, v49, v24 op_sel:[0,1,0]
	v_pk_fma_f16 v45, v26, v49, v45 op_sel_hi:[1,0,1]
	v_pk_fma_f16 v18, v27, v48, v18 op_sel_hi:[1,0,1]
	v_pk_fma_f16 v19, v27, v48, v19 op_sel:[0,1,0]
	v_pk_fma_f16 v26, v27, v49, v46 op_sel_hi:[1,0,1]
	v_pk_fma_f16 v23, v27, v49, v23 op_sel:[0,1,0]
	s_waitcnt lgkmcnt(0)
	v_pk_fma_f16 v25, v74, v28, v25 op_sel_hi:[1,0,1]
	v_pk_fma_f16 v27, v74, v28, v47 op_sel:[0,1,0]
	v_pk_fma_f16 v24, v74, v29, v24 op_sel:[0,1,0]
	v_pk_fma_f16 v45, v74, v29, v45 op_sel_hi:[1,0,1]
	v_pk_fma_f16 v18, v75, v28, v18 op_sel_hi:[1,0,1]
	v_pk_fma_f16 v19, v75, v28, v19 op_sel:[0,1,0]
	v_pk_fma_f16 v28, v75, v29, v26 op_sel_hi:[1,0,1]
	v_pk_fma_f16 v50, v76, v30, v25 op_sel_hi:[1,0,1]
	v_pk_fma_f16 v51, v76, v30, v27 op_sel:[0,1,0]
	v_pk_fma_f16 v74, v76, v31, v24 op_sel:[0,1,0]
	ds_read2_b64 v[24:27], v22 offset0:128 offset1:160
	ds_read_b128 v[46:49], v64 offset:480
	v_pk_fma_f16 v23, v75, v29, v23 op_sel:[0,1,0]
	v_pk_fma_f16 v45, v76, v31, v45 op_sel_hi:[1,0,1]
	v_pk_fma_f16 v18, v77, v30, v18 op_sel_hi:[1,0,1]
	v_pk_fma_f16 v19, v77, v30, v19 op_sel:[0,1,0]
	v_pk_fma_f16 v75, v77, v31, v28 op_sel_hi:[1,0,1]
	v_pk_fma_f16 v23, v77, v31, v23 op_sel:[0,1,0]
	s_waitcnt lgkmcnt(0)
	v_pk_fma_f16 v50, v24, v46, v50 op_sel_hi:[1,0,1]
	v_pk_fma_f16 v51, v24, v46, v51 op_sel:[0,1,0]
	v_pk_fma_f16 v45, v24, v47, v45 op_sel_hi:[1,0,1]
	v_pk_fma_f16 v24, v24, v47, v74 op_sel:[0,1,0]
	ds_read_b128 v[28:31], v64 offset:496
	v_pk_fma_f16 v18, v25, v46, v18 op_sel_hi:[1,0,1]
	v_pk_fma_f16 v19, v25, v46, v19 op_sel:[0,1,0]
	v_pk_fma_f16 v46, v25, v47, v75 op_sel_hi:[1,0,1]
	v_pk_fma_f16 v47, v25, v47, v23 op_sel:[0,1,0]
	;; [unrolled: 2-line block ×4, first 2 shown]
	ds_read2_b64 v[22:25], v22 offset0:192 offset1:224
	s_waitcnt lgkmcnt(0)
	s_barrier
	s_load_dword s6, s[12:13], 0x4
	v_pk_fma_f16 v18, v27, v48, v18 op_sel_hi:[1,0,1]
	v_pk_fma_f16 v19, v27, v48, v19 op_sel:[0,1,0]
	v_pk_fma_f16 v46, v27, v49, v46 op_sel_hi:[1,0,1]
	v_pk_fma_f16 v27, v27, v49, v47 op_sel:[0,1,0]
	s_waitcnt lgkmcnt(0)
	s_lshl_b32 s6, s6, 6
	v_pk_fma_f16 v47, v22, v28, v50 op_sel_hi:[1,0,1]
	v_pk_fma_f16 v48, v22, v28, v51 op_sel:[0,1,0]
	v_pk_fma_f16 v45, v22, v29, v45 op_sel_hi:[1,0,1]
	v_pk_fma_f16 v22, v22, v29, v26 op_sel:[0,1,0]
	;; [unrolled: 2-line block ×4, first 2 shown]
	s_add_i32 s20, s6, s20
	v_pk_fma_f16 v49, v24, v30, v47 op_sel_hi:[1,0,1]
	v_pk_fma_f16 v47, v24, v30, v48 op_sel:[0,1,0]
	v_pk_fma_f16 v45, v24, v31, v45 op_sel_hi:[1,0,1]
	v_pk_fma_f16 v50, v24, v31, v22 op_sel:[0,1,0]
	;; [unrolled: 2-line block ×3, first 2 shown]
	v_pk_fma_f16 v29, v25, v31, v26 op_sel_hi:[1,0,1]
	s_cmp_lt_i32 s20, s21
	v_pk_fma_f16 v46, v25, v31, v23 op_sel:[0,1,0]
	s_cbranch_scc0 .LBB87_63
; %bb.57:                               ;   in Loop: Header=BB87_8 Depth=1
	v_mov_b32_e32 v18, v12
	v_mov_b32_e32 v19, v13
	;; [unrolled: 1-line block ×4, first 2 shown]
	s_branch .LBB87_8
.LBB87_58:                              ;   in Loop: Header=BB87_8 Depth=1
	v_mov_b32_e32 v24, 0
	v_cmp_nlt_f32_e64 s[16:17], |v75|, s46
                                        ; implicit-def: $vgpr76
	s_and_saveexec_b64 s[52:53], s[16:17]
	s_xor_b64 s[16:17], exec, s[52:53]
	s_cbranch_execz .LBB87_15
	s_branch .LBB87_14
.LBB87_59:                              ;   in Loop: Header=BB87_8 Depth=1
	v_mov_b32_e32 v25, 0
	v_cmp_nlt_f32_e64 s[16:17], |v74|, s46
                                        ; implicit-def: $vgpr84
	s_and_saveexec_b64 s[52:53], s[16:17]
	s_xor_b64 s[16:17], exec, s[52:53]
	s_cbranch_execz .LBB87_27
	s_branch .LBB87_26
.LBB87_60:                              ;   in Loop: Header=BB87_8 Depth=1
	v_mov_b32_e32 v31, 0
	v_cmp_nlt_f32_e64 s[16:17], |v27|, s46
                                        ; implicit-def: $vgpr86
	s_and_saveexec_b64 s[52:53], s[16:17]
	s_xor_b64 s[16:17], exec, s[52:53]
	s_cbranch_execz .LBB87_39
	s_branch .LBB87_38
.LBB87_61:                              ;   in Loop: Header=BB87_8 Depth=1
	v_mov_b32_e32 v14, 0
	v_cmp_nlt_f32_e64 s[16:17], |v30|, s46
                                        ; implicit-def: $vgpr78
	s_and_saveexec_b64 s[52:53], s[16:17]
	s_xor_b64 s[16:17], exec, s[52:53]
	s_cbranch_execz .LBB87_51
	s_branch .LBB87_50
.LBB87_62:
	s_mov_b32 s49, s48
	s_mov_b32 s50, s48
	;; [unrolled: 1-line block ×3, first 2 shown]
	v_pk_mov_b32 v[12:13], s[48:49], s[48:49] op_sel:[0,1]
	v_pk_mov_b32 v[14:15], s[50:51], s[50:51] op_sel:[0,1]
	v_mov_b32_e32 v10, v11
	v_mov_b32_e32 v9, v11
	;; [unrolled: 1-line block ×10, first 2 shown]
.LBB87_63:
	s_cmp_gt_i32 s44, s20
	s_cbranch_scc1 .LBB87_65
; %bb.64:
	v_mbcnt_hi_u32_b32 v22, -1, v55
	v_and_b32_e32 v2, 0x60, v22
	v_add_u32_e32 v23, 32, v2
	v_xor_b32_e32 v26, 16, v22
	v_xor_b32_e32 v27, 8, v22
	;; [unrolled: 1-line block ×5, first 2 shown]
	s_cbranch_execz .LBB87_66
	s_branch .LBB87_139
.LBB87_65:
                                        ; implicit-def: $vgpr22
                                        ; implicit-def: $vgpr23
                                        ; implicit-def: $vgpr26
                                        ; implicit-def: $vgpr27
                                        ; implicit-def: $vgpr28
                                        ; implicit-def: $vgpr25
                                        ; implicit-def: $vgpr24
.LBB87_66:
	s_mul_hi_i32 s7, s20, s27
	s_mul_i32 s6, s20, s27
	v_add_u32_e32 v6, v1, v38
	s_sub_i32 s21, s44, s20
	s_lshl_b64 s[6:7], s[6:7], 2
	v_mul_lo_u32 v4, s27, v6
	s_add_u32 s10, s40, s6
	v_ashrrev_i32_e32 v5, 31, v4
	s_addc_u32 s11, s41, s7
	v_lshlrev_b32_e32 v7, 2, v0
	v_lshlrev_b64 v[0:1], 2, v[4:5]
	v_mov_b32_e32 v2, s11
	v_add_co_u32_e32 v0, vcc, s10, v0
	v_addc_co_u32_e32 v1, vcc, v2, v1, vcc
	s_mov_b64 s[6:7], src_private_base
	v_add_co_u32_e32 v22, vcc, v0, v7
	v_mov_b32_e32 v27, 0
	v_addc_co_u32_e32 v23, vcc, 0, v1, vcc
	v_mov_b32_e32 v28, s7
	v_cmp_gt_i32_e64 s[6:7], s21, v6
	v_mov_b32_e32 v30, 0
	buffer_store_dword v27, off, s[0:3], 0
	buffer_store_dword v27, off, s[0:3], 0 offset:8
	buffer_store_dword v27, off, s[0:3], 0 offset:4
	;; [unrolled: 1-line block ×3, first 2 shown]
	v_cndmask_b32_e64 v1, v28, v23, s[6:7]
	v_cndmask_b32_e64 v0, v30, v22, s[6:7]
	flat_load_dwordx4 v[0:3], v[0:1]
	v_lshl_add_u32 v4, s27, 5, v4
	v_ashrrev_i32_e32 v5, 31, v4
	v_lshlrev_b64 v[4:5], 2, v[4:5]
	v_mov_b32_e32 v16, s11
	v_add_co_u32_e32 v4, vcc, s10, v4
	v_addc_co_u32_e32 v5, vcc, v16, v5, vcc
	s_movk_i32 s12, 0x90
	v_add_co_u32_e32 v31, vcc, v4, v7
	v_mad_u32_u24 v26, v6, s12, v7
	v_add_u32_e32 v6, 32, v6
	v_addc_co_u32_e32 v57, vcc, 0, v5, vcc
	v_cmp_gt_i32_e32 vcc, s21, v6
	v_cndmask_b32_e32 v5, v28, v57, vcc
	v_cndmask_b32_e32 v4, v30, v31, vcc
	buffer_store_dword v27, off, s[0:3], 0
	buffer_store_dword v27, off, s[0:3], 0 offset:8
	buffer_store_dword v27, off, s[0:3], 0 offset:4
	;; [unrolled: 1-line block ×3, first 2 shown]
	v_lshlrev_b32_e32 v24, 10, v42
	v_mul_u32_u24_e32 v25, 0x90, v39
	v_mov_b32_e32 v6, 0
	v_mov_b32_e32 v7, 0
	s_movk_i32 s12, 0x80
	v_add_co_u32_e64 v22, s[10:11], s12, v22
	v_addc_co_u32_e64 v23, s[10:11], 0, v23, s[10:11]
	v_cndmask_b32_e64 v22, v30, v22, s[6:7]
	v_cndmask_b32_e64 v23, v28, v23, s[6:7]
	s_waitcnt vmcnt(0) lgkmcnt(0)
	ds_write_b128 v26, v[0:3]
	flat_load_dwordx4 v[16:19], v[4:5]
	v_mov_b32_e32 v0, 0
	v_mov_b32_e32 v1, 0
	;; [unrolled: 1-line block ×6, first 2 shown]
	s_waitcnt vmcnt(0) lgkmcnt(0)
	ds_write_b128 v26, v[16:19] offset:4608
	s_waitcnt lgkmcnt(0)
	s_barrier
	ds_read_b128 v[16:19], v24 offset:9216
	ds_read_b128 v[58:61], v25
	ds_read_b128 v[62:65], v25 offset:4608
	ds_read_b128 v[66:69], v24 offset:9472
	;; [unrolled: 1-line block ×4, first 2 shown]
	s_waitcnt lgkmcnt(4)
	;;#ASMSTART
	v_dot2_f32_f16 v0, v58, v16, v0
	;;#ASMEND
	;;#ASMSTART
	v_dot2_f32_f16 v0, v59, v17, v0
	;;#ASMEND
	;;#ASMSTART
	v_dot2_f32_f16 v0, v60, v18, v0
	;;#ASMEND
	;;#ASMSTART
	v_dot2_f32_f16 v0, v61, v19, v0
	;;#ASMEND
	s_waitcnt lgkmcnt(2)
	;;#ASMSTART
	v_dot2_f32_f16 v1, v58, v66, v1
	;;#ASMEND
	;;#ASMSTART
	v_dot2_f32_f16 v1, v59, v67, v1
	;;#ASMEND
	;;#ASMSTART
	v_dot2_f32_f16 v1, v60, v68, v1
	;;#ASMEND
	;;#ASMSTART
	v_dot2_f32_f16 v1, v61, v69, v1
	;;#ASMEND
	;; [unrolled: 13-line block ×4, first 2 shown]
	;;#ASMSTART
	v_dot2_f32_f16 v4, v62, v16, v4
	;;#ASMEND
	;;#ASMSTART
	v_dot2_f32_f16 v4, v63, v17, v4
	;;#ASMEND
	;; [unrolled: 3-line block ×16, first 2 shown]
	ds_read_b128 v[16:19], v24 offset:9232
	ds_read_b128 v[58:61], v25 offset:16
	;; [unrolled: 1-line block ×6, first 2 shown]
	s_waitcnt lgkmcnt(4)
	;;#ASMSTART
	v_dot2_f32_f16 v0, v58, v16, v0
	;;#ASMEND
	;;#ASMSTART
	v_dot2_f32_f16 v0, v59, v17, v0
	;;#ASMEND
	;;#ASMSTART
	v_dot2_f32_f16 v0, v60, v18, v0
	;;#ASMEND
	;;#ASMSTART
	v_dot2_f32_f16 v0, v61, v19, v0
	;;#ASMEND
	s_waitcnt lgkmcnt(2)
	;;#ASMSTART
	v_dot2_f32_f16 v1, v58, v66, v1
	;;#ASMEND
	;;#ASMSTART
	v_dot2_f32_f16 v1, v59, v67, v1
	;;#ASMEND
	;;#ASMSTART
	v_dot2_f32_f16 v1, v60, v68, v1
	;;#ASMEND
	;;#ASMSTART
	v_dot2_f32_f16 v1, v61, v69, v1
	;;#ASMEND
	s_waitcnt lgkmcnt(1)
	;;#ASMSTART
	v_dot2_f32_f16 v2, v58, v70, v2
	;;#ASMEND
	;;#ASMSTART
	v_dot2_f32_f16 v2, v59, v71, v2
	;;#ASMEND
	;;#ASMSTART
	v_dot2_f32_f16 v2, v60, v72, v2
	;;#ASMEND
	;;#ASMSTART
	v_dot2_f32_f16 v2, v61, v73, v2
	;;#ASMEND
	s_waitcnt lgkmcnt(0)
	;;#ASMSTART
	v_dot2_f32_f16 v3, v58, v74, v3
	;;#ASMEND
	;;#ASMSTART
	v_dot2_f32_f16 v3, v59, v75, v3
	;;#ASMEND
	;;#ASMSTART
	v_dot2_f32_f16 v3, v60, v76, v3
	;;#ASMEND
	;;#ASMSTART
	v_dot2_f32_f16 v3, v61, v77, v3
	;;#ASMEND
	;;#ASMSTART
	v_dot2_f32_f16 v4, v62, v16, v4
	;;#ASMEND
	;;#ASMSTART
	v_dot2_f32_f16 v4, v63, v17, v4
	;;#ASMEND
	;; [unrolled: 3-line block ×16, first 2 shown]
	ds_read_b128 v[16:19], v24 offset:9248
	ds_read_b128 v[58:61], v25 offset:32
	;; [unrolled: 1-line block ×6, first 2 shown]
	s_waitcnt lgkmcnt(4)
	;;#ASMSTART
	v_dot2_f32_f16 v0, v58, v16, v0
	;;#ASMEND
	;;#ASMSTART
	v_dot2_f32_f16 v0, v59, v17, v0
	;;#ASMEND
	;;#ASMSTART
	v_dot2_f32_f16 v0, v60, v18, v0
	;;#ASMEND
	;;#ASMSTART
	v_dot2_f32_f16 v0, v61, v19, v0
	;;#ASMEND
	s_waitcnt lgkmcnt(2)
	;;#ASMSTART
	v_dot2_f32_f16 v1, v58, v66, v1
	;;#ASMEND
	;;#ASMSTART
	v_dot2_f32_f16 v1, v59, v67, v1
	;;#ASMEND
	;;#ASMSTART
	v_dot2_f32_f16 v1, v60, v68, v1
	;;#ASMEND
	;;#ASMSTART
	v_dot2_f32_f16 v1, v61, v69, v1
	;;#ASMEND
	;; [unrolled: 13-line block ×4, first 2 shown]
	;;#ASMSTART
	v_dot2_f32_f16 v4, v62, v16, v4
	;;#ASMEND
	;;#ASMSTART
	v_dot2_f32_f16 v4, v63, v17, v4
	;;#ASMEND
	;; [unrolled: 3-line block ×16, first 2 shown]
	ds_read_b128 v[16:19], v24 offset:9264
	ds_read_b128 v[58:61], v25 offset:48
	;; [unrolled: 1-line block ×6, first 2 shown]
	s_waitcnt lgkmcnt(4)
	;;#ASMSTART
	v_dot2_f32_f16 v0, v58, v16, v0
	;;#ASMEND
	;;#ASMSTART
	v_dot2_f32_f16 v0, v59, v17, v0
	;;#ASMEND
	;;#ASMSTART
	v_dot2_f32_f16 v0, v60, v18, v0
	;;#ASMEND
	;;#ASMSTART
	v_dot2_f32_f16 v0, v61, v19, v0
	;;#ASMEND
	s_waitcnt lgkmcnt(2)
	;;#ASMSTART
	v_dot2_f32_f16 v1, v58, v66, v1
	;;#ASMEND
	;;#ASMSTART
	v_dot2_f32_f16 v1, v59, v67, v1
	;;#ASMEND
	;;#ASMSTART
	v_dot2_f32_f16 v1, v60, v68, v1
	;;#ASMEND
	;;#ASMSTART
	v_dot2_f32_f16 v1, v61, v69, v1
	;;#ASMEND
	;; [unrolled: 13-line block ×4, first 2 shown]
	;;#ASMSTART
	v_dot2_f32_f16 v4, v62, v16, v4
	;;#ASMEND
	;;#ASMSTART
	v_dot2_f32_f16 v4, v63, v17, v4
	;;#ASMEND
	;; [unrolled: 3-line block ×16, first 2 shown]
	ds_read_b128 v[16:19], v24 offset:9280
	ds_read_b128 v[58:61], v25 offset:64
	;; [unrolled: 1-line block ×6, first 2 shown]
	s_waitcnt lgkmcnt(4)
	;;#ASMSTART
	v_dot2_f32_f16 v0, v58, v16, v0
	;;#ASMEND
	;;#ASMSTART
	v_dot2_f32_f16 v0, v59, v17, v0
	;;#ASMEND
	;;#ASMSTART
	v_dot2_f32_f16 v0, v60, v18, v0
	;;#ASMEND
	;;#ASMSTART
	v_dot2_f32_f16 v0, v61, v19, v0
	;;#ASMEND
	s_waitcnt lgkmcnt(2)
	;;#ASMSTART
	v_dot2_f32_f16 v1, v58, v66, v1
	;;#ASMEND
	;;#ASMSTART
	v_dot2_f32_f16 v1, v59, v67, v1
	;;#ASMEND
	;;#ASMSTART
	v_dot2_f32_f16 v1, v60, v68, v1
	;;#ASMEND
	;;#ASMSTART
	v_dot2_f32_f16 v1, v61, v69, v1
	;;#ASMEND
	;; [unrolled: 13-line block ×4, first 2 shown]
	;;#ASMSTART
	v_dot2_f32_f16 v4, v62, v16, v4
	;;#ASMEND
	;;#ASMSTART
	v_dot2_f32_f16 v4, v63, v17, v4
	;;#ASMEND
	;;#ASMSTART
	v_dot2_f32_f16 v4, v64, v18, v4
	;;#ASMEND
	;;#ASMSTART
	v_dot2_f32_f16 v4, v65, v19, v4
	;;#ASMEND
	;;#ASMSTART
	v_dot2_f32_f16 v5, v62, v66, v5
	;;#ASMEND
	;;#ASMSTART
	v_dot2_f32_f16 v5, v63, v67, v5
	;;#ASMEND
	;;#ASMSTART
	v_dot2_f32_f16 v5, v64, v68, v5
	;;#ASMEND
	;;#ASMSTART
	v_dot2_f32_f16 v5, v65, v69, v5
	;;#ASMEND
	;;#ASMSTART
	v_dot2_f32_f16 v6, v62, v70, v6
	;;#ASMEND
	;;#ASMSTART
	v_dot2_f32_f16 v6, v63, v71, v6
	;;#ASMEND
	;;#ASMSTART
	v_dot2_f32_f16 v6, v64, v72, v6
	;;#ASMEND
	;;#ASMSTART
	v_dot2_f32_f16 v6, v65, v73, v6
	;;#ASMEND
	;;#ASMSTART
	v_dot2_f32_f16 v7, v62, v74, v7
	;;#ASMEND
	;;#ASMSTART
	v_dot2_f32_f16 v7, v63, v75, v7
	;;#ASMEND
	;;#ASMSTART
	v_dot2_f32_f16 v7, v64, v76, v7
	;;#ASMEND
	;;#ASMSTART
	v_dot2_f32_f16 v7, v65, v77, v7
	;;#ASMEND
	ds_read_b128 v[16:19], v24 offset:9296
	ds_read_b128 v[58:61], v25 offset:80
	;; [unrolled: 1-line block ×6, first 2 shown]
	s_waitcnt lgkmcnt(4)
	;;#ASMSTART
	v_dot2_f32_f16 v0, v58, v16, v0
	;;#ASMEND
	;;#ASMSTART
	v_dot2_f32_f16 v0, v59, v17, v0
	;;#ASMEND
	;;#ASMSTART
	v_dot2_f32_f16 v0, v60, v18, v0
	;;#ASMEND
	;;#ASMSTART
	v_dot2_f32_f16 v0, v61, v19, v0
	;;#ASMEND
	s_waitcnt lgkmcnt(2)
	;;#ASMSTART
	v_dot2_f32_f16 v1, v58, v66, v1
	;;#ASMEND
	;;#ASMSTART
	v_dot2_f32_f16 v1, v59, v67, v1
	;;#ASMEND
	;;#ASMSTART
	v_dot2_f32_f16 v1, v60, v68, v1
	;;#ASMEND
	;;#ASMSTART
	v_dot2_f32_f16 v1, v61, v69, v1
	;;#ASMEND
	;; [unrolled: 13-line block ×4, first 2 shown]
	;;#ASMSTART
	v_dot2_f32_f16 v4, v62, v16, v4
	;;#ASMEND
	;;#ASMSTART
	v_dot2_f32_f16 v4, v63, v17, v4
	;;#ASMEND
	;; [unrolled: 3-line block ×16, first 2 shown]
	ds_read_b128 v[16:19], v24 offset:9312
	ds_read_b128 v[58:61], v25 offset:96
	;; [unrolled: 1-line block ×6, first 2 shown]
	s_waitcnt lgkmcnt(4)
	;;#ASMSTART
	v_dot2_f32_f16 v0, v58, v16, v0
	;;#ASMEND
	;;#ASMSTART
	v_dot2_f32_f16 v0, v59, v17, v0
	;;#ASMEND
	;;#ASMSTART
	v_dot2_f32_f16 v0, v60, v18, v0
	;;#ASMEND
	;;#ASMSTART
	v_dot2_f32_f16 v0, v61, v19, v0
	;;#ASMEND
	s_waitcnt lgkmcnt(2)
	;;#ASMSTART
	v_dot2_f32_f16 v1, v58, v66, v1
	;;#ASMEND
	;;#ASMSTART
	v_dot2_f32_f16 v1, v59, v67, v1
	;;#ASMEND
	;;#ASMSTART
	v_dot2_f32_f16 v1, v60, v68, v1
	;;#ASMEND
	;;#ASMSTART
	v_dot2_f32_f16 v1, v61, v69, v1
	;;#ASMEND
	;; [unrolled: 13-line block ×4, first 2 shown]
	;;#ASMSTART
	v_dot2_f32_f16 v4, v62, v16, v4
	;;#ASMEND
	;;#ASMSTART
	v_dot2_f32_f16 v4, v63, v17, v4
	;;#ASMEND
	;; [unrolled: 3-line block ×16, first 2 shown]
	ds_read_b128 v[16:19], v24 offset:9328
	ds_read_b128 v[58:61], v25 offset:112
	;; [unrolled: 1-line block ×6, first 2 shown]
	s_waitcnt lgkmcnt(4)
	;;#ASMSTART
	v_dot2_f32_f16 v0, v58, v16, v0
	;;#ASMEND
	;;#ASMSTART
	v_dot2_f32_f16 v0, v59, v17, v0
	;;#ASMEND
	;;#ASMSTART
	v_dot2_f32_f16 v0, v60, v18, v0
	;;#ASMEND
	;;#ASMSTART
	v_dot2_f32_f16 v0, v61, v19, v0
	;;#ASMEND
	s_waitcnt lgkmcnt(2)
	;;#ASMSTART
	v_dot2_f32_f16 v1, v58, v66, v1
	;;#ASMEND
	;;#ASMSTART
	v_dot2_f32_f16 v1, v59, v67, v1
	;;#ASMEND
	;;#ASMSTART
	v_dot2_f32_f16 v1, v60, v68, v1
	;;#ASMEND
	;;#ASMSTART
	v_dot2_f32_f16 v1, v61, v69, v1
	;;#ASMEND
	;; [unrolled: 13-line block ×4, first 2 shown]
	;;#ASMSTART
	v_dot2_f32_f16 v4, v62, v16, v4
	;;#ASMEND
	;;#ASMSTART
	v_dot2_f32_f16 v4, v63, v17, v4
	;;#ASMEND
	;; [unrolled: 3-line block ×16, first 2 shown]
	s_barrier
	buffer_store_dword v27, off, s[0:3], 0
	buffer_store_dword v27, off, s[0:3], 0 offset:8
	buffer_store_dword v27, off, s[0:3], 0 offset:4
	;; [unrolled: 1-line block ×3, first 2 shown]
	flat_load_dwordx4 v[16:19], v[22:23]
	v_add_co_u32_e64 v22, s[6:7], s12, v31
	v_addc_co_u32_e64 v23, s[6:7], 0, v57, s[6:7]
	v_cndmask_b32_e32 v23, v28, v23, vcc
	v_cndmask_b32_e32 v22, v30, v22, vcc
	buffer_store_dword v27, off, s[0:3], 0
	buffer_store_dword v27, off, s[0:3], 0 offset:8
	buffer_store_dword v27, off, s[0:3], 0 offset:4
	;; [unrolled: 1-line block ×3, first 2 shown]
	s_mov_b32 s6, 0x3f200000
	s_waitcnt vmcnt(0) lgkmcnt(0)
	ds_write_b128 v26, v[16:19]
	flat_load_dwordx4 v[16:19], v[22:23]
	s_waitcnt vmcnt(0) lgkmcnt(0)
	ds_write_b128 v26, v[16:19] offset:4608
	s_waitcnt lgkmcnt(0)
	s_barrier
	ds_read_b128 v[16:19], v24 offset:9344
	ds_read_b128 v[58:61], v25
	ds_read_b128 v[62:65], v25 offset:4608
	ds_read_b128 v[66:69], v24 offset:9600
	;; [unrolled: 1-line block ×4, first 2 shown]
	s_waitcnt lgkmcnt(4)
	;;#ASMSTART
	v_dot2_f32_f16 v0, v58, v16, v0
	;;#ASMEND
	;;#ASMSTART
	v_dot2_f32_f16 v0, v59, v17, v0
	;;#ASMEND
	;;#ASMSTART
	v_dot2_f32_f16 v0, v60, v18, v0
	;;#ASMEND
	;;#ASMSTART
	v_dot2_f32_f16 v0, v61, v19, v0
	;;#ASMEND
	s_waitcnt lgkmcnt(2)
	;;#ASMSTART
	v_dot2_f32_f16 v1, v58, v66, v1
	;;#ASMEND
	;;#ASMSTART
	v_dot2_f32_f16 v1, v59, v67, v1
	;;#ASMEND
	;;#ASMSTART
	v_dot2_f32_f16 v1, v60, v68, v1
	;;#ASMEND
	;;#ASMSTART
	v_dot2_f32_f16 v1, v61, v69, v1
	;;#ASMEND
	;; [unrolled: 13-line block ×4, first 2 shown]
	;;#ASMSTART
	v_dot2_f32_f16 v4, v62, v16, v4
	;;#ASMEND
	;;#ASMSTART
	v_dot2_f32_f16 v4, v63, v17, v4
	;;#ASMEND
	;;#ASMSTART
	v_dot2_f32_f16 v4, v64, v18, v4
	;;#ASMEND
	;;#ASMSTART
	v_dot2_f32_f16 v4, v65, v19, v4
	;;#ASMEND
	;;#ASMSTART
	v_dot2_f32_f16 v5, v62, v66, v5
	;;#ASMEND
	;;#ASMSTART
	v_dot2_f32_f16 v5, v63, v67, v5
	;;#ASMEND
	;;#ASMSTART
	v_dot2_f32_f16 v5, v64, v68, v5
	;;#ASMEND
	;;#ASMSTART
	v_dot2_f32_f16 v5, v65, v69, v5
	;;#ASMEND
	;;#ASMSTART
	v_dot2_f32_f16 v6, v62, v70, v6
	;;#ASMEND
	;;#ASMSTART
	v_dot2_f32_f16 v6, v63, v71, v6
	;;#ASMEND
	;;#ASMSTART
	v_dot2_f32_f16 v6, v64, v72, v6
	;;#ASMEND
	;;#ASMSTART
	v_dot2_f32_f16 v6, v65, v73, v6
	;;#ASMEND
	;;#ASMSTART
	v_dot2_f32_f16 v7, v62, v74, v7
	;;#ASMEND
	;;#ASMSTART
	v_dot2_f32_f16 v7, v63, v75, v7
	;;#ASMEND
	;;#ASMSTART
	v_dot2_f32_f16 v7, v64, v76, v7
	;;#ASMEND
	;;#ASMSTART
	v_dot2_f32_f16 v7, v65, v77, v7
	;;#ASMEND
	ds_read_b128 v[16:19], v24 offset:9360
	ds_read_b128 v[58:61], v25 offset:16
	;; [unrolled: 1-line block ×6, first 2 shown]
	s_waitcnt lgkmcnt(4)
	;;#ASMSTART
	v_dot2_f32_f16 v0, v58, v16, v0
	;;#ASMEND
	;;#ASMSTART
	v_dot2_f32_f16 v0, v59, v17, v0
	;;#ASMEND
	;;#ASMSTART
	v_dot2_f32_f16 v0, v60, v18, v0
	;;#ASMEND
	;;#ASMSTART
	v_dot2_f32_f16 v0, v61, v19, v0
	;;#ASMEND
	s_waitcnt lgkmcnt(2)
	;;#ASMSTART
	v_dot2_f32_f16 v1, v58, v66, v1
	;;#ASMEND
	;;#ASMSTART
	v_dot2_f32_f16 v1, v59, v67, v1
	;;#ASMEND
	;;#ASMSTART
	v_dot2_f32_f16 v1, v60, v68, v1
	;;#ASMEND
	;;#ASMSTART
	v_dot2_f32_f16 v1, v61, v69, v1
	;;#ASMEND
	;; [unrolled: 13-line block ×4, first 2 shown]
	;;#ASMSTART
	v_dot2_f32_f16 v4, v62, v16, v4
	;;#ASMEND
	;;#ASMSTART
	v_dot2_f32_f16 v4, v63, v17, v4
	;;#ASMEND
	;; [unrolled: 3-line block ×16, first 2 shown]
	ds_read_b128 v[16:19], v24 offset:9376
	ds_read_b128 v[58:61], v25 offset:32
	;; [unrolled: 1-line block ×6, first 2 shown]
	s_waitcnt lgkmcnt(4)
	;;#ASMSTART
	v_dot2_f32_f16 v0, v58, v16, v0
	;;#ASMEND
	;;#ASMSTART
	v_dot2_f32_f16 v0, v59, v17, v0
	;;#ASMEND
	;;#ASMSTART
	v_dot2_f32_f16 v0, v60, v18, v0
	;;#ASMEND
	;;#ASMSTART
	v_dot2_f32_f16 v0, v61, v19, v0
	;;#ASMEND
	s_waitcnt lgkmcnt(2)
	;;#ASMSTART
	v_dot2_f32_f16 v1, v58, v66, v1
	;;#ASMEND
	;;#ASMSTART
	v_dot2_f32_f16 v1, v59, v67, v1
	;;#ASMEND
	;;#ASMSTART
	v_dot2_f32_f16 v1, v60, v68, v1
	;;#ASMEND
	;;#ASMSTART
	v_dot2_f32_f16 v1, v61, v69, v1
	;;#ASMEND
	;; [unrolled: 13-line block ×4, first 2 shown]
	;;#ASMSTART
	v_dot2_f32_f16 v4, v62, v16, v4
	;;#ASMEND
	;;#ASMSTART
	v_dot2_f32_f16 v4, v63, v17, v4
	;;#ASMEND
	;; [unrolled: 3-line block ×16, first 2 shown]
	ds_read_b128 v[16:19], v24 offset:9392
	ds_read_b128 v[58:61], v25 offset:48
	;; [unrolled: 1-line block ×6, first 2 shown]
	s_waitcnt lgkmcnt(4)
	;;#ASMSTART
	v_dot2_f32_f16 v0, v58, v16, v0
	;;#ASMEND
	;;#ASMSTART
	v_dot2_f32_f16 v0, v59, v17, v0
	;;#ASMEND
	;;#ASMSTART
	v_dot2_f32_f16 v0, v60, v18, v0
	;;#ASMEND
	;;#ASMSTART
	v_dot2_f32_f16 v0, v61, v19, v0
	;;#ASMEND
	s_waitcnt lgkmcnt(2)
	;;#ASMSTART
	v_dot2_f32_f16 v1, v58, v66, v1
	;;#ASMEND
	;;#ASMSTART
	v_dot2_f32_f16 v1, v59, v67, v1
	;;#ASMEND
	;;#ASMSTART
	v_dot2_f32_f16 v1, v60, v68, v1
	;;#ASMEND
	;;#ASMSTART
	v_dot2_f32_f16 v1, v61, v69, v1
	;;#ASMEND
	;; [unrolled: 13-line block ×4, first 2 shown]
	;;#ASMSTART
	v_dot2_f32_f16 v4, v62, v16, v4
	;;#ASMEND
	;;#ASMSTART
	v_dot2_f32_f16 v4, v63, v17, v4
	;;#ASMEND
	;; [unrolled: 3-line block ×16, first 2 shown]
	ds_read_b128 v[16:19], v24 offset:9408
	ds_read_b128 v[58:61], v25 offset:64
	;; [unrolled: 1-line block ×6, first 2 shown]
	s_waitcnt lgkmcnt(4)
	;;#ASMSTART
	v_dot2_f32_f16 v0, v58, v16, v0
	;;#ASMEND
	;;#ASMSTART
	v_dot2_f32_f16 v0, v59, v17, v0
	;;#ASMEND
	;;#ASMSTART
	v_dot2_f32_f16 v0, v60, v18, v0
	;;#ASMEND
	;;#ASMSTART
	v_dot2_f32_f16 v0, v61, v19, v0
	;;#ASMEND
	s_waitcnt lgkmcnt(2)
	;;#ASMSTART
	v_dot2_f32_f16 v1, v58, v66, v1
	;;#ASMEND
	;;#ASMSTART
	v_dot2_f32_f16 v1, v59, v67, v1
	;;#ASMEND
	;;#ASMSTART
	v_dot2_f32_f16 v1, v60, v68, v1
	;;#ASMEND
	;;#ASMSTART
	v_dot2_f32_f16 v1, v61, v69, v1
	;;#ASMEND
	;; [unrolled: 13-line block ×4, first 2 shown]
	;;#ASMSTART
	v_dot2_f32_f16 v4, v62, v16, v4
	;;#ASMEND
	;;#ASMSTART
	v_dot2_f32_f16 v4, v63, v17, v4
	;;#ASMEND
	;; [unrolled: 3-line block ×16, first 2 shown]
	ds_read_b128 v[16:19], v24 offset:9424
	ds_read_b128 v[58:61], v25 offset:80
	ds_read_b128 v[62:65], v25 offset:4688
	ds_read_b128 v[66:69], v24 offset:9680
	ds_read_b128 v[70:73], v24 offset:9936
	ds_read_b128 v[74:77], v24 offset:10192
	s_waitcnt lgkmcnt(4)
	;;#ASMSTART
	v_dot2_f32_f16 v0, v58, v16, v0
	;;#ASMEND
	;;#ASMSTART
	v_dot2_f32_f16 v0, v59, v17, v0
	;;#ASMEND
	;;#ASMSTART
	v_dot2_f32_f16 v0, v60, v18, v0
	;;#ASMEND
	;;#ASMSTART
	v_dot2_f32_f16 v0, v61, v19, v0
	;;#ASMEND
	s_waitcnt lgkmcnt(2)
	;;#ASMSTART
	v_dot2_f32_f16 v1, v58, v66, v1
	;;#ASMEND
	;;#ASMSTART
	v_dot2_f32_f16 v1, v59, v67, v1
	;;#ASMEND
	;;#ASMSTART
	v_dot2_f32_f16 v1, v60, v68, v1
	;;#ASMEND
	;;#ASMSTART
	v_dot2_f32_f16 v1, v61, v69, v1
	;;#ASMEND
	;; [unrolled: 13-line block ×4, first 2 shown]
	;;#ASMSTART
	v_dot2_f32_f16 v4, v62, v16, v4
	;;#ASMEND
	;;#ASMSTART
	v_dot2_f32_f16 v4, v63, v17, v4
	;;#ASMEND
	;; [unrolled: 3-line block ×16, first 2 shown]
	ds_read_b128 v[16:19], v24 offset:9440
	ds_read_b128 v[58:61], v25 offset:96
	ds_read_b128 v[62:65], v25 offset:4704
	ds_read_b128 v[66:69], v24 offset:9696
	ds_read_b128 v[70:73], v24 offset:9952
	ds_read_b128 v[74:77], v24 offset:10208
	s_waitcnt lgkmcnt(4)
	;;#ASMSTART
	v_dot2_f32_f16 v0, v58, v16, v0
	;;#ASMEND
	;;#ASMSTART
	v_dot2_f32_f16 v0, v59, v17, v0
	;;#ASMEND
	;;#ASMSTART
	v_dot2_f32_f16 v0, v60, v18, v0
	;;#ASMEND
	;;#ASMSTART
	v_dot2_f32_f16 v0, v61, v19, v0
	;;#ASMEND
	s_waitcnt lgkmcnt(2)
	;;#ASMSTART
	v_dot2_f32_f16 v1, v58, v66, v1
	;;#ASMEND
	;;#ASMSTART
	v_dot2_f32_f16 v1, v59, v67, v1
	;;#ASMEND
	;;#ASMSTART
	v_dot2_f32_f16 v1, v60, v68, v1
	;;#ASMEND
	;;#ASMSTART
	v_dot2_f32_f16 v1, v61, v69, v1
	;;#ASMEND
	;; [unrolled: 13-line block ×4, first 2 shown]
	;;#ASMSTART
	v_dot2_f32_f16 v4, v62, v16, v4
	;;#ASMEND
	;;#ASMSTART
	v_dot2_f32_f16 v4, v63, v17, v4
	;;#ASMEND
	;; [unrolled: 3-line block ×16, first 2 shown]
	ds_read_b128 v[16:19], v24 offset:9456
	ds_read_b128 v[58:61], v25 offset:112
	;; [unrolled: 1-line block ×6, first 2 shown]
	s_waitcnt lgkmcnt(4)
	;;#ASMSTART
	v_dot2_f32_f16 v0, v58, v16, v0
	;;#ASMEND
	;;#ASMSTART
	v_dot2_f32_f16 v0, v59, v17, v0
	;;#ASMEND
	;;#ASMSTART
	v_dot2_f32_f16 v0, v60, v18, v0
	;;#ASMEND
	;;#ASMSTART
	v_dot2_f32_f16 v0, v61, v19, v0
	;;#ASMEND
	s_waitcnt lgkmcnt(2)
	;;#ASMSTART
	v_dot2_f32_f16 v1, v58, v66, v1
	;;#ASMEND
	;;#ASMSTART
	v_dot2_f32_f16 v1, v59, v67, v1
	;;#ASMEND
	;;#ASMSTART
	v_dot2_f32_f16 v1, v60, v68, v1
	;;#ASMEND
	;;#ASMSTART
	v_dot2_f32_f16 v1, v61, v69, v1
	;;#ASMEND
	;; [unrolled: 13-line block ×4, first 2 shown]
	;;#ASMSTART
	v_dot2_f32_f16 v4, v62, v16, v4
	;;#ASMEND
	;;#ASMSTART
	v_dot2_f32_f16 v4, v63, v17, v4
	;;#ASMEND
	;; [unrolled: 3-line block ×15, first 2 shown]
	v_cmp_nlt_f32_e64 s[6:7], |v0|, s6
	;;#ASMSTART
	v_dot2_f32_f16 v7, v65, v25, v7
	;;#ASMEND
                                        ; implicit-def: $vgpr16
	s_and_saveexec_b64 s[10:11], s[6:7]
	s_xor_b64 s[6:7], exec, s[10:11]
	s_cbranch_execz .LBB87_68
; %bb.67:
	v_add_f32_e64 v16, |v0|, |v0|
	v_mul_f32_e32 v17, 0x3fb8aa3b, v16
	s_mov_b32 s10, 0x3fb8aa3b
	v_rndne_f32_e32 v18, v17
	v_sub_f32_e32 v19, v17, v18
	v_fma_f32 v17, v16, s10, -v17
	v_fmac_f32_e32 v17, 0x32a5705f, v16
	v_add_f32_e32 v17, v19, v17
	v_exp_f32_e32 v17, v17
	v_cvt_i32_f32_e32 v18, v18
	s_mov_b32 s10, 0xc2ce8ed0
	v_cmp_ngt_f32_e32 vcc, s10, v16
	s_mov_b32 s10, 0x42b17218
	v_ldexp_f32 v17, v17, v18
	v_cndmask_b32_e32 v17, 0, v17, vcc
	v_mov_b32_e32 v18, 0x7f800000
	v_cmp_nlt_f32_e32 vcc, s10, v16
	v_cndmask_b32_e32 v16, v18, v17, vcc
	v_add_f32_e32 v16, 1.0, v16
	v_rcp_f32_e32 v16, v16
	v_fma_f32 v16, v16, -2.0, 1.0
.LBB87_68:
	s_andn2_saveexec_b64 s[6:7], s[6:7]
; %bb.69:
	v_mul_f32_e32 v16, v0, v0
	v_mov_b32_e32 v17, 0x3ca908c9
	v_fmac_f32_e32 v17, 0xbbbac73d, v16
	v_mov_b32_e32 v18, 0xbd5c1c4e
	v_fmac_f32_e32 v18, v16, v17
	;; [unrolled: 2-line block ×4, first 2 shown]
	v_mul_f32_e64 v17, |v0|, v18
	v_fma_f32 v16, v16, v17, |v0|
; %bb.70:
	s_or_b64 exec, exec, s[6:7]
	s_cmp_lg_u64 s[34:35], 0
	s_brev_b32 s6, -2
	v_bfi_b32 v0, s6, v16, v0
	s_cselect_b64 s[6:7], -1, 0
	v_cndmask_b32_e64 v16, 0, 1, s[6:7]
	v_cmp_ne_u32_e64 s[6:7], 1, v16
	v_pk_mov_b32 v[18:19], v[14:15], v[14:15] op_sel:[0,1]
	v_add_u32_e32 v22, s20, v56
	v_mul_f32_e32 v0, s23, v0
	v_cmp_gt_i32_e64 s[12:13], s21, v39
	v_pk_mov_b32 v[16:17], v[12:13], v[12:13] op_sel:[0,1]
	s_and_saveexec_b64 s[10:11], s[12:13]
	s_cbranch_execz .LBB87_75
; %bb.71:
	s_and_b64 vcc, exec, s[6:7]
	s_cbranch_vccnz .LBB87_73
; %bb.72:
	v_add_u32_e32 v16, v22, v39
	v_ashrrev_i32_e32 v17, 31, v16
	v_lshlrev_b64 v[16:17], 1, v[16:17]
	v_mov_b32_e32 v18, s35
	v_add_co_u32_e32 v16, vcc, s34, v16
	v_addc_co_u32_e32 v17, vcc, v18, v17, vcc
	flat_load_ushort v16, v[16:17]
	s_waitcnt vmcnt(0) lgkmcnt(0)
	v_cvt_f32_f16_e32 v16, v16
	v_mul_f32_e32 v16, v44, v16
	s_branch .LBB87_74
.LBB87_73:
	v_mov_b32_e32 v16, 0
.LBB87_74:
	v_add_f32_e32 v0, v0, v16
	v_add_f32_e32 v16, 0x40051340, v0
	v_max_f32_e32 v17, v12, v12
	v_max_f32_e32 v23, v17, v16
	v_pk_mov_b32 v[18:19], v[14:15], v[14:15] op_sel:[0,1]
	v_pk_mov_b32 v[16:17], v[12:13], v[12:13] op_sel:[0,1]
	v_mov_b32_e32 v16, v23
.LBB87_75:
	s_or_b64 exec, exec, s[10:11]
	s_mov_b32 s10, 0x3f200000
	v_cmp_nlt_f32_e64 s[10:11], |v4|, s10
                                        ; implicit-def: $vgpr23
	s_and_saveexec_b64 s[16:17], s[10:11]
	s_xor_b64 s[10:11], exec, s[16:17]
	s_cbranch_execz .LBB87_77
; %bb.76:
	v_add_f32_e64 v23, |v4|, |v4|
	v_mul_f32_e32 v24, 0x3fb8aa3b, v23
	s_mov_b32 s16, 0x3fb8aa3b
	v_rndne_f32_e32 v25, v24
	v_sub_f32_e32 v26, v24, v25
	v_fma_f32 v24, v23, s16, -v24
	v_fmac_f32_e32 v24, 0x32a5705f, v23
	v_add_f32_e32 v24, v26, v24
	v_exp_f32_e32 v24, v24
	v_cvt_i32_f32_e32 v25, v25
	s_mov_b32 s16, 0xc2ce8ed0
	v_cmp_ngt_f32_e32 vcc, s16, v23
	s_mov_b32 s16, 0x42b17218
	v_ldexp_f32 v24, v24, v25
	v_cndmask_b32_e32 v24, 0, v24, vcc
	v_mov_b32_e32 v25, 0x7f800000
	v_cmp_nlt_f32_e32 vcc, s16, v23
	v_cndmask_b32_e32 v23, v25, v24, vcc
	v_add_f32_e32 v23, 1.0, v23
	v_rcp_f32_e32 v23, v23
	v_fma_f32 v23, v23, -2.0, 1.0
.LBB87_77:
	s_andn2_saveexec_b64 s[10:11], s[10:11]
; %bb.78:
	v_mul_f32_e32 v23, v4, v4
	v_mov_b32_e32 v24, 0x3ca908c9
	v_fmac_f32_e32 v24, 0xbbbac73d, v23
	v_mov_b32_e32 v25, 0xbd5c1c4e
	v_fmac_f32_e32 v25, v23, v24
	;; [unrolled: 2-line block ×4, first 2 shown]
	v_mul_f32_e64 v24, |v4|, v25
	v_fma_f32 v23, v23, v24, |v4|
; %bb.79:
	s_or_b64 exec, exec, s[10:11]
	s_brev_b32 s10, -2
	v_add_u32_e32 v30, 32, v39
	v_bfi_b32 v4, s10, v23, v4
	v_mul_f32_e32 v4, s23, v4
	v_cmp_gt_i32_e64 s[10:11], s21, v30
	s_and_saveexec_b64 s[16:17], s[10:11]
	s_cbranch_execz .LBB87_84
; %bb.80:
	s_and_b64 vcc, exec, s[6:7]
	s_cbranch_vccnz .LBB87_82
; %bb.81:
	v_ashrrev_i32_e32 v23, 31, v22
	v_add_co_u32_e32 v22, vcc, v22, v39
	v_addc_co_u32_e32 v23, vcc, 0, v23, vcc
	v_lshlrev_b64 v[22:23], 1, v[22:23]
	v_mov_b32_e32 v24, s35
	v_add_co_u32_e32 v22, vcc, s34, v22
	v_addc_co_u32_e32 v23, vcc, v24, v23, vcc
	flat_load_ushort v22, v[22:23] offset:64
	s_waitcnt vmcnt(0) lgkmcnt(0)
	v_cvt_f32_f16_e32 v22, v22
	v_mul_f32_e32 v22, v44, v22
	s_branch .LBB87_83
.LBB87_82:
	v_mov_b32_e32 v22, 0
.LBB87_83:
	v_add_f32_e32 v4, v4, v22
	v_add_f32_e32 v22, 0x40051340, v4
	v_max_f32_e32 v16, v16, v16
	v_max_f32_e32 v16, v16, v22
.LBB87_84:
	s_or_b64 exec, exec, s[16:17]
	v_mbcnt_hi_u32_b32 v22, -1, v55
	v_and_b32_e32 v23, 0x60, v22
	v_add_u32_e32 v23, 32, v23
	v_xor_b32_e32 v26, 16, v22
	v_cmp_lt_i32_e32 vcc, v26, v23
	v_cndmask_b32_e32 v24, v22, v26, vcc
	v_lshlrev_b32_e32 v57, 2, v24
	ds_bpermute_b32 v24, v57, v16
	v_xor_b32_e32 v27, 8, v22
	v_cmp_lt_i32_e32 vcc, v27, v23
	v_cndmask_b32_e32 v25, v22, v27, vcc
	v_max_f32_e32 v16, v16, v16
	s_waitcnt lgkmcnt(0)
	v_max_f32_e32 v24, v24, v24
	v_lshlrev_b32_e32 v58, 2, v25
	v_max_f32_e32 v16, v16, v24
	ds_bpermute_b32 v24, v58, v16
	v_xor_b32_e32 v28, 4, v22
	v_cmp_lt_i32_e32 vcc, v28, v23
	v_cndmask_b32_e32 v25, v22, v28, vcc
	v_lshlrev_b32_e32 v31, 2, v25
	s_waitcnt lgkmcnt(0)
	v_max_f32_e32 v24, v24, v24
	v_max_f32_e32 v16, v16, v24
	ds_bpermute_b32 v24, v31, v16
	v_xor_b32_e32 v25, 2, v22
	v_cmp_lt_i32_e32 vcc, v25, v23
	v_cndmask_b32_e32 v55, v22, v25, vcc
	v_lshlrev_b32_e32 v55, 2, v55
	s_waitcnt lgkmcnt(0)
	v_max_f32_e32 v24, v24, v24
	;; [unrolled: 8-line block ×3, first 2 shown]
	v_max_f32_e32 v16, v16, v59
	ds_bpermute_b32 v59, v56, v16
	s_mov_b32 s16, 0x3f200000
	v_cmp_nlt_f32_e64 s[16:17], |v1|, s16
                                        ; implicit-def: $vgpr60
	s_and_saveexec_b64 s[40:41], s[16:17]
	s_xor_b64 s[16:17], exec, s[40:41]
	s_cbranch_execz .LBB87_86
; %bb.85:
	v_add_f32_e64 v60, |v1|, |v1|
	v_mul_f32_e32 v61, 0x3fb8aa3b, v60
	s_mov_b32 s22, 0x3fb8aa3b
	v_rndne_f32_e32 v62, v61
	v_sub_f32_e32 v63, v61, v62
	v_fma_f32 v61, v60, s22, -v61
	v_fmac_f32_e32 v61, 0x32a5705f, v60
	v_add_f32_e32 v61, v63, v61
	v_exp_f32_e32 v61, v61
	v_cvt_i32_f32_e32 v62, v62
	s_mov_b32 s22, 0xc2ce8ed0
	v_cmp_ngt_f32_e32 vcc, s22, v60
	s_mov_b32 s22, 0x42b17218
	v_ldexp_f32 v61, v61, v62
	v_cndmask_b32_e32 v61, 0, v61, vcc
	v_mov_b32_e32 v62, 0x7f800000
	v_cmp_nlt_f32_e32 vcc, s22, v60
	v_cndmask_b32_e32 v60, v62, v61, vcc
	v_add_f32_e32 v60, 1.0, v60
	v_rcp_f32_e32 v60, v60
	v_fma_f32 v60, v60, -2.0, 1.0
.LBB87_86:
	s_andn2_saveexec_b64 s[16:17], s[16:17]
; %bb.87:
	v_mul_f32_e32 v60, v1, v1
	v_mov_b32_e32 v61, 0x3ca908c9
	v_fmac_f32_e32 v61, 0xbbbac73d, v60
	v_mov_b32_e32 v62, 0xbd5c1c4e
	v_fmac_f32_e32 v62, v60, v61
	;; [unrolled: 2-line block ×4, first 2 shown]
	v_mul_f32_e64 v61, |v1|, v62
	v_fma_f32 v60, v60, v61, |v1|
; %bb.88:
	s_or_b64 exec, exec, s[16:17]
	s_waitcnt lgkmcnt(0)
	v_max_f32_e32 v59, v59, v59
	v_max_f32_e32 v16, v16, v16
	v_max_f32_e32 v16, v16, v59
	v_mul_hi_u32 v59, s36, v54
	v_add_u32_e32 v59, v54, v59
	v_lshrrev_b32_e32 v59, s37, v59
	v_mul_lo_u32 v59, v59, s38
	v_sub_u32_e32 v54, v54, v59
	s_brev_b32 s16, -2
	v_mul_lo_u32 v54, v54, s26
	v_bfi_b32 v1, s16, v60, v1
	v_add_u32_e32 v54, s20, v54
	v_mul_f32_e32 v1, s23, v1
	s_and_saveexec_b64 s[16:17], s[12:13]
	s_cbranch_execz .LBB87_93
; %bb.89:
	s_and_b64 vcc, exec, s[6:7]
	s_cbranch_vccnz .LBB87_91
; %bb.90:
	v_add_u32_e32 v60, v54, v39
	v_ashrrev_i32_e32 v61, 31, v60
	v_lshlrev_b64 v[60:61], 1, v[60:61]
	v_mov_b32_e32 v59, s35
	v_add_co_u32_e32 v60, vcc, s34, v60
	v_addc_co_u32_e32 v61, vcc, v59, v61, vcc
	flat_load_ushort v59, v[60:61]
	s_waitcnt vmcnt(0) lgkmcnt(0)
	v_cvt_f32_f16_e32 v59, v59
	v_mul_f32_e32 v59, v44, v59
	s_branch .LBB87_92
.LBB87_91:
	v_mov_b32_e32 v59, 0
.LBB87_92:
	v_add_f32_e32 v1, v1, v59
	v_add_f32_e32 v59, 0x40051340, v1
	v_max_f32_e32 v17, v17, v17
	v_max_f32_e32 v17, v17, v59
.LBB87_93:
	s_or_b64 exec, exec, s[16:17]
	s_mov_b32 s16, 0x3f200000
	v_cmp_nlt_f32_e64 s[16:17], |v5|, s16
                                        ; implicit-def: $vgpr59
	s_and_saveexec_b64 s[40:41], s[16:17]
	s_xor_b64 s[16:17], exec, s[40:41]
	s_cbranch_execz .LBB87_95
; %bb.94:
	v_add_f32_e64 v59, |v5|, |v5|
	v_mul_f32_e32 v60, 0x3fb8aa3b, v59
	s_mov_b32 s22, 0x3fb8aa3b
	v_rndne_f32_e32 v61, v60
	v_sub_f32_e32 v62, v60, v61
	v_fma_f32 v60, v59, s22, -v60
	v_fmac_f32_e32 v60, 0x32a5705f, v59
	v_add_f32_e32 v60, v62, v60
	v_exp_f32_e32 v60, v60
	v_cvt_i32_f32_e32 v61, v61
	s_mov_b32 s22, 0xc2ce8ed0
	v_cmp_ngt_f32_e32 vcc, s22, v59
	s_mov_b32 s22, 0x42b17218
	v_ldexp_f32 v60, v60, v61
	v_cndmask_b32_e32 v60, 0, v60, vcc
	v_mov_b32_e32 v61, 0x7f800000
	v_cmp_nlt_f32_e32 vcc, s22, v59
	v_cndmask_b32_e32 v59, v61, v60, vcc
	v_add_f32_e32 v59, 1.0, v59
	v_rcp_f32_e32 v59, v59
	v_fma_f32 v59, v59, -2.0, 1.0
.LBB87_95:
	s_andn2_saveexec_b64 s[16:17], s[16:17]
; %bb.96:
	v_mul_f32_e32 v59, v5, v5
	v_mov_b32_e32 v60, 0x3ca908c9
	v_fmac_f32_e32 v60, 0xbbbac73d, v59
	v_mov_b32_e32 v61, 0xbd5c1c4e
	v_fmac_f32_e32 v61, v59, v60
	;; [unrolled: 2-line block ×4, first 2 shown]
	v_mul_f32_e64 v60, |v5|, v61
	v_fma_f32 v59, v59, v60, |v5|
; %bb.97:
	s_or_b64 exec, exec, s[16:17]
	s_brev_b32 s16, -2
	v_bfi_b32 v5, s16, v59, v5
	v_mul_f32_e32 v5, s23, v5
	s_and_saveexec_b64 s[16:17], s[10:11]
	s_cbranch_execz .LBB87_102
; %bb.98:
	s_and_b64 vcc, exec, s[6:7]
	s_cbranch_vccnz .LBB87_100
; %bb.99:
	v_ashrrev_i32_e32 v59, 31, v54
	v_add_co_u32_e32 v60, vcc, v54, v39
	v_addc_co_u32_e32 v61, vcc, 0, v59, vcc
	v_lshlrev_b64 v[60:61], 1, v[60:61]
	v_mov_b32_e32 v54, s35
	v_add_co_u32_e32 v60, vcc, s34, v60
	v_addc_co_u32_e32 v61, vcc, v54, v61, vcc
	flat_load_ushort v54, v[60:61] offset:64
	s_waitcnt vmcnt(0) lgkmcnt(0)
	v_cvt_f32_f16_e32 v54, v54
	v_mul_f32_e32 v54, v44, v54
	s_branch .LBB87_101
.LBB87_100:
	v_mov_b32_e32 v54, 0
.LBB87_101:
	v_add_f32_e32 v5, v5, v54
	v_add_f32_e32 v54, 0x40051340, v5
	v_max_f32_e32 v17, v17, v17
	v_max_f32_e32 v17, v17, v54
.LBB87_102:
	s_or_b64 exec, exec, s[16:17]
	ds_bpermute_b32 v54, v57, v17
	v_max_f32_e32 v17, v17, v17
	s_mov_b32 s16, 0x3f200000
	v_cmp_nlt_f32_e64 s[16:17], |v2|, s16
                                        ; implicit-def: $vgpr59
	s_waitcnt lgkmcnt(0)
	v_max_f32_e32 v54, v54, v54
	v_max_f32_e32 v17, v17, v54
	ds_bpermute_b32 v54, v58, v17
	s_waitcnt lgkmcnt(0)
	v_max_f32_e32 v54, v54, v54
	v_max_f32_e32 v17, v17, v54
	ds_bpermute_b32 v54, v31, v17
	;; [unrolled: 4-line block ×4, first 2 shown]
	s_and_saveexec_b64 s[40:41], s[16:17]
	s_xor_b64 s[16:17], exec, s[40:41]
	s_cbranch_execz .LBB87_104
; %bb.103:
	v_add_f32_e64 v59, |v2|, |v2|
	v_mul_f32_e32 v60, 0x3fb8aa3b, v59
	s_mov_b32 s22, 0x3fb8aa3b
	v_rndne_f32_e32 v61, v60
	v_sub_f32_e32 v62, v60, v61
	v_fma_f32 v60, v59, s22, -v60
	v_fmac_f32_e32 v60, 0x32a5705f, v59
	v_add_f32_e32 v60, v62, v60
	v_exp_f32_e32 v60, v60
	v_cvt_i32_f32_e32 v61, v61
	s_mov_b32 s22, 0xc2ce8ed0
	v_cmp_ngt_f32_e32 vcc, s22, v59
	s_mov_b32 s22, 0x42b17218
	v_ldexp_f32 v60, v60, v61
	v_cndmask_b32_e32 v60, 0, v60, vcc
	v_mov_b32_e32 v61, 0x7f800000
	v_cmp_nlt_f32_e32 vcc, s22, v59
	v_cndmask_b32_e32 v59, v61, v60, vcc
	v_add_f32_e32 v59, 1.0, v59
	v_rcp_f32_e32 v59, v59
	v_fma_f32 v59, v59, -2.0, 1.0
.LBB87_104:
	s_andn2_saveexec_b64 s[16:17], s[16:17]
; %bb.105:
	v_mul_f32_e32 v59, v2, v2
	v_mov_b32_e32 v60, 0x3ca908c9
	v_fmac_f32_e32 v60, 0xbbbac73d, v59
	v_mov_b32_e32 v61, 0xbd5c1c4e
	v_fmac_f32_e32 v61, v59, v60
	v_mov_b32_e32 v60, 0x3e088382
	v_fmac_f32_e32 v60, v59, v61
	v_mov_b32_e32 v61, 0xbeaaaa99
	v_fmac_f32_e32 v61, v59, v60
	v_mul_f32_e64 v60, |v2|, v61
	v_fma_f32 v59, v59, v60, |v2|
; %bb.106:
	s_or_b64 exec, exec, s[16:17]
	s_waitcnt lgkmcnt(0)
	v_max_f32_e32 v54, v54, v54
	v_max_f32_e32 v17, v17, v17
	;; [unrolled: 1-line block ×3, first 2 shown]
	v_mul_hi_u32 v54, s36, v53
	v_add_u32_e32 v54, v53, v54
	v_lshrrev_b32_e32 v54, s37, v54
	v_mul_lo_u32 v54, v54, s38
	v_sub_u32_e32 v53, v53, v54
	s_brev_b32 s16, -2
	v_mul_lo_u32 v53, v53, s26
	v_bfi_b32 v2, s16, v59, v2
	v_add_u32_e32 v53, s20, v53
	v_mul_f32_e32 v2, s23, v2
	s_and_saveexec_b64 s[16:17], s[12:13]
	s_cbranch_execz .LBB87_111
; %bb.107:
	s_and_b64 vcc, exec, s[6:7]
	s_cbranch_vccnz .LBB87_109
; %bb.108:
	v_add_u32_e32 v60, v53, v39
	v_ashrrev_i32_e32 v61, 31, v60
	v_lshlrev_b64 v[60:61], 1, v[60:61]
	v_mov_b32_e32 v54, s35
	v_add_co_u32_e32 v60, vcc, s34, v60
	v_addc_co_u32_e32 v61, vcc, v54, v61, vcc
	flat_load_ushort v54, v[60:61]
	s_waitcnt vmcnt(0) lgkmcnt(0)
	v_cvt_f32_f16_e32 v54, v54
	v_mul_f32_e32 v54, v44, v54
	s_branch .LBB87_110
.LBB87_109:
	v_mov_b32_e32 v54, 0
.LBB87_110:
	v_add_f32_e32 v2, v2, v54
	v_add_f32_e32 v54, 0x40051340, v2
	v_max_f32_e32 v18, v18, v18
	v_max_f32_e32 v18, v18, v54
.LBB87_111:
	s_or_b64 exec, exec, s[16:17]
	s_mov_b32 s16, 0x3f200000
	v_cmp_nlt_f32_e64 s[16:17], |v6|, s16
                                        ; implicit-def: $vgpr54
	s_and_saveexec_b64 s[40:41], s[16:17]
	s_xor_b64 s[16:17], exec, s[40:41]
	s_cbranch_execz .LBB87_113
; %bb.112:
	v_add_f32_e64 v54, |v6|, |v6|
	v_mul_f32_e32 v59, 0x3fb8aa3b, v54
	s_mov_b32 s22, 0x3fb8aa3b
	v_rndne_f32_e32 v60, v59
	v_sub_f32_e32 v61, v59, v60
	v_fma_f32 v59, v54, s22, -v59
	v_fmac_f32_e32 v59, 0x32a5705f, v54
	v_add_f32_e32 v59, v61, v59
	v_exp_f32_e32 v59, v59
	v_cvt_i32_f32_e32 v60, v60
	s_mov_b32 s22, 0xc2ce8ed0
	v_cmp_ngt_f32_e32 vcc, s22, v54
	s_mov_b32 s22, 0x42b17218
	v_ldexp_f32 v59, v59, v60
	v_cndmask_b32_e32 v59, 0, v59, vcc
	v_mov_b32_e32 v60, 0x7f800000
	v_cmp_nlt_f32_e32 vcc, s22, v54
	v_cndmask_b32_e32 v54, v60, v59, vcc
	v_add_f32_e32 v54, 1.0, v54
	v_rcp_f32_e32 v54, v54
	v_fma_f32 v54, v54, -2.0, 1.0
.LBB87_113:
	s_andn2_saveexec_b64 s[16:17], s[16:17]
; %bb.114:
	v_mul_f32_e32 v54, v6, v6
	v_mov_b32_e32 v59, 0x3ca908c9
	v_fmac_f32_e32 v59, 0xbbbac73d, v54
	v_mov_b32_e32 v60, 0xbd5c1c4e
	v_fmac_f32_e32 v60, v54, v59
	;; [unrolled: 2-line block ×4, first 2 shown]
	v_mul_f32_e64 v59, |v6|, v60
	v_fma_f32 v54, v54, v59, |v6|
; %bb.115:
	s_or_b64 exec, exec, s[16:17]
	s_brev_b32 s16, -2
	v_bfi_b32 v6, s16, v54, v6
	v_mul_f32_e32 v6, s23, v6
	s_and_saveexec_b64 s[16:17], s[10:11]
	s_cbranch_execz .LBB87_120
; %bb.116:
	s_and_b64 vcc, exec, s[6:7]
	s_cbranch_vccnz .LBB87_118
; %bb.117:
	v_ashrrev_i32_e32 v54, 31, v53
	v_add_co_u32_e32 v60, vcc, v53, v39
	v_addc_co_u32_e32 v61, vcc, 0, v54, vcc
	v_lshlrev_b64 v[60:61], 1, v[60:61]
	v_mov_b32_e32 v53, s35
	v_add_co_u32_e32 v60, vcc, s34, v60
	v_addc_co_u32_e32 v61, vcc, v53, v61, vcc
	flat_load_ushort v53, v[60:61] offset:64
	s_waitcnt vmcnt(0) lgkmcnt(0)
	v_cvt_f32_f16_e32 v53, v53
	v_mul_f32_e32 v53, v44, v53
	s_branch .LBB87_119
.LBB87_118:
	v_mov_b32_e32 v53, 0
.LBB87_119:
	v_add_f32_e32 v6, v6, v53
	v_add_f32_e32 v53, 0x40051340, v6
	v_max_f32_e32 v18, v18, v18
	v_max_f32_e32 v18, v18, v53
.LBB87_120:
	s_or_b64 exec, exec, s[16:17]
	ds_bpermute_b32 v53, v57, v18
	v_max_f32_e32 v18, v18, v18
	s_mov_b32 s16, 0x3f200000
	v_cmp_nlt_f32_e64 s[16:17], |v3|, s16
                                        ; implicit-def: $vgpr54
	s_waitcnt lgkmcnt(0)
	v_max_f32_e32 v53, v53, v53
	v_max_f32_e32 v18, v18, v53
	ds_bpermute_b32 v53, v58, v18
	s_waitcnt lgkmcnt(0)
	v_max_f32_e32 v53, v53, v53
	v_max_f32_e32 v18, v18, v53
	ds_bpermute_b32 v53, v31, v18
	;; [unrolled: 4-line block ×4, first 2 shown]
	s_and_saveexec_b64 s[40:41], s[16:17]
	s_xor_b64 s[16:17], exec, s[40:41]
	s_cbranch_execz .LBB87_122
; %bb.121:
	v_add_f32_e64 v54, |v3|, |v3|
	v_mul_f32_e32 v59, 0x3fb8aa3b, v54
	s_mov_b32 s22, 0x3fb8aa3b
	v_rndne_f32_e32 v60, v59
	v_sub_f32_e32 v61, v59, v60
	v_fma_f32 v59, v54, s22, -v59
	v_fmac_f32_e32 v59, 0x32a5705f, v54
	v_add_f32_e32 v59, v61, v59
	v_exp_f32_e32 v59, v59
	v_cvt_i32_f32_e32 v60, v60
	s_mov_b32 s22, 0xc2ce8ed0
	v_cmp_ngt_f32_e32 vcc, s22, v54
	s_mov_b32 s22, 0x42b17218
	v_ldexp_f32 v59, v59, v60
	v_cndmask_b32_e32 v59, 0, v59, vcc
	v_mov_b32_e32 v60, 0x7f800000
	v_cmp_nlt_f32_e32 vcc, s22, v54
	v_cndmask_b32_e32 v54, v60, v59, vcc
	v_add_f32_e32 v54, 1.0, v54
	v_rcp_f32_e32 v54, v54
	v_fma_f32 v54, v54, -2.0, 1.0
.LBB87_122:
	s_andn2_saveexec_b64 s[16:17], s[16:17]
; %bb.123:
	v_mul_f32_e32 v54, v3, v3
	v_mov_b32_e32 v59, 0x3ca908c9
	v_fmac_f32_e32 v59, 0xbbbac73d, v54
	v_mov_b32_e32 v60, 0xbd5c1c4e
	v_fmac_f32_e32 v60, v54, v59
	v_mov_b32_e32 v59, 0x3e088382
	v_fmac_f32_e32 v59, v54, v60
	v_mov_b32_e32 v60, 0xbeaaaa99
	v_fmac_f32_e32 v60, v54, v59
	v_mul_f32_e64 v59, |v3|, v60
	v_fma_f32 v54, v54, v59, |v3|
; %bb.124:
	s_or_b64 exec, exec, s[16:17]
	s_waitcnt lgkmcnt(0)
	v_max_f32_e32 v53, v53, v53
	v_max_f32_e32 v18, v18, v18
	;; [unrolled: 1-line block ×3, first 2 shown]
	v_mul_hi_u32 v53, s36, v52
	v_add_u32_e32 v53, v52, v53
	v_lshrrev_b32_e32 v53, s37, v53
	v_mul_lo_u32 v53, v53, s38
	v_sub_u32_e32 v52, v52, v53
	s_brev_b32 s16, -2
	v_mul_lo_u32 v52, v52, s26
	v_bfi_b32 v3, s16, v54, v3
	v_add_u32_e32 v52, s20, v52
	v_mul_f32_e32 v3, s23, v3
	s_and_saveexec_b64 s[16:17], s[12:13]
	s_cbranch_execz .LBB87_129
; %bb.125:
	s_and_b64 vcc, exec, s[6:7]
	s_cbranch_vccnz .LBB87_127
; %bb.126:
	v_add_u32_e32 v60, v52, v39
	v_ashrrev_i32_e32 v61, 31, v60
	v_lshlrev_b64 v[60:61], 1, v[60:61]
	v_mov_b32_e32 v53, s35
	v_add_co_u32_e32 v60, vcc, s34, v60
	v_addc_co_u32_e32 v61, vcc, v53, v61, vcc
	flat_load_ushort v53, v[60:61]
	s_waitcnt vmcnt(0) lgkmcnt(0)
	v_cvt_f32_f16_e32 v53, v53
	v_mul_f32_e32 v53, v44, v53
	s_branch .LBB87_128
.LBB87_127:
	v_mov_b32_e32 v53, 0
.LBB87_128:
	v_add_f32_e32 v3, v3, v53
	v_add_f32_e32 v53, 0x40051340, v3
	v_max_f32_e32 v19, v19, v19
	v_max_f32_e32 v19, v19, v53
.LBB87_129:
	s_or_b64 exec, exec, s[16:17]
	s_mov_b32 s12, 0x3f200000
	v_cmp_nlt_f32_e64 s[12:13], |v7|, s12
                                        ; implicit-def: $vgpr53
	s_and_saveexec_b64 s[16:17], s[12:13]
	s_xor_b64 s[12:13], exec, s[16:17]
	s_cbranch_execz .LBB87_131
; %bb.130:
	v_add_f32_e64 v53, |v7|, |v7|
	v_mul_f32_e32 v54, 0x3fb8aa3b, v53
	s_mov_b32 s16, 0x3fb8aa3b
	v_rndne_f32_e32 v59, v54
	v_sub_f32_e32 v60, v54, v59
	v_fma_f32 v54, v53, s16, -v54
	v_fmac_f32_e32 v54, 0x32a5705f, v53
	v_add_f32_e32 v54, v60, v54
	v_exp_f32_e32 v54, v54
	v_cvt_i32_f32_e32 v59, v59
	s_mov_b32 s16, 0xc2ce8ed0
	v_cmp_ngt_f32_e32 vcc, s16, v53
	s_mov_b32 s16, 0x42b17218
	v_ldexp_f32 v54, v54, v59
	v_cndmask_b32_e32 v54, 0, v54, vcc
	v_mov_b32_e32 v59, 0x7f800000
	v_cmp_nlt_f32_e32 vcc, s16, v53
	v_cndmask_b32_e32 v53, v59, v54, vcc
	v_add_f32_e32 v53, 1.0, v53
	v_rcp_f32_e32 v53, v53
	v_fma_f32 v53, v53, -2.0, 1.0
.LBB87_131:
	s_andn2_saveexec_b64 s[12:13], s[12:13]
; %bb.132:
	v_mul_f32_e32 v53, v7, v7
	v_mov_b32_e32 v54, 0x3ca908c9
	v_fmac_f32_e32 v54, 0xbbbac73d, v53
	v_mov_b32_e32 v59, 0xbd5c1c4e
	v_fmac_f32_e32 v59, v53, v54
	;; [unrolled: 2-line block ×4, first 2 shown]
	v_mul_f32_e64 v54, |v7|, v59
	v_fma_f32 v53, v53, v54, |v7|
; %bb.133:
	s_or_b64 exec, exec, s[12:13]
	s_brev_b32 s12, -2
	v_bfi_b32 v7, s12, v53, v7
	v_mul_f32_e32 v7, s23, v7
	s_and_saveexec_b64 s[12:13], s[10:11]
	s_cbranch_execz .LBB87_138
; %bb.134:
	s_and_b64 vcc, exec, s[6:7]
	s_cbranch_vccnz .LBB87_136
; %bb.135:
	v_ashrrev_i32_e32 v53, 31, v52
	v_add_co_u32_e32 v52, vcc, v52, v39
	v_addc_co_u32_e32 v53, vcc, 0, v53, vcc
	v_lshlrev_b64 v[52:53], 1, v[52:53]
	v_mov_b32_e32 v54, s35
	v_add_co_u32_e32 v52, vcc, s34, v52
	v_addc_co_u32_e32 v53, vcc, v54, v53, vcc
	flat_load_ushort v52, v[52:53] offset:64
	s_waitcnt vmcnt(0) lgkmcnt(0)
	v_cvt_f32_f16_e32 v52, v52
	v_mul_f32_e32 v44, v44, v52
	s_branch .LBB87_137
.LBB87_136:
	v_mov_b32_e32 v44, 0
.LBB87_137:
	v_add_f32_e32 v7, v7, v44
	v_add_f32_e32 v44, 0x40051340, v7
	v_max_f32_e32 v19, v19, v19
	v_max_f32_e32 v19, v19, v44
.LBB87_138:
	s_or_b64 exec, exec, s[12:13]
	ds_bpermute_b32 v44, v57, v19
	v_max_f32_e32 v19, v19, v19
	v_sub_f32_e32 v0, v0, v16
	s_mov_b32 s13, 0x3fb8aa3b
	s_mov_b32 s12, 0xc2ce8ed0
	s_waitcnt lgkmcnt(0)
	v_max_f32_e32 v44, v44, v44
	v_max_f32_e32 v19, v19, v44
	ds_bpermute_b32 v44, v58, v19
	s_mov_b32 s16, 0x42b17218
	v_cmp_ngt_f32_e32 vcc, s12, v0
	v_sub_f32_e32 v4, v4, v16
	v_mov_b32_e32 v58, 0x7f800000
	s_waitcnt lgkmcnt(0)
	v_max_f32_e32 v44, v44, v44
	v_max_f32_e32 v19, v19, v44
	ds_bpermute_b32 v31, v31, v19
	v_mul_f32_e32 v44, 0x3fb8aa3b, v0
	v_fma_f32 v52, v0, s13, -v44
	v_rndne_f32_e32 v53, v44
	v_fmac_f32_e32 v52, 0x32a5705f, v0
	s_waitcnt lgkmcnt(0)
	v_max_f32_e32 v31, v31, v31
	v_max_f32_e32 v19, v19, v31
	ds_bpermute_b32 v31, v55, v19
	v_sub_f32_e32 v44, v44, v53
	v_add_f32_e32 v44, v44, v52
	v_cvt_i32_f32_e32 v53, v53
	v_exp_f32_e32 v44, v44
	s_waitcnt lgkmcnt(0)
	v_max_f32_e32 v31, v31, v31
	v_max_f32_e32 v19, v19, v31
	ds_bpermute_b32 v31, v56, v19
	v_ldexp_f32 v44, v44, v53
	v_cndmask_b32_e32 v44, 0, v44, vcc
	v_cmp_nlt_f32_e32 vcc, s16, v0
	v_cndmask_b32_e32 v0, v58, v44, vcc
	s_waitcnt lgkmcnt(0)
	v_max_f32_e32 v31, v31, v31
	v_max_f32_e32 v19, v19, v31
	v_mul_f32_e32 v31, 0x3fb8aa3b, v4
	v_fma_f32 v44, v4, s13, -v31
	v_rndne_f32_e32 v52, v31
	v_fmac_f32_e32 v44, 0x32a5705f, v4
	v_sub_f32_e32 v31, v31, v52
	v_add_f32_e32 v31, v31, v44
	v_exp_f32_e32 v31, v31
	v_cvt_i32_f32_e32 v44, v52
	v_cmp_ngt_f32_e64 s[6:7], s12, v4
	v_sub_f32_e32 v1, v1, v17
	v_sub_f32_e32 v5, v5, v17
	v_ldexp_f32 v31, v31, v44
	v_cndmask_b32_e64 v31, 0, v31, s[6:7]
	v_cmp_nlt_f32_e64 s[6:7], s16, v4
	v_cndmask_b32_e64 v4, v58, v31, s[6:7]
	v_mul_f32_e32 v31, 0x3fb8aa3b, v1
	v_fma_f32 v44, v1, s13, -v31
	v_rndne_f32_e32 v52, v31
	v_fmac_f32_e32 v44, 0x32a5705f, v1
	v_sub_f32_e32 v31, v31, v52
	v_add_f32_e32 v31, v31, v44
	v_exp_f32_e32 v31, v31
	v_cvt_i32_f32_e32 v44, v52
	v_cmp_ngt_f32_e64 s[10:11], s12, v1
	v_sub_f32_e32 v2, v2, v18
	v_cmp_gt_u32_e32 vcc, s21, v39
	v_ldexp_f32 v31, v31, v44
	v_mul_f32_e32 v44, 0x3fb8aa3b, v5
	v_fma_f32 v52, v5, s13, -v44
	v_rndne_f32_e32 v53, v44
	v_fmac_f32_e32 v52, 0x32a5705f, v5
	v_sub_f32_e32 v44, v44, v53
	v_add_f32_e32 v44, v44, v52
	v_exp_f32_e32 v44, v44
	v_cvt_i32_f32_e32 v52, v53
	v_cndmask_b32_e64 v31, 0, v31, s[10:11]
	v_cmp_nlt_f32_e64 s[10:11], s16, v1
	v_cndmask_b32_e64 v1, v58, v31, s[10:11]
	v_mul_f32_e32 v31, 0x3fb8aa3b, v2
	v_cndmask_b32_e32 v61, 0, v1, vcc
	v_ldexp_f32 v1, v44, v52
	v_fma_f32 v44, v2, s13, -v31
	v_rndne_f32_e32 v52, v31
	v_fmac_f32_e32 v44, 0x32a5705f, v2
	v_sub_f32_e32 v31, v31, v52
	v_add_f32_e32 v31, v31, v44
	v_exp_f32_e32 v31, v31
	v_cvt_i32_f32_e32 v44, v52
	v_cmp_ngt_f32_e64 s[10:11], s12, v5
	v_cndmask_b32_e64 v1, 0, v1, s[10:11]
	v_cmp_nlt_f32_e64 s[10:11], s16, v5
	v_cmp_gt_u32_e64 s[6:7], s21, v30
	v_cndmask_b32_e64 v1, v58, v1, s[10:11]
	v_sub_f32_e32 v6, v6, v18
	v_cndmask_b32_e64 v62, 0, v1, s[6:7]
	v_ldexp_f32 v1, v31, v44
	v_mul_f32_e32 v31, 0x3fb8aa3b, v6
	v_fma_f32 v44, v6, s13, -v31
	v_rndne_f32_e32 v52, v31
	v_fmac_f32_e32 v44, 0x32a5705f, v6
	v_sub_f32_e32 v31, v31, v52
	v_add_f32_e32 v31, v31, v44
	v_exp_f32_e32 v31, v31
	v_cvt_i32_f32_e32 v44, v52
	v_cmp_ngt_f32_e64 s[10:11], s12, v2
	v_sub_f32_e32 v3, v3, v19
	v_cndmask_b32_e64 v1, 0, v1, s[10:11]
	v_cmp_nlt_f32_e64 s[10:11], s16, v2
	v_ldexp_f32 v2, v31, v44
	v_mul_f32_e32 v31, 0x3fb8aa3b, v3
	v_fma_f32 v44, v3, s13, -v31
	v_rndne_f32_e32 v52, v31
	v_fmac_f32_e32 v44, 0x32a5705f, v3
	v_sub_f32_e32 v31, v31, v52
	v_add_f32_e32 v31, v31, v44
	v_exp_f32_e32 v31, v31
	v_cvt_i32_f32_e32 v44, v52
	v_cndmask_b32_e64 v1, v58, v1, s[10:11]
	v_cmp_ngt_f32_e64 s[10:11], s12, v6
	v_sub_f32_e32 v7, v7, v19
	v_cndmask_b32_e64 v2, 0, v2, s[10:11]
	v_cmp_nlt_f32_e64 s[10:11], s16, v6
	v_ldexp_f32 v6, v31, v44
	v_mul_f32_e32 v31, 0x3fb8aa3b, v7
	v_fma_f32 v44, v7, s13, -v31
	v_rndne_f32_e32 v52, v31
	v_fmac_f32_e32 v44, 0x32a5705f, v7
	v_sub_f32_e32 v31, v31, v52
	v_add_f32_e32 v31, v31, v44
	v_exp_f32_e32 v31, v31
	v_cvt_i32_f32_e32 v44, v52
	v_cndmask_b32_e64 v2, v58, v2, s[10:11]
	v_cmp_ngt_f32_e64 s[10:11], s12, v3
	v_cndmask_b32_e64 v6, 0, v6, s[10:11]
	v_cmp_nlt_f32_e64 s[10:11], s16, v3
	v_cndmask_b32_e64 v3, v58, v6, s[10:11]
	v_cndmask_b32_e32 v59, 0, v0, vcc
	v_cndmask_b32_e32 v63, 0, v1, vcc
	;; [unrolled: 1-line block ×3, first 2 shown]
	v_ldexp_f32 v6, v31, v44
	v_cmp_ngt_f32_e32 vcc, s12, v7
	v_cvt_f16_f32_e32 v0, v59
	v_cndmask_b32_e64 v60, 0, v4, s[6:7]
	v_cvt_f16_f32_e32 v53, v61
	v_cvt_f16_f32_e32 v1, v63
	;; [unrolled: 1-line block ×3, first 2 shown]
	v_cndmask_b32_e32 v6, 0, v6, vcc
	v_cmp_nlt_f32_e32 vcc, s16, v7
	v_cvt_f16_f32_e32 v4, v60
	v_cvt_f16_f32_e32 v5, v62
	v_cndmask_b32_e32 v6, v58, v6, vcc
	v_cndmask_b32_e64 v64, 0, v2, s[6:7]
	v_cndmask_b32_e64 v66, 0, v6, s[6:7]
	v_lshlrev_b32_e32 v31, 9, v42
	v_cvt_f16_f32_e32 v2, v64
	v_cvt_f16_f32_e32 v6, v66
	v_add_u32_e32 v7, 0x4400, v31
	v_add_u32_e32 v44, v7, v41
	v_pack_b32_f16 v1, v1, v3
	v_pack_b32_f16 v0, v0, v53
	v_lshl_add_u32 v53, v42, 1, v43
	s_mul_hi_i32 s11, s20, s8
	s_mul_i32 s10, s20, s8
	s_barrier
	ds_write_b64 v44, v[0:1]
	v_pack_b32_f16 v0, v4, v5
	s_mov_b64 s[6:7], src_private_base
	v_mul_lo_u32 v4, s8, v53
	s_lshl_b64 s[10:11], s[10:11], 2
	v_ashrrev_i32_e32 v5, 31, v4
	s_add_u32 s6, s18, s10
	v_lshl_add_u32 v3, v30, 3, v7
	v_pack_b32_f16 v1, v2, v6
	s_addc_u32 s10, s19, s11
	v_lshlrev_b64 v[6:7], 2, v[4:5]
	ds_write_b64 v3, v[0:1]
	v_mov_b32_e32 v0, s10
	v_add_co_u32_e32 v1, vcc, s6, v6
	v_lshlrev_b32_e32 v20, 2, v20
	v_addc_co_u32_e32 v0, vcc, v0, v7, vcc
	v_add_co_u32_e32 v2, vcc, v1, v20
	v_addc_co_u32_e32 v0, vcc, 0, v0, vcc
	v_mov_b32_e32 v30, 0
	v_mov_b32_e32 v42, s7
	v_cmp_gt_i32_e32 vcc, s21, v53
	v_mov_b32_e32 v43, 0
	buffer_store_dword v30, off, s[0:3], 0
	buffer_store_dword v30, off, s[0:3], 0 offset:8
	buffer_store_dword v30, off, s[0:3], 0 offset:4
	;; [unrolled: 1-line block ×3, first 2 shown]
	v_cndmask_b32_e32 v1, v42, v0, vcc
	v_cndmask_b32_e32 v0, v43, v2, vcc
	flat_load_dwordx4 v[0:3], v[0:1]
	v_lshl_add_u32 v4, s8, 4, v4
	v_ashrrev_i32_e32 v5, 31, v4
	v_lshl_or_b32 v52, v53, 8, v20
	v_lshlrev_b64 v[4:5], 2, v[4:5]
	v_add_u32_e32 v44, 16, v53
	s_waitcnt vmcnt(0) lgkmcnt(0)
	ds_write_b128 v52, v[0:3]
	v_mov_b32_e32 v0, s10
	v_add_co_u32_e32 v1, vcc, s6, v4
	v_addc_co_u32_e32 v0, vcc, v0, v5, vcc
	v_add_co_u32_e32 v2, vcc, v1, v20
	v_addc_co_u32_e32 v0, vcc, 0, v0, vcc
	v_cmp_gt_i32_e32 vcc, s21, v44
	buffer_store_dword v30, off, s[0:3], 0
	buffer_store_dword v30, off, s[0:3], 0 offset:8
	buffer_store_dword v30, off, s[0:3], 0 offset:4
	;; [unrolled: 1-line block ×3, first 2 shown]
	v_cndmask_b32_e32 v1, v42, v0, vcc
	v_cndmask_b32_e32 v0, v43, v2, vcc
	flat_load_dwordx4 v[54:57], v[0:1]
	v_sub_f32_e32 v1, v12, v16
	v_mul_f32_e32 v0, 0x3fb8aa3b, v1
	v_fma_f32 v2, v1, s13, -v0
	v_rndne_f32_e32 v3, v0
	v_fmac_f32_e32 v2, 0x32a5705f, v1
	v_sub_f32_e32 v0, v0, v3
	v_add_f32_e32 v0, v0, v2
	v_exp_f32_e32 v2, v0
	v_cvt_i32_f32_e32 v3, v3
	v_cmp_ngt_f32_e32 vcc, s12, v1
	v_add_f32_e32 v0, v59, v60
	s_or_b32 s6, s20, 32
	v_ldexp_f32 v2, v2, v3
	v_cndmask_b32_e32 v2, 0, v2, vcc
	v_cmp_nlt_f32_e32 vcc, s16, v1
	v_cndmask_b32_e32 v1, v58, v2, vcc
	v_sub_f32_e32 v2, v13, v17
	v_mul_f32_e32 v3, 0x3fb8aa3b, v2
	v_fma_f32 v12, v2, s13, -v3
	v_rndne_f32_e32 v13, v3
	v_fmac_f32_e32 v12, 0x32a5705f, v2
	v_sub_f32_e32 v3, v3, v13
	v_add_f32_e32 v3, v3, v12
	v_exp_f32_e32 v3, v3
	v_cvt_i32_f32_e32 v12, v13
	v_cmp_ngt_f32_e32 vcc, s12, v2
	v_cvt_f16_f32_e32 v70, v1
	v_fmac_f32_e32 v0, v8, v1
	v_ldexp_f32 v3, v3, v12
	v_cndmask_b32_e32 v3, 0, v3, vcc
	v_cmp_nlt_f32_e32 vcc, s16, v2
	v_cndmask_b32_e32 v2, v58, v3, vcc
	v_sub_f32_e32 v3, v14, v18
	v_mul_f32_e32 v12, 0x3fb8aa3b, v3
	v_fma_f32 v13, v3, s13, -v12
	v_rndne_f32_e32 v14, v12
	v_fmac_f32_e32 v13, 0x32a5705f, v3
	v_sub_f32_e32 v12, v12, v14
	v_add_f32_e32 v12, v12, v13
	v_exp_f32_e32 v12, v12
	v_cvt_i32_f32_e32 v13, v14
	v_pk_mul_f16 v8, v70, v51 op_sel_hi:[0,1]
	v_cvt_f16_f32_e32 v51, v2
	v_add_f32_e32 v1, v61, v62
	v_ldexp_f32 v12, v12, v13
	v_sub_f32_e32 v13, v15, v19
	v_mul_f32_e32 v14, 0x3fb8aa3b, v13
	v_fmac_f32_e32 v1, v9, v2
	v_pk_mul_f16 v9, v51, v48 op_sel_hi:[0,1]
	v_fma_f32 v15, v13, s13, -v14
	v_rndne_f32_e32 v48, v14
	v_fmac_f32_e32 v15, 0x32a5705f, v13
	v_sub_f32_e32 v14, v14, v48
	v_add_f32_e32 v14, v14, v15
	v_exp_f32_e32 v14, v14
	v_cvt_i32_f32_e32 v15, v48
	v_cmp_ngt_f32_e32 vcc, s12, v3
	v_cndmask_b32_e32 v12, 0, v12, vcc
	v_cmp_nlt_f32_e32 vcc, s16, v3
	v_add_f32_e32 v2, v63, v64
	v_cndmask_b32_e32 v3, v58, v12, vcc
	v_fmac_f32_e32 v2, v10, v3
	v_cvt_f16_f32_e32 v10, v3
	v_ldexp_f32 v3, v14, v15
	v_cmp_ngt_f32_e32 vcc, s12, v13
	v_cndmask_b32_e32 v3, 0, v3, vcc
	v_cmp_nlt_f32_e32 vcc, s16, v13
	v_cndmask_b32_e32 v12, v58, v3, vcc
	v_add_f32_e32 v3, v65, v66
	v_fmac_f32_e32 v3, v11, v12
	v_lshl_or_b32 v11, v44, 8, v20
	v_cvt_f16_f32_e32 v48, v12
	v_pk_mul_f16 v29, v10, v29 op_sel_hi:[0,1]
	s_mul_hi_i32 s7, s6, s8
	s_mul_i32 s6, s6, s8
	v_pk_mul_f16 v50, v48, v50 op_sel_hi:[0,1]
	v_pk_mul_f16 v46, v48, v46 op_sel_hi:[0,1]
	s_lshl_b64 s[6:7], s[6:7], 2
	s_add_u32 s6, s18, s6
	s_waitcnt vmcnt(0) lgkmcnt(0)
	ds_write_b128 v11, v[54:57]
	s_waitcnt lgkmcnt(0)
	s_barrier
	ds_read2_b64 v[12:15], v41 offset1:32
	ds_read_b128 v[54:57], v31 offset:17408
	ds_read_b128 v[58:61], v31 offset:17424
	;; [unrolled: 1-line block ×4, first 2 shown]
	s_addc_u32 s7, s19, s7
	v_mov_b32_e32 v126, s7
	v_add_co_u32_e32 v6, vcc, s6, v6
	s_waitcnt lgkmcnt(3)
	v_pk_mul_f16 v48, v12, v54 op_sel_hi:[1,0]
	v_pk_fma_f16 v48, v70, v49, v48 op_sel_hi:[0,1,1]
	v_pk_mul_f16 v49, v12, v54 op_sel:[0,1]
	v_pk_fma_f16 v47, v51, v47, v49 op_sel_hi:[0,1,1]
	v_pk_mul_f16 v49, v12, v55 op_sel_hi:[1,0]
	v_pk_fma_f16 v10, v10, v45, v49 op_sel_hi:[0,1,1]
	v_pk_fma_f16 v12, v12, v55, v50 op_sel:[0,1,0]
	v_pk_fma_f16 v8, v13, v54, v8 op_sel_hi:[1,0,1]
	v_pk_fma_f16 v9, v13, v54, v9 op_sel:[0,1,0]
	;; [unrolled: 2-line block ×4, first 2 shown]
	ds_read2_b64 v[46:49], v41 offset0:64 offset1:96
	v_pk_fma_f16 v10, v14, v57, v10 op_sel_hi:[1,0,1]
	v_pk_fma_f16 v12, v14, v57, v12 op_sel:[0,1,0]
	v_pk_fma_f16 v8, v15, v56, v8 op_sel_hi:[1,0,1]
	v_pk_fma_f16 v9, v15, v56, v9 op_sel:[0,1,0]
	;; [unrolled: 2-line block ×3, first 2 shown]
	s_waitcnt lgkmcnt(0)
	v_pk_fma_f16 v15, v46, v58, v45 op_sel_hi:[1,0,1]
	v_pk_fma_f16 v29, v46, v58, v50 op_sel:[0,1,0]
	v_pk_fma_f16 v10, v46, v59, v10 op_sel_hi:[1,0,1]
	v_pk_fma_f16 v12, v46, v59, v12 op_sel:[0,1,0]
	v_pk_fma_f16 v8, v47, v58, v8 op_sel_hi:[1,0,1]
	v_pk_fma_f16 v9, v47, v58, v9 op_sel:[0,1,0]
	v_pk_fma_f16 v45, v47, v59, v14 op_sel_hi:[1,0,1]
	v_pk_fma_f16 v46, v47, v59, v13 op_sel:[0,1,0]
	v_pk_fma_f16 v47, v48, v60, v15 op_sel_hi:[1,0,1]
	v_pk_fma_f16 v29, v48, v60, v29 op_sel:[0,1,0]
	v_pk_fma_f16 v10, v48, v61, v10 op_sel_hi:[1,0,1]
	v_pk_fma_f16 v48, v48, v61, v12 op_sel:[0,1,0]
	ds_read2_b64 v[12:15], v41 offset0:128 offset1:160
	v_pk_fma_f16 v8, v49, v60, v8 op_sel_hi:[1,0,1]
	v_pk_fma_f16 v9, v49, v60, v9 op_sel:[0,1,0]
	v_pk_fma_f16 v45, v49, v61, v45 op_sel_hi:[1,0,1]
	v_pk_fma_f16 v46, v49, v61, v46 op_sel:[0,1,0]
	s_waitcnt lgkmcnt(0)
	v_pk_fma_f16 v47, v12, v62, v47 op_sel_hi:[1,0,1]
	v_pk_fma_f16 v29, v12, v62, v29 op_sel:[0,1,0]
	v_pk_fma_f16 v10, v12, v63, v10 op_sel_hi:[1,0,1]
	v_pk_fma_f16 v12, v12, v63, v48 op_sel:[0,1,0]
	;; [unrolled: 2-line block ×4, first 2 shown]
	v_pk_fma_f16 v50, v14, v64, v47 op_sel_hi:[1,0,1]
	ds_read2_b64 v[46:49], v41 offset0:192 offset1:224
	v_pk_fma_f16 v10, v14, v65, v10 op_sel_hi:[1,0,1]
	v_pk_fma_f16 v12, v14, v65, v12 op_sel:[0,1,0]
	v_pk_fma_f16 v29, v14, v64, v29 op_sel:[0,1,0]
	v_pk_fma_f16 v8, v15, v64, v8 op_sel_hi:[1,0,1]
	s_waitcnt lgkmcnt(0)
	v_pk_fma_f16 v10, v46, v67, v10 op_sel_hi:[1,0,1]
	v_pk_fma_f16 v9, v15, v64, v9 op_sel:[0,1,0]
	v_pk_fma_f16 v14, v15, v65, v45 op_sel_hi:[1,0,1]
	v_pk_fma_f16 v13, v15, v65, v13 op_sel:[0,1,0]
	;; [unrolled: 2-line block ×3, first 2 shown]
	v_pk_fma_f16 v51, v48, v69, v10 op_sel_hi:[1,0,1]
	v_add_u32_e32 v10, 0x800, v41
	v_pk_fma_f16 v29, v46, v66, v29 op_sel:[0,1,0]
	v_pk_fma_f16 v45, v47, v67, v14 op_sel_hi:[1,0,1]
	v_pk_fma_f16 v46, v47, v67, v13 op_sel:[0,1,0]
	v_pk_fma_f16 v50, v48, v68, v15 op_sel_hi:[1,0,1]
	v_pk_fma_f16 v58, v48, v69, v12 op_sel:[0,1,0]
	ds_read2_b64 v[12:15], v10 offset1:32
	ds_read_b128 v[54:57], v31 offset:17472
	v_pk_fma_f16 v8, v47, v66, v8 op_sel_hi:[1,0,1]
	v_pk_fma_f16 v9, v47, v66, v9 op_sel:[0,1,0]
	v_pk_fma_f16 v29, v48, v68, v29 op_sel:[0,1,0]
	v_pk_fma_f16 v8, v49, v68, v8 op_sel_hi:[1,0,1]
	v_pk_fma_f16 v9, v49, v68, v9 op_sel:[0,1,0]
	v_pk_fma_f16 v45, v49, v69, v45 op_sel_hi:[1,0,1]
	v_pk_fma_f16 v59, v49, v69, v46 op_sel:[0,1,0]
	ds_read_b128 v[46:49], v31 offset:17488
	s_waitcnt lgkmcnt(1)
	v_pk_fma_f16 v50, v12, v54, v50 op_sel_hi:[1,0,1]
	v_pk_fma_f16 v29, v12, v54, v29 op_sel:[0,1,0]
	v_pk_fma_f16 v51, v12, v55, v51 op_sel_hi:[1,0,1]
	v_pk_fma_f16 v12, v12, v55, v58 op_sel:[0,1,0]
	;; [unrolled: 2-line block ×4, first 2 shown]
	ds_read2_b64 v[58:61], v10 offset0:64 offset1:96
	v_addc_co_u32_e32 v7, vcc, v126, v7, vcc
	v_pk_fma_f16 v8, v15, v56, v8 op_sel_hi:[1,0,1]
	v_pk_fma_f16 v9, v15, v56, v9 op_sel:[0,1,0]
	v_add_co_u32_e32 v6, vcc, v6, v20
	v_pk_fma_f16 v50, v14, v56, v50 op_sel_hi:[1,0,1]
	v_pk_fma_f16 v29, v14, v56, v29 op_sel:[0,1,0]
	v_pk_fma_f16 v51, v14, v57, v51 op_sel_hi:[1,0,1]
	v_pk_fma_f16 v12, v14, v57, v12 op_sel:[0,1,0]
	;; [unrolled: 2-line block ×3, first 2 shown]
	s_waitcnt lgkmcnt(0)
	v_pk_fma_f16 v8, v59, v46, v8 op_sel_hi:[1,0,1]
	v_pk_fma_f16 v9, v59, v46, v9 op_sel:[0,1,0]
	s_sub_i32 s8, s21, 32
	v_addc_co_u32_e32 v7, vcc, 0, v7, vcc
	v_pk_fma_f16 v15, v58, v46, v50 op_sel_hi:[1,0,1]
	v_pk_fma_f16 v29, v58, v46, v29 op_sel:[0,1,0]
	v_pk_fma_f16 v45, v58, v47, v51 op_sel_hi:[1,0,1]
	v_pk_fma_f16 v12, v58, v47, v12 op_sel:[0,1,0]
	;; [unrolled: 2-line block ×4, first 2 shown]
	v_add_u32_e32 v9, 0x1000, v41
	v_add_u32_e32 v8, 0x1800, v41
	v_cmp_gt_i32_e32 vcc, s8, v53
	v_pk_fma_f16 v50, v60, v48, v15 op_sel_hi:[1,0,1]
	v_pk_fma_f16 v29, v60, v48, v29 op_sel:[0,1,0]
	v_pk_fma_f16 v45, v60, v49, v45 op_sel_hi:[1,0,1]
	v_pk_fma_f16 v51, v60, v49, v12 op_sel:[0,1,0]
	ds_read2_b64 v[12:15], v10 offset0:128 offset1:160
	ds_read_b128 v[54:57], v31 offset:17504
	v_pk_fma_f16 v132, v61, v49, v46 op_sel_hi:[1,0,1]
	v_pk_fma_f16 v133, v61, v49, v47 op_sel:[0,1,0]
	ds_read_b128 v[46:49], v31 offset:17520
	ds_read2_b64 v[58:61], v10 offset0:192 offset1:224
	ds_read2_b64 v[62:65], v9 offset1:32
	ds_read2_b64 v[66:69], v9 offset0:64 offset1:96
	ds_read_b128 v[70:73], v31 offset:17536
	ds_read_b128 v[74:77], v31 offset:17552
	ds_read2_b64 v[78:81], v9 offset0:128 offset1:160
	ds_read2_b64 v[82:85], v9 offset0:192 offset1:224
	ds_read_b128 v[86:89], v31 offset:17568
	ds_read_b128 v[90:93], v31 offset:17584
	ds_read2_b64 v[94:97], v8 offset1:32
	ds_read2_b64 v[98:101], v8 offset0:64 offset1:96
	ds_read_b128 v[102:105], v31 offset:17600
	ds_read_b128 v[106:109], v31 offset:17616
	ds_read2_b64 v[110:113], v8 offset0:128 offset1:160
	ds_read2_b64 v[114:117], v8 offset0:192 offset1:224
	ds_read_b128 v[118:121], v31 offset:17632
	ds_read_b128 v[122:125], v31 offset:17648
	s_waitcnt lgkmcnt(0)
	s_barrier
	buffer_store_dword v30, off, s[0:3], 0
	buffer_store_dword v30, off, s[0:3], 0 offset:8
	buffer_store_dword v30, off, s[0:3], 0 offset:4
	;; [unrolled: 1-line block ×3, first 2 shown]
	v_cndmask_b32_e32 v7, v42, v7, vcc
	v_cndmask_b32_e32 v6, v43, v6, vcc
	flat_load_dwordx4 v[126:129], v[6:7]
	v_pk_fma_f16 v6, v12, v54, v29 op_sel:[0,1,0]
	v_pk_fma_f16 v6, v14, v56, v6 op_sel:[0,1,0]
	;; [unrolled: 1-line block ×6, first 2 shown]
	v_pk_fma_f16 v7, v12, v55, v45 op_sel_hi:[1,0,1]
	v_pk_fma_f16 v6, v66, v74, v6 op_sel:[0,1,0]
	v_pk_fma_f16 v50, v12, v54, v50 op_sel_hi:[1,0,1]
	v_pk_fma_f16 v12, v12, v55, v51 op_sel:[0,1,0]
	v_pk_fma_f16 v29, v13, v54, v130 op_sel_hi:[1,0,1]
	v_pk_fma_f16 v45, v13, v54, v131 op_sel:[0,1,0]
	v_pk_fma_f16 v7, v14, v57, v7 op_sel_hi:[1,0,1]
	v_pk_fma_f16 v6, v68, v76, v6 op_sel:[0,1,0]
	v_pk_fma_f16 v51, v13, v55, v132 op_sel_hi:[1,0,1]
	v_pk_fma_f16 v13, v13, v55, v133 op_sel:[0,1,0]
	v_pk_fma_f16 v50, v14, v56, v50 op_sel_hi:[1,0,1]
	v_pk_fma_f16 v12, v14, v57, v12 op_sel:[0,1,0]
	v_pk_fma_f16 v14, v15, v56, v29 op_sel_hi:[1,0,1]
	v_pk_fma_f16 v29, v15, v56, v45 op_sel:[0,1,0]
	v_pk_fma_f16 v7, v58, v47, v7 op_sel_hi:[1,0,1]
	v_pk_fma_f16 v6, v78, v86, v6 op_sel:[0,1,0]
	v_pk_fma_f16 v45, v15, v57, v51 op_sel_hi:[1,0,1]
	v_pk_fma_f16 v13, v15, v57, v13 op_sel:[0,1,0]
	v_pk_fma_f16 v15, v58, v46, v50 op_sel_hi:[1,0,1]
	v_pk_fma_f16 v14, v59, v46, v14 op_sel_hi:[1,0,1]
	v_pk_fma_f16 v29, v59, v46, v29 op_sel:[0,1,0]
	v_pk_fma_f16 v7, v60, v49, v7 op_sel_hi:[1,0,1]
	v_pk_fma_f16 v46, v80, v88, v6 op_sel:[0,1,0]
	v_mov_b32_e32 v6, s7
	v_add_co_u32_e32 v4, vcc, s6, v4
	v_pk_fma_f16 v7, v62, v71, v7 op_sel_hi:[1,0,1]
	v_addc_co_u32_e32 v5, vcc, v6, v5, vcc
	v_pk_fma_f16 v7, v64, v73, v7 op_sel_hi:[1,0,1]
	v_add_co_u32_e32 v4, vcc, v4, v20
	v_pk_fma_f16 v7, v66, v75, v7 op_sel_hi:[1,0,1]
	v_addc_co_u32_e32 v5, vcc, 0, v5, vcc
	v_pk_fma_f16 v7, v68, v77, v7 op_sel_hi:[1,0,1]
	v_cmp_gt_i32_e32 vcc, s8, v44
	v_pk_fma_f16 v7, v78, v87, v7 op_sel_hi:[1,0,1]
	v_cndmask_b32_e32 v5, v42, v5, vcc
	v_cndmask_b32_e32 v4, v43, v4, vcc
	v_pk_fma_f16 v12, v58, v47, v12 op_sel:[0,1,0]
	v_pk_fma_f16 v45, v59, v47, v45 op_sel_hi:[1,0,1]
	v_pk_fma_f16 v13, v59, v47, v13 op_sel:[0,1,0]
	v_pk_fma_f16 v47, v80, v89, v7 op_sel_hi:[1,0,1]
	v_pk_fma_f16 v15, v60, v48, v15 op_sel_hi:[1,0,1]
	v_pk_fma_f16 v12, v60, v49, v12 op_sel:[0,1,0]
	v_pk_fma_f16 v14, v61, v48, v14 op_sel_hi:[1,0,1]
	v_pk_fma_f16 v13, v61, v49, v13 op_sel:[0,1,0]
	;; [unrolled: 2-line block ×14, first 2 shown]
	v_pk_fma_f16 v15, v80, v88, v15 op_sel_hi:[1,0,1]
	s_waitcnt vmcnt(0) lgkmcnt(0)
	ds_write_b128 v52, v[126:129]
	buffer_store_dword v30, off, s[0:3], 0
	buffer_store_dword v30, off, s[0:3], 0 offset:8
	buffer_store_dword v30, off, s[0:3], 0 offset:4
	;; [unrolled: 1-line block ×3, first 2 shown]
	flat_load_dwordx4 v[4:7], v[4:5]
	v_pk_fma_f16 v12, v80, v89, v12 op_sel:[0,1,0]
	v_pk_fma_f16 v14, v81, v88, v14 op_sel_hi:[1,0,1]
	v_pk_fma_f16 v29, v65, v72, v29 op_sel:[0,1,0]
	v_pk_fma_f16 v45, v65, v73, v45 op_sel_hi:[1,0,1]
	;; [unrolled: 2-line block ×39, first 2 shown]
	v_pk_fma_f16 v29, v111, v118, v29 op_sel:[0,1,0]
	s_waitcnt vmcnt(0) lgkmcnt(0)
	ds_write_b128 v11, v[4:7]
	s_waitcnt lgkmcnt(0)
	s_barrier
	ds_read2_b64 v[4:7], v41 offset1:32
	ds_read_b128 v[12:15], v31 offset:17664
	v_pk_fma_f16 v42, v111, v119, v42 op_sel_hi:[1,0,1]
	v_pk_fma_f16 v20, v112, v120, v20 op_sel:[0,1,0]
	v_pk_fma_f16 v30, v112, v121, v30 op_sel_hi:[1,0,1]
	v_pk_fma_f16 v29, v113, v120, v29 op_sel:[0,1,0]
	;; [unrolled: 2-line block ×7, first 2 shown]
	s_waitcnt lgkmcnt(0)
	v_pk_fma_f16 v54, v4, v12, v54 op_sel_hi:[1,0,1]
	ds_read_b128 v[42:45], v31 offset:17680
	ds_read_b128 v[46:49], v31 offset:17696
	;; [unrolled: 1-line block ×3, first 2 shown]
	v_pk_fma_f16 v20, v4, v12, v20 op_sel:[0,1,0]
	v_pk_fma_f16 v30, v4, v13, v30 op_sel_hi:[1,0,1]
	v_pk_fma_f16 v4, v4, v13, v55 op_sel:[0,1,0]
	v_pk_fma_f16 v58, v5, v12, v56 op_sel_hi:[1,0,1]
	;; [unrolled: 2-line block ×4, first 2 shown]
	ds_read2_b64 v[54:57], v41 offset0:64 offset1:96
	v_pk_fma_f16 v4, v6, v15, v4 op_sel:[0,1,0]
	v_pk_fma_f16 v13, v6, v14, v20 op_sel:[0,1,0]
	v_pk_fma_f16 v20, v6, v15, v30 op_sel_hi:[1,0,1]
	v_pk_fma_f16 v6, v7, v14, v58 op_sel_hi:[1,0,1]
	v_pk_fma_f16 v12, v7, v14, v12 op_sel:[0,1,0]
	v_pk_fma_f16 v14, v7, v15, v29 op_sel_hi:[1,0,1]
	v_pk_fma_f16 v5, v7, v15, v5 op_sel:[0,1,0]
	s_waitcnt lgkmcnt(0)
	v_pk_fma_f16 v7, v54, v42, v11 op_sel_hi:[1,0,1]
	v_pk_fma_f16 v4, v54, v43, v4 op_sel:[0,1,0]
	v_pk_fma_f16 v11, v54, v42, v13 op_sel:[0,1,0]
	v_pk_fma_f16 v13, v54, v43, v20 op_sel_hi:[1,0,1]
	v_pk_fma_f16 v15, v55, v42, v6 op_sel_hi:[1,0,1]
	v_pk_fma_f16 v20, v55, v43, v5 op_sel:[0,1,0]
	v_pk_fma_f16 v29, v56, v44, v7 op_sel_hi:[1,0,1]
	v_pk_fma_f16 v30, v56, v45, v4 op_sel:[0,1,0]
	ds_read2_b64 v[4:7], v41 offset0:128 offset1:160
	v_pk_fma_f16 v12, v55, v42, v12 op_sel:[0,1,0]
	v_pk_fma_f16 v14, v55, v43, v14 op_sel_hi:[1,0,1]
	v_pk_fma_f16 v13, v56, v45, v13 op_sel_hi:[1,0,1]
	v_pk_fma_f16 v11, v56, v44, v11 op_sel:[0,1,0]
	v_pk_fma_f16 v15, v57, v44, v15 op_sel_hi:[1,0,1]
	v_pk_fma_f16 v12, v57, v44, v12 op_sel:[0,1,0]
	;; [unrolled: 2-line block ×3, first 2 shown]
	s_waitcnt lgkmcnt(0)
	v_pk_fma_f16 v29, v4, v46, v29 op_sel_hi:[1,0,1]
	v_pk_fma_f16 v13, v4, v47, v13 op_sel_hi:[1,0,1]
	v_pk_fma_f16 v11, v4, v46, v11 op_sel:[0,1,0]
	v_pk_fma_f16 v4, v4, v47, v30 op_sel:[0,1,0]
	v_pk_fma_f16 v30, v5, v46, v15 op_sel_hi:[1,0,1]
	v_pk_fma_f16 v42, v5, v46, v12 op_sel:[0,1,0]
	v_pk_fma_f16 v43, v5, v47, v14 op_sel_hi:[1,0,1]
	;; [unrolled: 2-line block ×3, first 2 shown]
	v_pk_fma_f16 v29, v6, v49, v13 op_sel_hi:[1,0,1]
	ds_read2_b64 v[12:15], v41 offset0:192 offset1:224
	v_pk_fma_f16 v11, v6, v48, v11 op_sel:[0,1,0]
	v_pk_fma_f16 v4, v6, v49, v4 op_sel:[0,1,0]
	v_pk_fma_f16 v6, v7, v48, v30 op_sel_hi:[1,0,1]
	v_pk_fma_f16 v30, v7, v48, v42 op_sel:[0,1,0]
	v_pk_fma_f16 v41, v7, v49, v43 op_sel_hi:[1,0,1]
	v_pk_fma_f16 v5, v7, v49, v5 op_sel:[0,1,0]
	s_waitcnt lgkmcnt(0)
	v_pk_fma_f16 v7, v12, v50, v20 op_sel_hi:[1,0,1]
	v_pk_fma_f16 v4, v12, v51, v4 op_sel:[0,1,0]
	v_pk_fma_f16 v6, v13, v50, v6 op_sel_hi:[1,0,1]
	v_pk_fma_f16 v11, v12, v50, v11 op_sel:[0,1,0]
	;; [unrolled: 2-line block ×5, first 2 shown]
	v_pk_fma_f16 v46, v15, v52, v6 op_sel_hi:[1,0,1]
	ds_read2_b64 v[4:7], v10 offset1:32
	ds_read_b128 v[42:45], v31 offset:17728
	v_pk_fma_f16 v11, v14, v52, v11 op_sel:[0,1,0]
	v_pk_fma_f16 v20, v14, v53, v20 op_sel_hi:[1,0,1]
	v_pk_fma_f16 v47, v15, v52, v12 op_sel:[0,1,0]
	v_pk_fma_f16 v29, v15, v53, v29 op_sel_hi:[1,0,1]
	v_pk_fma_f16 v48, v15, v53, v13 op_sel:[0,1,0]
	ds_read_b128 v[12:15], v31 offset:17744
	s_waitcnt lgkmcnt(1)
	v_pk_fma_f16 v30, v4, v42, v30 op_sel_hi:[1,0,1]
	v_pk_fma_f16 v11, v4, v42, v11 op_sel:[0,1,0]
	v_pk_fma_f16 v20, v4, v43, v20 op_sel_hi:[1,0,1]
	v_pk_fma_f16 v4, v4, v43, v41 op_sel:[0,1,0]
	;; [unrolled: 2-line block ×4, first 2 shown]
	ds_read2_b64 v[46:49], v10 offset0:64 offset1:96
	v_pk_fma_f16 v30, v6, v44, v30 op_sel_hi:[1,0,1]
	v_pk_fma_f16 v11, v6, v44, v11 op_sel:[0,1,0]
	v_pk_fma_f16 v20, v6, v45, v20 op_sel_hi:[1,0,1]
	v_pk_fma_f16 v4, v6, v45, v4 op_sel:[0,1,0]
	;; [unrolled: 2-line block ×4, first 2 shown]
	s_waitcnt lgkmcnt(0)
	v_pk_fma_f16 v7, v46, v12, v30 op_sel_hi:[1,0,1]
	v_pk_fma_f16 v4, v46, v13, v4 op_sel:[0,1,0]
	v_pk_fma_f16 v6, v47, v12, v6 op_sel_hi:[1,0,1]
	v_pk_fma_f16 v11, v46, v12, v11 op_sel:[0,1,0]
	;; [unrolled: 2-line block ×5, first 2 shown]
	v_pk_fma_f16 v46, v49, v14, v6 op_sel_hi:[1,0,1]
	ds_read2_b64 v[4:7], v10 offset0:128 offset1:160
	ds_read_b128 v[42:45], v31 offset:17760
	v_pk_fma_f16 v11, v48, v14, v11 op_sel:[0,1,0]
	v_pk_fma_f16 v20, v48, v15, v20 op_sel_hi:[1,0,1]
	v_pk_fma_f16 v47, v49, v14, v12 op_sel:[0,1,0]
	v_pk_fma_f16 v29, v49, v15, v29 op_sel_hi:[1,0,1]
	v_pk_fma_f16 v48, v49, v15, v13 op_sel:[0,1,0]
	ds_read_b128 v[12:15], v31 offset:17776
	s_waitcnt lgkmcnt(1)
	v_pk_fma_f16 v30, v4, v42, v30 op_sel_hi:[1,0,1]
	v_pk_fma_f16 v11, v4, v42, v11 op_sel:[0,1,0]
	v_pk_fma_f16 v20, v4, v43, v20 op_sel_hi:[1,0,1]
	v_pk_fma_f16 v4, v4, v43, v41 op_sel:[0,1,0]
	;; [unrolled: 2-line block ×4, first 2 shown]
	ds_read2_b64 v[46:49], v10 offset0:192 offset1:224
	v_pk_fma_f16 v30, v6, v44, v30 op_sel_hi:[1,0,1]
	v_pk_fma_f16 v11, v6, v44, v11 op_sel:[0,1,0]
	v_pk_fma_f16 v20, v6, v45, v20 op_sel_hi:[1,0,1]
	v_pk_fma_f16 v4, v6, v45, v4 op_sel:[0,1,0]
	;; [unrolled: 2-line block ×4, first 2 shown]
	s_waitcnt lgkmcnt(0)
	v_pk_fma_f16 v7, v46, v12, v30 op_sel_hi:[1,0,1]
	v_pk_fma_f16 v11, v46, v12, v11 op_sel:[0,1,0]
	v_pk_fma_f16 v20, v46, v13, v20 op_sel_hi:[1,0,1]
	v_pk_fma_f16 v4, v46, v13, v4 op_sel:[0,1,0]
	;; [unrolled: 2-line block ×6, first 2 shown]
	v_pk_fma_f16 v50, v49, v14, v6 op_sel_hi:[1,0,1]
	ds_read2_b64 v[4:7], v9 offset1:32
	ds_read_b128 v[10:13], v31 offset:17792
	v_pk_fma_f16 v14, v49, v14, v30 op_sel:[0,1,0]
	v_pk_fma_f16 v29, v49, v15, v29 op_sel_hi:[1,0,1]
	v_pk_fma_f16 v15, v49, v15, v41 op_sel:[0,1,0]
	ds_read_b128 v[42:45], v31 offset:17808
	s_waitcnt lgkmcnt(1)
	v_pk_fma_f16 v30, v4, v10, v46 op_sel_hi:[1,0,1]
	v_pk_fma_f16 v41, v4, v10, v47 op_sel:[0,1,0]
	v_pk_fma_f16 v20, v4, v11, v20 op_sel_hi:[1,0,1]
	v_pk_fma_f16 v4, v4, v11, v48 op_sel:[0,1,0]
	ds_read2_b64 v[46:49], v9 offset0:64 offset1:96
	v_pk_fma_f16 v50, v5, v10, v50 op_sel_hi:[1,0,1]
	v_pk_fma_f16 v10, v5, v10, v14 op_sel:[0,1,0]
	v_pk_fma_f16 v14, v5, v11, v29 op_sel_hi:[1,0,1]
	v_pk_fma_f16 v5, v5, v11, v15 op_sel:[0,1,0]
	;; [unrolled: 2-line block ×6, first 2 shown]
	s_waitcnt lgkmcnt(0)
	v_pk_fma_f16 v7, v46, v42, v11 op_sel_hi:[1,0,1]
	v_pk_fma_f16 v11, v46, v42, v15 op_sel:[0,1,0]
	v_pk_fma_f16 v13, v46, v43, v20 op_sel_hi:[1,0,1]
	v_pk_fma_f16 v4, v46, v43, v4 op_sel:[0,1,0]
	;; [unrolled: 2-line block ×6, first 2 shown]
	v_pk_fma_f16 v47, v49, v44, v6 op_sel_hi:[1,0,1]
	ds_read2_b64 v[4:7], v9 offset0:128 offset1:160
	ds_read_b128 v[10:13], v31 offset:17824
	v_pk_fma_f16 v14, v49, v44, v14 op_sel:[0,1,0]
	v_pk_fma_f16 v15, v49, v45, v15 op_sel_hi:[1,0,1]
	v_pk_fma_f16 v20, v49, v45, v20 op_sel:[0,1,0]
	ds_read_b128 v[42:45], v31 offset:17840
	s_waitcnt lgkmcnt(1)
	v_pk_fma_f16 v29, v4, v10, v29 op_sel_hi:[1,0,1]
	v_pk_fma_f16 v30, v4, v10, v30 op_sel:[0,1,0]
	v_pk_fma_f16 v41, v4, v11, v41 op_sel_hi:[1,0,1]
	v_pk_fma_f16 v4, v4, v11, v46 op_sel:[0,1,0]
	v_pk_fma_f16 v50, v5, v10, v47 op_sel_hi:[1,0,1]
	ds_read2_b64 v[46:49], v9 offset0:192 offset1:224
	v_pk_fma_f16 v10, v5, v10, v14 op_sel:[0,1,0]
	v_pk_fma_f16 v14, v5, v11, v15 op_sel_hi:[1,0,1]
	v_pk_fma_f16 v5, v5, v11, v20 op_sel:[0,1,0]
	v_pk_fma_f16 v11, v6, v12, v29 op_sel_hi:[1,0,1]
	;; [unrolled: 2-line block ×5, first 2 shown]
	v_pk_fma_f16 v5, v7, v13, v5 op_sel:[0,1,0]
	s_waitcnt lgkmcnt(0)
	v_pk_fma_f16 v7, v46, v42, v11 op_sel_hi:[1,0,1]
	v_pk_fma_f16 v11, v46, v42, v15 op_sel:[0,1,0]
	v_pk_fma_f16 v12, v46, v43, v20 op_sel_hi:[1,0,1]
	v_pk_fma_f16 v4, v46, v43, v4 op_sel:[0,1,0]
	v_pk_fma_f16 v6, v47, v42, v6 op_sel_hi:[1,0,1]
	v_pk_fma_f16 v14, v47, v43, v10 op_sel_hi:[1,0,1]
	v_pk_fma_f16 v15, v47, v43, v5 op_sel:[0,1,0]
	v_pk_fma_f16 v20, v48, v44, v7 op_sel_hi:[1,0,1]
	v_pk_fma_f16 v29, v48, v44, v11 op_sel:[0,1,0]
	v_pk_fma_f16 v30, v48, v45, v12 op_sel_hi:[1,0,1]
	v_pk_fma_f16 v41, v48, v45, v4 op_sel:[0,1,0]
	v_pk_fma_f16 v46, v49, v44, v6 op_sel_hi:[1,0,1]
	ds_read2_b64 v[4:7], v8 offset1:32
	ds_read_b128 v[10:13], v31 offset:17856
	v_pk_fma_f16 v9, v47, v42, v9 op_sel:[0,1,0]
	v_pk_fma_f16 v9, v49, v44, v9 op_sel:[0,1,0]
	v_pk_fma_f16 v14, v49, v45, v14 op_sel_hi:[1,0,1]
	v_pk_fma_f16 v15, v49, v45, v15 op_sel:[0,1,0]
	ds_read_b128 v[42:45], v31 offset:17872
	s_waitcnt lgkmcnt(1)
	v_pk_fma_f16 v20, v4, v10, v20 op_sel_hi:[1,0,1]
	v_pk_fma_f16 v29, v4, v10, v29 op_sel:[0,1,0]
	v_pk_fma_f16 v30, v4, v11, v30 op_sel_hi:[1,0,1]
	v_pk_fma_f16 v4, v4, v11, v41 op_sel:[0,1,0]
	v_pk_fma_f16 v41, v5, v10, v46 op_sel_hi:[1,0,1]
	ds_read2_b64 v[46:49], v8 offset0:64 offset1:96
	v_pk_fma_f16 v9, v5, v10, v9 op_sel:[0,1,0]
	v_pk_fma_f16 v10, v5, v11, v14 op_sel_hi:[1,0,1]
	v_pk_fma_f16 v5, v5, v11, v15 op_sel:[0,1,0]
	v_pk_fma_f16 v11, v6, v12, v20 op_sel_hi:[1,0,1]
	;; [unrolled: 2-line block ×5, first 2 shown]
	v_pk_fma_f16 v5, v7, v13, v5 op_sel:[0,1,0]
	s_waitcnt lgkmcnt(0)
	v_pk_fma_f16 v7, v46, v42, v11 op_sel_hi:[1,0,1]
	v_pk_fma_f16 v11, v46, v42, v14 op_sel:[0,1,0]
	v_pk_fma_f16 v12, v46, v43, v15 op_sel_hi:[1,0,1]
	v_pk_fma_f16 v4, v46, v43, v4 op_sel:[0,1,0]
	;; [unrolled: 2-line block ×6, first 2 shown]
	v_pk_fma_f16 v42, v49, v44, v6 op_sel_hi:[1,0,1]
	ds_read2_b64 v[4:7], v8 offset0:128 offset1:160
	ds_read_b128 v[10:13], v31 offset:17888
	v_pk_fma_f16 v9, v49, v44, v9 op_sel:[0,1,0]
	v_pk_fma_f16 v14, v49, v45, v14 op_sel_hi:[1,0,1]
	v_pk_fma_f16 v15, v49, v45, v15 op_sel:[0,1,0]
	ds_read_b128 v[50:53], v31 offset:17904
	s_waitcnt lgkmcnt(1)
	v_pk_fma_f16 v20, v4, v10, v20 op_sel_hi:[1,0,1]
	v_pk_fma_f16 v29, v4, v10, v29 op_sel:[0,1,0]
	v_pk_fma_f16 v30, v4, v11, v30 op_sel_hi:[1,0,1]
	v_pk_fma_f16 v4, v4, v11, v41 op_sel:[0,1,0]
	;; [unrolled: 2-line block ×4, first 2 shown]
	ds_read2_b64 v[8:11], v8 offset0:192 offset1:224
	v_pk_fma_f16 v15, v6, v12, v20 op_sel_hi:[1,0,1]
	v_pk_fma_f16 v20, v6, v12, v29 op_sel:[0,1,0]
	v_pk_fma_f16 v29, v6, v13, v30 op_sel_hi:[1,0,1]
	v_pk_fma_f16 v4, v6, v13, v4 op_sel:[0,1,0]
	;; [unrolled: 2-line block ×4, first 2 shown]
	s_waitcnt lgkmcnt(0)
	v_pk_fma_f16 v7, v8, v50, v15 op_sel_hi:[1,0,1]
	v_pk_fma_f16 v13, v8, v50, v20 op_sel:[0,1,0]
	v_pk_fma_f16 v15, v8, v51, v29 op_sel_hi:[1,0,1]
	v_pk_fma_f16 v4, v8, v51, v4 op_sel:[0,1,0]
	;; [unrolled: 2-line block ×8, first 2 shown]
	v_pk_mov_b32 v[12:13], v[16:17], v[16:17] op_sel:[0,1]
	v_pk_mov_b32 v[10:11], v[2:3], v[2:3] op_sel:[0,1]
	;; [unrolled: 1-line block ×4, first 2 shown]
	s_barrier
.LBB87_139:
	v_cmp_lt_i32_e32 vcc, v26, v23
	v_cndmask_b32_e32 v0, v22, v26, vcc
	v_cmp_lt_i32_e32 vcc, v27, v23
	v_lshlrev_b32_e32 v3, 2, v0
	v_cndmask_b32_e32 v0, v22, v27, vcc
	v_cmp_lt_i32_e32 vcc, v28, v23
	v_lshlrev_b32_e32 v7, 2, v0
	v_cndmask_b32_e32 v0, v22, v28, vcc
	v_lshlrev_b32_e32 v16, 2, v0
	ds_bpermute_b32 v0, v3, v8
	ds_bpermute_b32 v1, v3, v9
	;; [unrolled: 1-line block ×4, first 2 shown]
	v_cmp_lt_i32_e32 vcc, v25, v23
	v_cndmask_b32_e32 v17, v22, v25, vcc
	s_waitcnt lgkmcnt(2)
	v_pk_add_f32 v[0:1], v[8:9], v[0:1]
	ds_bpermute_b32 v4, v7, v0
	s_waitcnt lgkmcnt(1)
	v_pk_add_f32 v[2:3], v[10:11], v[2:3]
	ds_bpermute_b32 v5, v7, v1
	ds_bpermute_b32 v6, v7, v2
	;; [unrolled: 1-line block ×3, first 2 shown]
	v_lshlrev_b32_e32 v8, 2, v17
	v_cmp_lt_i32_e32 vcc, v24, v23
	s_waitcnt lgkmcnt(2)
	v_pk_add_f32 v[0:1], v[0:1], v[4:5]
	ds_bpermute_b32 v4, v16, v0
	s_waitcnt lgkmcnt(1)
	v_pk_add_f32 v[2:3], v[2:3], v[6:7]
	ds_bpermute_b32 v5, v16, v1
	ds_bpermute_b32 v6, v16, v2
	;; [unrolled: 1-line block ×3, first 2 shown]
	v_cndmask_b32_e32 v9, v22, v24, vcc
	v_lshlrev_b32_e32 v9, 2, v9
	s_waitcnt lgkmcnt(2)
	v_pk_add_f32 v[0:1], v[0:1], v[4:5]
	ds_bpermute_b32 v4, v8, v0
	s_waitcnt lgkmcnt(1)
	v_pk_add_f32 v[2:3], v[2:3], v[6:7]
	ds_bpermute_b32 v5, v8, v1
	ds_bpermute_b32 v6, v8, v2
	;; [unrolled: 1-line block ×3, first 2 shown]
	s_cmp_eq_u64 s[24:25], 0
	s_cselect_b64 s[6:7], -1, 0
	s_waitcnt lgkmcnt(2)
	v_pk_add_f32 v[0:1], v[0:1], v[4:5]
	ds_bpermute_b32 v4, v9, v0
	s_waitcnt lgkmcnt(1)
	v_pk_add_f32 v[6:7], v[2:3], v[6:7]
	ds_bpermute_b32 v5, v9, v1
	ds_bpermute_b32 v8, v9, v6
	;; [unrolled: 1-line block ×3, first 2 shown]
	s_cmp_lg_u32 s9, 0
	s_cselect_b64 s[10:11], -1, 0
	s_or_b64 s[6:7], s[10:11], s[6:7]
	s_waitcnt lgkmcnt(2)
	v_pk_add_f32 v[2:3], v[0:1], v[4:5]
	s_waitcnt lgkmcnt(0)
	v_pk_add_f32 v[0:1], v[6:7], v[8:9]
	s_and_b64 vcc, exec, s[6:7]
	s_cbranch_vccnz .LBB87_141
; %bb.140:
	s_lshl_b64 s[6:7], s[14:15], 2
	s_add_u32 s6, s24, s6
	s_addc_u32 s7, s25, s7
	v_mov_b32_e32 v4, 0
	global_load_dword v16, v4, s[6:7]
	v_max_f32_e32 v4, v13, v13
	v_max_f32_e32 v6, v12, v12
	;; [unrolled: 1-line block ×4, first 2 shown]
	s_mov_b32 s8, 0x3fb8aa3b
	s_mov_b32 s6, 0xc2ce8ed0
	;; [unrolled: 1-line block ×3, first 2 shown]
	v_mov_b32_e32 v17, 0x7f800000
	s_waitcnt vmcnt(0)
	v_max_f32_e32 v9, v16, v16
	v_max_f32_e32 v5, v4, v9
	;; [unrolled: 1-line block ×5, first 2 shown]
	v_pk_add_f32 v[8:9], v[12:13], v[4:5] neg_lo:[0,1] neg_hi:[0,1]
	v_pk_add_f32 v[10:11], v[14:15], v[6:7] neg_lo:[0,1] neg_hi:[0,1]
	v_sub_f32_e32 v14, v16, v6
	v_sub_f32_e32 v15, v16, v7
	;; [unrolled: 1-line block ×4, first 2 shown]
	v_mul_f32_e32 v16, 0x3fb8aa3b, v9
	v_mul_f32_e32 v18, 0x3fb8aa3b, v8
	v_fma_f32 v24, v9, s8, -v16
	v_rndne_f32_e32 v25, v16
	v_mul_f32_e32 v19, 0x3fb8aa3b, v11
	v_fma_f32 v26, v8, s8, -v18
	v_rndne_f32_e32 v27, v18
	v_fmac_f32_e32 v24, 0x32a5705f, v9
	v_sub_f32_e32 v16, v16, v25
	v_mul_f32_e32 v20, 0x3fb8aa3b, v10
	v_fma_f32 v28, v11, s8, -v19
	v_rndne_f32_e32 v30, v19
	v_fmac_f32_e32 v26, 0x32a5705f, v8
	v_sub_f32_e32 v18, v18, v27
	v_add_f32_e32 v16, v16, v24
	v_fma_f32 v31, v10, s8, -v20
	v_rndne_f32_e32 v41, v20
	v_cvt_i32_f32_e32 v25, v25
	v_fmac_f32_e32 v28, 0x32a5705f, v11
	v_sub_f32_e32 v19, v19, v30
	v_add_f32_e32 v18, v18, v26
	v_exp_f32_e32 v16, v16
	v_cvt_i32_f32_e32 v27, v27
	v_fmac_f32_e32 v31, 0x32a5705f, v10
	v_sub_f32_e32 v20, v20, v41
	v_add_f32_e32 v19, v19, v28
	v_exp_f32_e32 v18, v18
	v_cvt_i32_f32_e32 v30, v30
	v_add_f32_e32 v20, v20, v31
	v_exp_f32_e32 v19, v19
	v_cvt_i32_f32_e32 v41, v41
	v_exp_f32_e32 v20, v20
	v_ldexp_f32 v16, v16, v25
	v_cmp_ngt_f32_e32 vcc, s6, v9
	v_ldexp_f32 v18, v18, v27
	v_cndmask_b32_e32 v16, 0, v16, vcc
	v_cmp_ngt_f32_e32 vcc, s6, v8
	v_ldexp_f32 v19, v19, v30
	v_cndmask_b32_e32 v18, 0, v18, vcc
	;; [unrolled: 3-line block ×3, first 2 shown]
	v_cmp_ngt_f32_e32 vcc, s6, v10
	v_cndmask_b32_e32 v20, 0, v20, vcc
	v_cmp_nlt_f32_e32 vcc, s7, v9
	v_cndmask_b32_e32 v9, v17, v16, vcc
	v_cmp_nlt_f32_e32 vcc, s7, v8
	v_cndmask_b32_e32 v8, v17, v18, vcc
	v_mul_f32_e32 v22, 0x3fb8aa3b, v13
	v_cvt_f16_f32_e32 v16, v8
	v_mul_f32_e32 v23, 0x3fb8aa3b, v12
	v_fma_f32 v42, v13, s8, -v22
	v_rndne_f32_e32 v43, v22
	v_cvt_f16_f32_e32 v18, v9
	v_fma_f32 v44, v12, s8, -v23
	v_rndne_f32_e32 v52, v23
	v_fmac_f32_e32 v42, 0x32a5705f, v13
	v_sub_f32_e32 v22, v22, v43
	v_cmp_nlt_f32_e32 vcc, s7, v11
	v_fmac_f32_e32 v44, 0x32a5705f, v12
	v_sub_f32_e32 v23, v23, v52
	v_add_f32_e32 v22, v22, v42
	v_cndmask_b32_e32 v11, v17, v19, vcc
	v_cmp_nlt_f32_e32 vcc, s7, v10
	v_cvt_i32_f32_e32 v43, v43
	v_exp_f32_e32 v22, v22
	v_cndmask_b32_e32 v10, v17, v20, vcc
	v_pk_mul_f16 v49, v16, v49 op_sel_hi:[0,1]
	v_pk_mul_f16 v51, v16, v51 op_sel_hi:[0,1]
	v_add_f32_e32 v16, v23, v44
	v_cvt_f16_f32_e32 v19, v10
	v_pk_mul_f16 v47, v18, v47 op_sel_hi:[0,1]
	v_pk_mul_f16 v48, v18, v48 op_sel_hi:[0,1]
	v_exp_f32_e32 v16, v16
	v_cvt_i32_f32_e32 v18, v52
	v_cvt_f16_f32_e32 v20, v11
	v_ldexp_f32 v22, v22, v43
	v_cmp_ngt_f32_e32 vcc, s6, v13
	v_pk_mul_f16 v45, v19, v45 op_sel_hi:[0,1]
	v_pk_mul_f16 v29, v19, v29 op_sel_hi:[0,1]
	v_cndmask_b32_e32 v19, 0, v22, vcc
	v_cmp_nlt_f32_e32 vcc, s7, v13
	v_ldexp_f32 v16, v16, v18
	v_mul_f32_e32 v18, 0x3fb8aa3b, v15
	v_pk_mul_f16 v50, v20, v50 op_sel_hi:[0,1]
	v_pk_mul_f16 v46, v20, v46 op_sel_hi:[0,1]
	v_cndmask_b32_e32 v13, v17, v19, vcc
	v_fma_f32 v19, v15, s8, -v18
	v_rndne_f32_e32 v20, v18
	v_fmac_f32_e32 v19, 0x32a5705f, v15
	v_sub_f32_e32 v18, v18, v20
	v_add_f32_e32 v18, v18, v19
	v_exp_f32_e32 v18, v18
	v_cvt_i32_f32_e32 v19, v20
	v_cmp_ngt_f32_e32 vcc, s6, v12
	v_cndmask_b32_e32 v16, 0, v16, vcc
	v_cmp_nlt_f32_e32 vcc, s7, v12
	v_cndmask_b32_e32 v12, v17, v16, vcc
	v_ldexp_f32 v16, v18, v19
	v_mul_f32_e32 v18, 0x3fb8aa3b, v14
	v_fma_f32 v19, v14, s8, -v18
	v_rndne_f32_e32 v20, v18
	v_fmac_f32_e32 v19, 0x32a5705f, v14
	v_sub_f32_e32 v18, v18, v20
	v_add_f32_e32 v18, v18, v19
	v_exp_f32_e32 v18, v18
	v_cvt_i32_f32_e32 v19, v20
	v_cmp_ngt_f32_e32 vcc, s6, v15
	v_cndmask_b32_e32 v16, 0, v16, vcc
	v_cmp_nlt_f32_e32 vcc, s7, v15
	v_cndmask_b32_e32 v15, v17, v16, vcc
	v_ldexp_f32 v16, v18, v19
	v_cmp_ngt_f32_e32 vcc, s6, v14
	v_cndmask_b32_e32 v16, 0, v16, vcc
	v_cmp_nlt_f32_e32 vcc, s7, v14
	v_cndmask_b32_e32 v14, v17, v16, vcc
	v_pk_fma_f32 v[0:1], v[0:1], v[10:11], v[14:15]
	v_pk_fma_f32 v[2:3], v[2:3], v[8:9], v[12:13]
	v_pk_mov_b32 v[14:15], v[6:7], v[6:7] op_sel:[0,1]
	v_pk_mov_b32 v[12:13], v[4:5], v[4:5] op_sel:[0,1]
.LBB87_141:
	v_cmp_gt_i32_e32 vcc, s38, v40
	s_and_saveexec_b64 s[6:7], vcc
	s_cbranch_execz .LBB87_161
; %bb.142:
	s_load_dword s8, s[4:5], 0xd4
	v_mov_b32_e32 v4, 1.0
	s_waitcnt lgkmcnt(0)
	s_cmp_lg_u32 s8, 1
	s_cselect_b64 s[6:7], -1, 0
	s_cmp_eq_u32 s8, 1
	s_cselect_b64 s[10:11], -1, 0
	s_and_b64 vcc, exec, s[6:7]
	s_cbranch_vccnz .LBB87_144
; %bb.143:
	v_div_scale_f32 v4, s[4:5], v2, v2, 1.0
	v_rcp_f32_e32 v5, v4
	v_div_scale_f32 v6, vcc, 1.0, v2, 1.0
	v_fma_f32 v7, -v4, v5, 1.0
	v_fmac_f32_e32 v5, v7, v5
	v_mul_f32_e32 v7, v6, v5
	v_fma_f32 v8, -v4, v7, v6
	v_fmac_f32_e32 v7, v8, v5
	v_fma_f32 v4, -v4, v7, v6
	v_div_fmas_f32 v4, v4, v5, v7
	v_div_fixup_f32 v4, v4, v2, 1.0
.LBB87_144:
	s_mul_i32 s12, s33, s38
	s_add_i32 s12, s12, s42
	v_add_u32_e32 v5, s12, v38
	v_mul_lo_u32 v5, v5, s39
	v_add_u32_e32 v5, s14, v5
	v_mul_lo_u32 v5, s8, v5
	v_add_u32_e32 v6, s9, v5
	v_cvt_f32_f16_sdwa v11, v49 dst_sel:DWORD dst_unused:UNUSED_PAD src0_sel:WORD_1
	v_cvt_f32_f16_e32 v10, v49
	v_cvt_f32_f16_sdwa v17, v51 dst_sel:DWORD dst_unused:UNUSED_PAD src0_sel:WORD_1
	v_cvt_f32_f16_e32 v16, v51
	v_lshl_add_u32 v8, v6, 7, v35
	v_mov_b32_e32 v9, 0
	v_lshlrev_b64 v[8:9], 2, v[8:9]
	v_cmp_eq_u32_e32 vcc, 0, v39
	v_mov_b32_e32 v5, s29
	v_add_co_u32_e64 v18, s[4:5], s28, v8
	v_addc_co_u32_e64 v19, s[4:5], v5, v9, s[4:5]
	v_pk_mul_f32 v[8:9], v[4:5], v[10:11] op_sel_hi:[0,1]
	v_pk_mul_f32 v[10:11], v[4:5], v[16:17] op_sel_hi:[0,1]
	s_and_b64 s[6:7], vcc, s[6:7]
	global_store_dwordx4 v[18:19], v[8:11], off
	s_and_saveexec_b64 s[4:5], s[6:7]
	s_cbranch_execz .LBB87_146
; %bb.145:
	v_ashrrev_i32_e32 v7, 31, v6
	v_lshlrev_b64 v[4:5], 3, v[6:7]
	v_mov_b32_e32 v6, s31
	v_add_co_u32_e32 v4, vcc, s30, v4
	v_addc_co_u32_e32 v5, vcc, v6, v5, vcc
	v_mov_b32_e32 v6, v12
	v_mov_b32_e32 v7, v2
	global_store_dwordx2 v[4:5], v[6:7], off
.LBB87_146:
	s_or_b64 exec, exec, s[4:5]
	v_cmp_gt_i32_e32 vcc, s38, v37
	s_and_b64 exec, exec, vcc
	s_cbranch_execz .LBB87_161
; %bb.147:
	v_cndmask_b32_e64 v2, 0, 1, s[10:11]
	v_cmp_ne_u32_e64 s[4:5], 1, v2
	s_andn2_b64 vcc, exec, s[10:11]
	v_mov_b32_e32 v2, 1.0
	s_cbranch_vccnz .LBB87_149
; %bb.148:
	v_div_scale_f32 v2, s[10:11], v3, v3, 1.0
	v_rcp_f32_e32 v4, v2
	v_div_scale_f32 v5, vcc, 1.0, v3, 1.0
	v_fma_f32 v6, -v2, v4, 1.0
	v_fmac_f32_e32 v4, v6, v4
	v_mul_f32_e32 v6, v5, v4
	v_fma_f32 v7, -v2, v6, v5
	v_fmac_f32_e32 v6, v7, v4
	v_fma_f32 v2, -v2, v6, v5
	v_div_fmas_f32 v2, v2, v4, v6
	v_div_fixup_f32 v2, v2, v3, 1.0
.LBB87_149:
	v_add_u32_e32 v4, s12, v36
	v_mul_lo_u32 v4, v4, s39
	v_add_u32_e32 v4, s14, v4
	v_mul_lo_u32 v4, s8, v4
	v_add_u32_e32 v4, s9, v4
	v_cvt_f32_f16_sdwa v9, v47 dst_sel:DWORD dst_unused:UNUSED_PAD src0_sel:WORD_1
	v_cvt_f32_f16_e32 v8, v47
	v_cvt_f32_f16_sdwa v11, v48 dst_sel:DWORD dst_unused:UNUSED_PAD src0_sel:WORD_1
	v_cvt_f32_f16_e32 v10, v48
	v_lshl_add_u32 v6, v4, 7, v35
	v_mov_b32_e32 v7, 0
	v_lshlrev_b64 v[6:7], 2, v[6:7]
	v_mov_b32_e32 v5, s29
	v_add_co_u32_e32 v16, vcc, s28, v6
	v_addc_co_u32_e32 v17, vcc, v5, v7, vcc
	v_pk_mul_f32 v[6:7], v[2:3], v[8:9] op_sel_hi:[0,1]
	v_pk_mul_f32 v[8:9], v[2:3], v[10:11] op_sel_hi:[0,1]
	global_store_dwordx4 v[16:17], v[6:9], off
	s_and_saveexec_b64 s[10:11], s[6:7]
	s_cbranch_execz .LBB87_151
; %bb.150:
	v_ashrrev_i32_e32 v5, 31, v4
	v_lshlrev_b64 v[4:5], 3, v[4:5]
	v_mov_b32_e32 v2, s31
	v_add_co_u32_e32 v4, vcc, s30, v4
	v_addc_co_u32_e32 v5, vcc, v2, v5, vcc
	v_mov_b32_e32 v2, v13
	global_store_dwordx2 v[4:5], v[2:3], off
.LBB87_151:
	s_or_b64 exec, exec, s[10:11]
	v_cmp_gt_i32_e32 vcc, s38, v34
	s_and_b64 exec, exec, vcc
	s_cbranch_execz .LBB87_161
; %bb.152:
	s_and_b64 vcc, exec, s[4:5]
	v_mov_b32_e32 v4, 1.0
	s_cbranch_vccnz .LBB87_154
; %bb.153:
	v_div_scale_f32 v2, s[10:11], v0, v0, 1.0
	v_rcp_f32_e32 v3, v2
	v_div_scale_f32 v4, vcc, 1.0, v0, 1.0
	v_fma_f32 v5, -v2, v3, 1.0
	v_fmac_f32_e32 v3, v5, v3
	v_mul_f32_e32 v5, v4, v3
	v_fma_f32 v6, -v2, v5, v4
	v_fmac_f32_e32 v5, v6, v3
	v_fma_f32 v2, -v2, v5, v4
	v_div_fmas_f32 v2, v2, v3, v5
	v_div_fixup_f32 v4, v2, v0, 1.0
.LBB87_154:
	v_add_u32_e32 v2, s12, v33
	v_mul_lo_u32 v2, v2, s39
	v_add_u32_e32 v2, s14, v2
	v_mul_lo_u32 v2, s8, v2
	v_add_u32_e32 v2, s9, v2
	v_cvt_f32_f16_sdwa v9, v45 dst_sel:DWORD dst_unused:UNUSED_PAD src0_sel:WORD_1
	v_cvt_f32_f16_e32 v8, v45
	v_cvt_f32_f16_sdwa v11, v29 dst_sel:DWORD dst_unused:UNUSED_PAD src0_sel:WORD_1
	v_cvt_f32_f16_e32 v10, v29
	v_lshl_add_u32 v6, v2, 7, v35
	v_mov_b32_e32 v7, 0
	v_lshlrev_b64 v[6:7], 2, v[6:7]
	v_mov_b32_e32 v3, s29
	v_add_co_u32_e32 v12, vcc, s28, v6
	v_addc_co_u32_e32 v13, vcc, v3, v7, vcc
	v_pk_mul_f32 v[6:7], v[4:5], v[8:9] op_sel_hi:[0,1]
	v_pk_mul_f32 v[8:9], v[4:5], v[10:11] op_sel_hi:[0,1]
	global_store_dwordx4 v[12:13], v[6:9], off
	s_and_saveexec_b64 s[10:11], s[6:7]
	s_cbranch_execz .LBB87_156
; %bb.155:
	v_ashrrev_i32_e32 v3, 31, v2
	v_lshlrev_b64 v[2:3], 3, v[2:3]
	v_mov_b32_e32 v4, s31
	v_add_co_u32_e32 v2, vcc, s30, v2
	v_addc_co_u32_e32 v3, vcc, v4, v3, vcc
	v_mov_b32_e32 v4, v14
	v_mov_b32_e32 v5, v0
	global_store_dwordx2 v[2:3], v[4:5], off
.LBB87_156:
	s_or_b64 exec, exec, s[10:11]
	v_cmp_gt_i32_e32 vcc, s38, v32
	s_and_b64 exec, exec, vcc
	s_cbranch_execz .LBB87_161
; %bb.157:
	s_and_b64 vcc, exec, s[4:5]
	v_mov_b32_e32 v0, 1.0
	s_cbranch_vccnz .LBB87_159
; %bb.158:
	v_div_scale_f32 v0, s[4:5], v1, v1, 1.0
	v_rcp_f32_e32 v2, v0
	v_div_scale_f32 v3, vcc, 1.0, v1, 1.0
	v_fma_f32 v4, -v0, v2, 1.0
	v_fmac_f32_e32 v2, v4, v2
	v_mul_f32_e32 v4, v3, v2
	v_fma_f32 v5, -v0, v4, v3
	v_fmac_f32_e32 v4, v5, v2
	v_fma_f32 v0, -v0, v4, v3
	v_div_fmas_f32 v0, v0, v2, v4
	v_div_fixup_f32 v0, v0, v1, 1.0
.LBB87_159:
	v_add_u32_e32 v2, s12, v21
	v_mul_lo_u32 v2, v2, s39
	v_add_u32_e32 v2, s14, v2
	v_mul_lo_u32 v2, s8, v2
	v_add_u32_e32 v2, s9, v2
	v_cvt_f32_f16_sdwa v7, v50 dst_sel:DWORD dst_unused:UNUSED_PAD src0_sel:WORD_1
	v_cvt_f32_f16_e32 v6, v50
	v_cvt_f32_f16_sdwa v9, v46 dst_sel:DWORD dst_unused:UNUSED_PAD src0_sel:WORD_1
	v_cvt_f32_f16_e32 v8, v46
	v_lshl_add_u32 v4, v2, 7, v35
	v_mov_b32_e32 v5, 0
	v_lshlrev_b64 v[4:5], 2, v[4:5]
	v_mov_b32_e32 v3, s29
	v_add_co_u32_e32 v10, vcc, s28, v4
	v_addc_co_u32_e32 v11, vcc, v3, v5, vcc
	v_pk_mul_f32 v[4:5], v[0:1], v[6:7] op_sel_hi:[0,1]
	v_pk_mul_f32 v[6:7], v[0:1], v[8:9] op_sel_hi:[0,1]
	global_store_dwordx4 v[10:11], v[4:7], off
	s_and_b64 exec, exec, s[6:7]
	s_cbranch_execz .LBB87_161
; %bb.160:
	v_ashrrev_i32_e32 v3, 31, v2
	v_lshlrev_b64 v[2:3], 3, v[2:3]
	v_mov_b32_e32 v0, s31
	v_add_co_u32_e32 v2, vcc, s30, v2
	v_addc_co_u32_e32 v3, vcc, v0, v3, vcc
	v_mov_b32_e32 v0, v15
	global_store_dwordx2 v[2:3], v[0:1], off
.LBB87_161:
	s_endpgm
	.section	.rodata,"a",@progbits
	.p2align	6, 0x0
	.amdhsa_kernel _ZL15flash_attn_tileILi128ELi128ELi32ELi1ELb1EEvPKcS1_S1_S1_S1_PKiPfP15HIP_vector_typeIfLj2EEffffjfiS5_IjLj3EEiiiiiiiiiiiliiliiiiil
		.amdhsa_group_segment_fixed_size 21504
		.amdhsa_private_segment_fixed_size 32
		.amdhsa_kernarg_size 464
		.amdhsa_user_sgpr_count 8
		.amdhsa_user_sgpr_private_segment_buffer 1
		.amdhsa_user_sgpr_dispatch_ptr 0
		.amdhsa_user_sgpr_queue_ptr 0
		.amdhsa_user_sgpr_kernarg_segment_ptr 1
		.amdhsa_user_sgpr_dispatch_id 0
		.amdhsa_user_sgpr_flat_scratch_init 1
		.amdhsa_user_sgpr_kernarg_preload_length 0
		.amdhsa_user_sgpr_kernarg_preload_offset 0
		.amdhsa_user_sgpr_private_segment_size 0
		.amdhsa_uses_dynamic_stack 0
		.amdhsa_system_sgpr_private_segment_wavefront_offset 1
		.amdhsa_system_sgpr_workgroup_id_x 1
		.amdhsa_system_sgpr_workgroup_id_y 1
		.amdhsa_system_sgpr_workgroup_id_z 1
		.amdhsa_system_sgpr_workgroup_info 0
		.amdhsa_system_vgpr_workitem_id 1
		.amdhsa_next_free_vgpr 134
		.amdhsa_next_free_sgpr 56
		.amdhsa_accum_offset 136
		.amdhsa_reserve_vcc 1
		.amdhsa_reserve_flat_scratch 1
		.amdhsa_float_round_mode_32 0
		.amdhsa_float_round_mode_16_64 0
		.amdhsa_float_denorm_mode_32 3
		.amdhsa_float_denorm_mode_16_64 3
		.amdhsa_dx10_clamp 1
		.amdhsa_ieee_mode 1
		.amdhsa_fp16_overflow 0
		.amdhsa_tg_split 0
		.amdhsa_exception_fp_ieee_invalid_op 0
		.amdhsa_exception_fp_denorm_src 0
		.amdhsa_exception_fp_ieee_div_zero 0
		.amdhsa_exception_fp_ieee_overflow 0
		.amdhsa_exception_fp_ieee_underflow 0
		.amdhsa_exception_fp_ieee_inexact 0
		.amdhsa_exception_int_div_zero 0
	.end_amdhsa_kernel
	.section	.text._ZL15flash_attn_tileILi128ELi128ELi32ELi1ELb1EEvPKcS1_S1_S1_S1_PKiPfP15HIP_vector_typeIfLj2EEffffjfiS5_IjLj3EEiiiiiiiiiiiliiliiiiil,"axG",@progbits,_ZL15flash_attn_tileILi128ELi128ELi32ELi1ELb1EEvPKcS1_S1_S1_S1_PKiPfP15HIP_vector_typeIfLj2EEffffjfiS5_IjLj3EEiiiiiiiiiiiliiliiiiil,comdat
.Lfunc_end87:
	.size	_ZL15flash_attn_tileILi128ELi128ELi32ELi1ELb1EEvPKcS1_S1_S1_S1_PKiPfP15HIP_vector_typeIfLj2EEffffjfiS5_IjLj3EEiiiiiiiiiiiliiliiiiil, .Lfunc_end87-_ZL15flash_attn_tileILi128ELi128ELi32ELi1ELb1EEvPKcS1_S1_S1_S1_PKiPfP15HIP_vector_typeIfLj2EEffffjfiS5_IjLj3EEiiiiiiiiiiiliiliiiiil
                                        ; -- End function
	.section	.AMDGPU.csdata,"",@progbits
; Kernel info:
; codeLenInByte = 35320
; NumSgprs: 62
; NumVgprs: 134
; NumAgprs: 0
; TotalNumVgprs: 134
; ScratchSize: 32
; MemoryBound: 0
; FloatMode: 240
; IeeeMode: 1
; LDSByteSize: 21504 bytes/workgroup (compile time only)
; SGPRBlocks: 7
; VGPRBlocks: 16
; NumSGPRsForWavesPerEU: 62
; NumVGPRsForWavesPerEU: 134
; AccumOffset: 136
; Occupancy: 3
; WaveLimiterHint : 1
; COMPUTE_PGM_RSRC2:SCRATCH_EN: 1
; COMPUTE_PGM_RSRC2:USER_SGPR: 8
; COMPUTE_PGM_RSRC2:TRAP_HANDLER: 0
; COMPUTE_PGM_RSRC2:TGID_X_EN: 1
; COMPUTE_PGM_RSRC2:TGID_Y_EN: 1
; COMPUTE_PGM_RSRC2:TGID_Z_EN: 1
; COMPUTE_PGM_RSRC2:TIDIG_COMP_CNT: 1
; COMPUTE_PGM_RSRC3_GFX90A:ACCUM_OFFSET: 33
; COMPUTE_PGM_RSRC3_GFX90A:TG_SPLIT: 0
	.section	.text._ZL15flash_attn_tileILi128ELi128ELi16ELi1ELb1EEvPKcS1_S1_S1_S1_PKiPfP15HIP_vector_typeIfLj2EEffffjfiS5_IjLj3EEiiiiiiiiiiiliiliiiiil,"axG",@progbits,_ZL15flash_attn_tileILi128ELi128ELi16ELi1ELb1EEvPKcS1_S1_S1_S1_PKiPfP15HIP_vector_typeIfLj2EEffffjfiS5_IjLj3EEiiiiiiiiiiiliiliiiiil,comdat
	.globl	_ZL15flash_attn_tileILi128ELi128ELi16ELi1ELb1EEvPKcS1_S1_S1_S1_PKiPfP15HIP_vector_typeIfLj2EEffffjfiS5_IjLj3EEiiiiiiiiiiiliiliiiiil ; -- Begin function _ZL15flash_attn_tileILi128ELi128ELi16ELi1ELb1EEvPKcS1_S1_S1_S1_PKiPfP15HIP_vector_typeIfLj2EEffffjfiS5_IjLj3EEiiiiiiiiiiiliiliiiiil
	.p2align	8
	.type	_ZL15flash_attn_tileILi128ELi128ELi16ELi1ELb1EEvPKcS1_S1_S1_S1_PKiPfP15HIP_vector_typeIfLj2EEffffjfiS5_IjLj3EEiiiiiiiiiiiliiliiiiil,@function
_ZL15flash_attn_tileILi128ELi128ELi16ELi1ELb1EEvPKcS1_S1_S1_S1_PKiPfP15HIP_vector_typeIfLj2EEffffjfiS5_IjLj3EEiiiiiiiiiiiliiliiiiil: ; @_ZL15flash_attn_tileILi128ELi128ELi16ELi1ELb1EEvPKcS1_S1_S1_S1_PKiPfP15HIP_vector_typeIfLj2EEffffjfiS5_IjLj3EEiiiiiiiiiiiliiliiiiil
; %bb.0:
	s_load_dwordx4 s[28:31], s[6:7], 0x5c
	s_load_dwordx2 s[42:43], s[6:7], 0x80
	s_load_dwordx16 s[12:27], s[6:7], 0x0
	s_load_dwordx2 s[44:45], s[6:7], 0xb8
	s_mov_b64 s[40:41], 0
	s_waitcnt lgkmcnt(0)
	v_cvt_f32_u32_e32 v1, s31
	s_sub_i32 s0, 0, s31
	v_rcp_iflag_f32_e32 v1, v1
	v_mul_f32_e32 v1, 0x4f7ffffe, v1
	v_cvt_u32_f32_e32 v1, v1
	v_readfirstlane_b32 s1, v1
	s_mul_i32 s0, s0, s1
	s_mul_hi_u32 s0, s1, s0
	s_add_i32 s1, s1, s0
	s_mul_hi_u32 s0, s10, s1
	s_mul_i32 s1, s0, s31
	s_sub_i32 s1, s10, s1
	s_add_i32 s2, s0, 1
	s_sub_i32 s3, s1, s31
	s_cmp_ge_u32 s1, s31
	s_cselect_b32 s0, s2, s0
	s_cselect_b32 s1, s3, s1
	s_add_i32 s2, s0, 1
	s_cmp_ge_u32 s1, s31
	s_cselect_b32 s33, s2, s0
	s_abs_i32 s0, s43
	v_cvt_f32_u32_e32 v1, s0
	s_mul_i32 s3, s33, s31
	s_sub_i32 s11, 0, s0
	s_sub_i32 s34, s10, s3
	v_rcp_iflag_f32_e32 v1, v1
	s_abs_i32 s2, s31
	s_xor_b32 s1, s31, s43
	s_ashr_i32 s1, s1, 31
	v_mul_f32_e32 v1, 0x4f7ffffe, v1
	v_cvt_u32_f32_e32 v1, v1
	v_readfirstlane_b32 s3, v1
	s_mul_i32 s11, s11, s3
	s_mul_hi_u32 s10, s3, s11
	s_add_i32 s3, s3, s10
	s_mul_hi_u32 s3, s2, s3
	s_mul_i32 s10, s3, s0
	s_sub_i32 s2, s2, s10
	s_add_i32 s11, s3, 1
	s_sub_i32 s10, s2, s0
	s_cmp_ge_u32 s2, s0
	s_cselect_b32 s3, s11, s3
	s_cselect_b32 s2, s10, s2
	s_add_i32 s10, s3, 1
	s_cmp_ge_u32 s2, s0
	s_cselect_b32 s0, s10, s3
	s_xor_b32 s0, s0, s1
	s_sub_i32 s43, s0, s1
	s_abs_i32 s46, s43
	v_cvt_f32_u32_e32 v1, s46
	s_sub_i32 s0, 0, s46
	s_abs_i32 s47, s34
	v_rcp_iflag_f32_e32 v1, v1
	v_mul_f32_e32 v1, 0x4f7ffffe, v1
	v_cvt_u32_f32_e32 v1, v1
	v_readfirstlane_b32 s1, v1
	s_mul_i32 s0, s0, s1
	s_mul_hi_u32 s0, s1, s0
	s_add_i32 s0, s1, s0
	s_cmp_eq_u64 s[18:19], 0
	s_cbranch_scc1 .LBB88_2
; %bb.1:
	s_abs_i32 s1, s44
	v_cvt_f32_u32_e32 v1, s1
	s_sub_i32 s35, 0, s1
	s_abs_i32 s11, s33
	s_ashr_i32 s10, s33, 31
	v_rcp_iflag_f32_e32 v1, v1
	s_load_dwordx2 s[2:3], s[6:7], 0xc8
	v_mul_f32_e32 v1, 0x4f7ffffe, v1
	v_cvt_u32_f32_e32 v1, v1
	v_readfirstlane_b32 s36, v1
	s_mul_i32 s35, s35, s36
	s_mul_hi_u32 s35, s36, s35
	s_add_i32 s36, s36, s35
	s_mul_hi_u32 s35, s11, s36
	s_mul_i32 s35, s35, s1
	s_sub_i32 s11, s11, s35
	s_sub_i32 s35, s11, s1
	s_cmp_ge_u32 s11, s1
	s_cselect_b32 s11, s35, s11
	s_sub_i32 s35, s11, s1
	s_cmp_ge_u32 s11, s1
	s_cselect_b32 s1, s35, s11
	s_xor_b32 s1, s1, s10
	s_sub_i32 s1, s1, s10
	s_ashr_i32 s10, s1, 31
	s_waitcnt lgkmcnt(0)
	s_mul_i32 s3, s1, s3
	s_mul_hi_u32 s11, s1, s2
	s_add_i32 s3, s11, s3
	s_mul_i32 s10, s10, s2
	s_add_i32 s3, s3, s10
	s_mul_i32 s1, s1, s2
	s_add_u32 s40, s18, s1
	s_addc_u32 s41, s19, s3
.LBB88_2:
	s_load_dwordx4 s[36:39], s[6:7], 0x40
	s_load_dwordx2 s[18:19], s[6:7], 0x50
	s_mul_hi_u32 s44, s47, s0
	v_mov_b32_e32 v40, 1.0
	s_waitcnt lgkmcnt(0)
	v_cmp_le_f32_e64 s[0:1], s37, 0
	s_and_b64 vcc, exec, s[0:1]
	s_cbranch_vccnz .LBB88_4
; %bb.3:
	s_sub_i32 s0, s34, s18
	s_lshl_b32 s0, s0, 1
	s_add_i32 s2, s34, 1
	s_or_b32 s3, s0, 1
	s_cmp_lt_u32 s34, s18
	s_cselect_b64 vcc, -1, 0
	s_and_b64 s[0:1], vcc, exec
	v_mov_b32_e32 v1, s39
	v_mov_b32_e32 v2, s38
	s_cselect_b32 s0, s2, s3
	v_cndmask_b32_e32 v18, v1, v2, vcc
	v_cvt_f32_i32_e32 v1, s0
	v_cmp_neq_f32_e32 vcc, 1.0, v18
	s_mov_b32 s0, 0x3f2aaaab
	s_movk_i32 s2, 0x204
	v_cndmask_b32_e32 v19, 1.0, v1, vcc
	v_cmp_eq_f32_e32 vcc, 0, v19
	v_cndmask_b32_e64 v20, |v18|, 1.0, vcc
	v_frexp_mant_f32_e32 v1, v20
	v_cmp_gt_f32_e64 s[0:1], s0, v1
	v_cndmask_b32_e64 v2, 1.0, 2.0, s[0:1]
	v_mul_f32_e32 v1, v1, v2
	v_add_f32_e32 v2, 1.0, v1
	v_rcp_f32_e32 v10, v2
	v_add_f32_e32 v3, -1.0, v2
	v_sub_f32_e32 v5, v1, v3
	v_add_f32_e32 v3, -1.0, v1
	v_mul_f32_e32 v1, v3, v10
	v_mul_f32_e32 v4, v2, v1
	v_fma_f32 v6, v1, v2, -v4
	v_fmac_f32_e32 v6, v1, v5
	v_add_f32_e32 v2, v4, v6
	v_sub_f32_e32 v5, v3, v2
	v_pk_add_f32 v[8:9], v[2:3], v[4:5] neg_lo:[0,1] neg_hi:[0,1]
	v_mov_b32_e32 v7, v2
	v_pk_add_f32 v[2:3], v[8:9], v[6:7] neg_lo:[0,1] neg_hi:[0,1]
	v_add_f32_e32 v2, v2, v3
	v_add_f32_e32 v2, v5, v2
	v_mul_f32_e32 v3, v10, v2
	v_add_f32_e32 v2, v1, v3
	v_sub_f32_e32 v1, v2, v1
	v_sub_f32_e32 v1, v3, v1
	v_mul_f32_e32 v3, v2, v2
	v_fma_f32 v5, v2, v2, -v3
	v_add_f32_e32 v4, v1, v1
	v_fmac_f32_e32 v5, v2, v4
	v_add_f32_e32 v4, v3, v5
	v_mov_b32_e32 v6, 0x3e91f4c4
	v_fmac_f32_e32 v6, 0x3e76c4e1, v4
	v_mov_b32_e32 v7, 0x3ecccdef
	v_fmac_f32_e32 v7, v4, v6
	v_sub_f32_e32 v3, v4, v3
	v_sub_f32_e32 v12, v5, v3
	v_mul_f32_e32 v3, v4, v7
	v_fma_f32 v5, v4, v7, -v3
	v_fmac_f32_e32 v5, v12, v7
	v_add_f32_e32 v6, v3, v5
	v_add_f32_e32 v7, 0x3f2aaaaa, v6
	v_sub_f32_e32 v3, v6, v3
	v_sub_f32_e32 v3, v5, v3
	v_add_f32_e32 v5, 0xbf2aaaaa, v7
	v_add_f32_e32 v3, 0x31739010, v3
	v_sub_f32_e32 v5, v6, v5
	v_pk_mul_f32 v[8:9], v[2:3], v[4:5]
	v_fma_f32 v6, v4, v2, -v8
	v_pk_add_f32 v[10:11], v[2:3], v[4:5]
	v_fmac_f32_e32 v6, v4, v1
	v_mov_b32_e32 v9, v11
	v_fmac_f32_e32 v6, v12, v2
	v_pk_add_f32 v[4:5], v[8:9], v[6:7]
	v_sub_f32_e32 v3, v4, v8
	v_sub_f32_e32 v3, v6, v3
	;; [unrolled: 1-line block ×3, first 2 shown]
	v_add_f32_e32 v9, v11, v6
	v_mov_b32_e32 v6, v5
	v_pk_mul_f32 v[6:7], v[4:5], v[6:7]
	v_cvt_f64_f32_e32 v[10:11], v20
	v_frexp_exp_i32_f64_e32 v7, v[10:11]
	v_subbrev_co_u32_e64 v7, s[0:1], 0, v7, s[0:1]
	v_cvt_f32_i32_e32 v7, v7
	v_fma_f32 v8, v4, v5, -v6
	v_fmac_f32_e32 v8, v4, v9
	s_mov_b32 s0, 0x3f317218
	v_mul_f32_e32 v4, 0x3f317218, v7
	v_fmac_f32_e32 v8, v3, v5
	v_fma_f32 v10, v7, s0, -v4
	v_fmac_f32_e32 v10, 0xb102e308, v7
	v_ldexp_f32 v11, v2, 1
	v_add_f32_e32 v5, v6, v8
	v_pk_add_f32 v[2:3], v[4:5], v[10:11]
	v_mov_b32_e32 v12, v5
	v_mov_b32_e32 v13, v3
	;; [unrolled: 1-line block ×3, first 2 shown]
	v_pk_add_f32 v[6:7], v[12:13], v[6:7] neg_lo:[0,1] neg_hi:[0,1]
	v_mov_b32_e32 v9, v5
	v_ldexp_f32 v1, v1, 1
	v_pk_add_f32 v[6:7], v[8:9], v[6:7] neg_lo:[0,1] neg_hi:[0,1]
	v_add_f32_e32 v1, v1, v6
	v_add_f32_e32 v5, v1, v7
	v_pk_add_f32 v[6:7], v[2:3], v[4:5] neg_lo:[0,1] neg_hi:[0,1]
	v_pk_add_f32 v[8:9], v[2:3], v[4:5]
	v_mov_b32_e32 v12, v6
	v_mov_b32_e32 v13, v9
	v_mov_b32_e32 v11, v2
	v_pk_add_f32 v[12:13], v[10:11], v[12:13]
	v_mov_b32_e32 v4, v13
	v_pk_add_f32 v[14:15], v[4:5], v[2:3] neg_lo:[0,1] neg_hi:[0,1]
	v_mov_b32_e32 v1, v14
	v_mov_b32_e32 v12, v9
	;; [unrolled: 1-line block ×4, first 2 shown]
	v_pk_add_f32 v[6:7], v[10:11], v[6:7] neg_lo:[0,1] neg_hi:[0,1]
	v_pk_add_f32 v[16:17], v[8:9], v[0:1] neg_lo:[0,1] neg_hi:[0,1]
	v_pk_add_f32 v[2:3], v[12:13], v[2:3] neg_lo:[0,1] neg_hi:[0,1]
	v_mov_b32_e32 v10, v5
	v_pk_add_f32 v[2:3], v[10:11], v[2:3] neg_lo:[0,1] neg_hi:[0,1]
	v_mov_b32_e32 v16, v6
	v_pk_add_f32 v[8:9], v[16:17], v[2:3]
	v_mov_b32_e32 v10, v9
	v_pk_add_f32 v[10:11], v[8:9], v[10:11]
	v_pk_add_f32 v[4:5], v[4:5], v[10:11]
	v_mov_b32_e32 v7, v13
	v_mov_b32_e32 v9, v4
	v_pk_add_f32 v[12:13], v[8:9], v[6:7] neg_lo:[0,1] neg_hi:[0,1]
	v_mov_b32_e32 v3, v10
	v_sub_f32_e32 v1, v8, v12
	v_pk_add_f32 v[2:3], v[2:3], v[12:13] neg_lo:[0,1] neg_hi:[0,1]
	v_sub_f32_e32 v1, v6, v1
	v_add_f32_e32 v1, v2, v1
	v_add_f32_e32 v1, v1, v3
	;; [unrolled: 1-line block ×3, first 2 shown]
	v_sub_f32_e32 v3, v2, v4
	v_sub_f32_e32 v1, v1, v3
	v_mul_f32_e32 v3, v19, v2
	v_fma_f32 v2, v19, v2, -v3
	v_fmac_f32_e32 v2, v19, v1
	v_add_f32_e32 v1, v3, v2
	v_cmp_class_f32_e64 s[0:1], v3, s2
	v_sub_f32_e32 v4, v1, v3
	v_cndmask_b32_e64 v1, v1, v3, s[0:1]
	s_mov_b32 s10, 0x42b17218
	v_mov_b32_e32 v3, 0x37000000
	v_cmp_eq_f32_e64 s[0:1], s10, v1
	v_cndmask_b32_e64 v3, 0, v3, s[0:1]
	v_sub_f32_e32 v2, v2, v4
	v_sub_f32_e32 v4, v1, v3
	s_mov_b32 s0, 0x3fb8aa3b
	v_mul_f32_e32 v5, 0x3fb8aa3b, v4
	v_fma_f32 v6, v4, s0, -v5
	v_rndne_f32_e32 v7, v5
	v_fmac_f32_e32 v6, 0x32a5705f, v4
	v_sub_f32_e32 v5, v5, v7
	v_add_f32_e32 v5, v5, v6
	v_exp_f32_e32 v5, v5
	v_cvt_i32_f32_e32 v6, v7
	s_mov_b32 s3, 0x7f800000
	v_cmp_neq_f32_e64 s[0:1], |v1|, s3
	v_cndmask_b32_e64 v1, 0, v2, s[0:1]
	s_mov_b32 s0, 0xc2ce8ed0
	v_ldexp_f32 v2, v5, v6
	v_cmp_ngt_f32_e64 s[0:1], s0, v4
	v_add_f32_e32 v1, v3, v1
	v_cndmask_b32_e64 v2, 0, v2, s[0:1]
	v_mov_b32_e32 v3, 0x7f800000
	v_cmp_nlt_f32_e64 s[0:1], s10, v4
	v_cndmask_b32_e64 v2, v3, v2, s[0:1]
	v_fma_f32 v1, v2, v1, v2
	v_cmp_class_f32_e64 s[0:1], v2, s2
	v_trunc_f32_e32 v4, v19
	v_cndmask_b32_e64 v1, v1, v2, s[0:1]
	v_cndmask_b32_e64 v2, v18, 1.0, vcc
	v_cmp_eq_f32_e32 vcc, v4, v19
	v_mul_f32_e32 v4, 0.5, v19
	v_trunc_f32_e32 v6, v4
	v_cmp_neq_f32_e64 s[0:1], v6, v4
	s_and_b64 s[0:1], vcc, s[0:1]
	v_cndmask_b32_e64 v4, 1.0, v2, s[0:1]
	s_brev_b32 s18, -2
	v_mov_b32_e32 v5, 0x7fc00000
	v_bfi_b32 v1, s18, v1, v4
	v_cndmask_b32_e32 v4, v5, v1, vcc
	v_cmp_gt_f32_e32 vcc, 0, v2
	v_cndmask_b32_e32 v1, v1, v4, vcc
	v_cmp_eq_f32_e32 vcc, s3, v20
	v_cmp_eq_f32_e64 s[2:3], 0, v2
	v_cmp_gt_f32_e64 s[10:11], 0, v19
	s_xor_b64 s[10:11], s[10:11], s[2:3]
	v_cndmask_b32_e64 v3, v3, 0, s[10:11]
	v_cndmask_b32_e64 v4, 0, v2, s[0:1]
	v_bfi_b32 v3, s18, v3, v4
	s_or_b64 vcc, vcc, s[2:3]
	v_cndmask_b32_e32 v1, v1, v3, vcc
	v_cmp_o_f32_e32 vcc, v2, v2
	v_cndmask_b32_e32 v40, v5, v1, vcc
.LBB88_4:
	s_load_dwordx4 s[48:51], s[6:7], 0x70
	s_ashr_i32 s35, s34, 31
	s_ashr_i32 s0, s43, 31
	s_lshl_b32 s38, s8, 4
	v_bfe_u32 v37, v0, 10, 10
	s_waitcnt lgkmcnt(0)
	s_mul_i32 s1, s33, s50
	s_ashr_i32 s2, s1, 31
	s_add_u32 s1, s12, s1
	s_mul_i32 s3, s34, s49
	v_and_b32_e32 v30, 0x3ff, v0
	s_addc_u32 s2, s13, s2
	s_ashr_i32 s10, s3, 31
	v_lshlrev_b32_e32 v31, 1, v37
	s_add_u32 s1, s1, s3
	v_lshlrev_b32_e32 v1, 4, v30
	v_add_u32_e32 v33, s38, v31
	v_add_co_u32_e32 v10, vcc, s1, v1
	v_mul_hi_u32 v1, v33, s28
	v_or_b32_e32 v28, 1, v31
	s_addc_u32 s2, s2, s10
	v_add_u32_e32 v1, v33, v1
	v_add_u32_e32 v29, s38, v28
	v_mov_b32_e32 v2, s2
	v_lshrrev_b32_e32 v1, s29, v1
	v_mul_hi_u32 v7, v29, s28
	s_ashr_i32 s10, s48, 31
	v_addc_co_u32_e32 v11, vcc, 0, v2, vcc
	v_mul_lo_u32 v1, v1, s30
	v_mov_b32_e32 v2, s48
	v_add_u32_e32 v7, v29, v7
	v_sub_u32_e32 v1, v33, v1
	v_alignbit_b32 v6, s10, v2, 2
	v_lshrrev_b32_e32 v7, s29, v7
	v_mad_u64_u32 v[2:3], s[2:3], v6, v1, 0
	v_mul_lo_u32 v7, v7, s30
	v_mov_b32_e32 v4, v3
	s_lshr_b32 s1, s10, 2
	v_sub_u32_e32 v9, v29, v7
	v_mad_u64_u32 v[4:5], s[2:3], s1, v1, v[4:5]
	v_mad_u64_u32 v[6:7], s[2:3], v6, v9, 0
	v_mov_b32_e32 v3, v4
	v_mov_b32_e32 v8, v7
	v_lshlrev_b64 v[2:3], 2, v[2:3]
	v_mad_u64_u32 v[8:9], s[2:3], s1, v9, v[8:9]
	v_add_co_u32_e32 v2, vcc, v10, v2
	v_mov_b32_e32 v7, v8
	v_addc_co_u32_e32 v3, vcc, v11, v3, vcc
	v_lshlrev_b64 v[6:7], 2, v[6:7]
	v_add_co_u32_e32 v6, vcc, v10, v6
	global_load_dwordx4 v[2:5], v[2:3], off
	v_addc_co_u32_e32 v7, vcc, v11, v7, vcc
	global_load_dwordx4 v[6:9], v[6:7], off
	v_lshlrev_b32_e32 v10, 1, v30
	v_lshlrev_b32_e32 v11, 7, v37
	;; [unrolled: 1-line block ×3, first 2 shown]
	v_add_lshl_u32 v11, v11, v10, 2
	v_add_lshl_u32 v10, v12, v10, 2
	s_cmp_eq_u64 s[22:23], 0
	s_waitcnt vmcnt(1)
	v_pk_mul_f32 v[2:3], v[2:3], s[36:37] op_sel_hi:[1,0]
	v_pk_mul_f32 v[4:5], v[4:5], s[36:37] op_sel_hi:[1,0]
	v_cvt_f16_f32_e32 v12, v3
	s_waitcnt vmcnt(0)
	v_pk_mul_f32 v[6:7], v[6:7], s[36:37] op_sel_hi:[1,0]
	v_pk_mul_f32 v[8:9], v[8:9], s[36:37] op_sel_hi:[1,0]
	v_cvt_f16_f32_e32 v2, v2
	v_cvt_f16_f32_e32 v3, v5
	;; [unrolled: 1-line block ×7, first 2 shown]
	v_pack_b32_f16 v3, v4, v3
	v_pack_b32_f16 v2, v2, v12
	;; [unrolled: 1-line block ×4, first 2 shown]
	ds_write_b64 v11, v[2:3] offset:17408
	ds_write_b64 v10, v[4:5] offset:17408
	s_waitcnt lgkmcnt(0)
	s_barrier
	s_cbranch_scc1 .LBB88_6
; %bb.5:
	s_load_dword s1, s[6:7], 0xd0
	s_mov_b32 s3, 0
	s_waitcnt lgkmcnt(0)
	s_mul_i32 s1, s1, s33
	s_add_i32 s2, s1, s8
	s_lshl_b64 s[2:3], s[2:3], 2
	s_add_u32 s2, s22, s2
	s_addc_u32 s3, s23, s3
	s_load_dword s42, s[2:3], 0x0
.LBB88_6:
	s_nop 0
	s_load_dwordx2 s[2:3], s[6:7], 0x8c
	s_load_dwordx4 s[48:51], s[6:7], 0x98
	s_ashr_i32 s1, s33, 31
	s_ashr_i32 s43, s45, 1
	s_mul_i32 s13, s44, s46
	s_waitcnt lgkmcnt(0)
	s_ashr_i32 s22, s2, 2
	s_mul_i32 s2, s33, s49
	s_mul_hi_u32 s12, s33, s48
	s_add_i32 s2, s12, s2
	s_mul_i32 s12, s1, s48
	s_ashr_i32 s8, s50, 2
	s_add_i32 s2, s2, s12
	s_mul_i32 s12, s33, s48
	s_add_u32 s12, s14, s12
	s_addc_u32 s2, s15, s2
	s_sub_i32 s13, s47, s13
	s_xor_b32 s0, s35, s0
	s_add_i32 s14, s44, 1
	s_sub_i32 s15, s13, s46
	s_cmp_ge_u32 s13, s46
	s_cselect_b32 s14, s14, s44
	s_cselect_b32 s13, s15, s13
	s_add_i32 s15, s14, 1
	s_cmp_ge_u32 s13, s46
	s_cselect_b32 s13, s15, s14
	s_load_dwordx2 s[10:11], s[6:7], 0xa8
	s_xor_b32 s13, s13, s0
	s_sub_i32 s0, s13, s0
	s_mul_i32 s3, s0, s3
	s_ashr_i32 s13, s3, 31
	s_add_u32 s14, s12, s3
	s_addc_u32 s15, s2, s13
	s_waitcnt lgkmcnt(0)
	s_mul_i32 s2, s33, s11
	s_mul_hi_u32 s3, s33, s10
	s_add_i32 s2, s3, s2
	s_mul_i32 s1, s1, s10
	s_add_i32 s2, s2, s1
	s_mul_i32 s1, s33, s10
	s_add_u32 s1, s16, s1
	s_mul_i32 s0, s0, s51
	s_addc_u32 s2, s17, s2
	s_ashr_i32 s3, s0, 31
	s_add_u32 s36, s1, s0
	v_lshlrev_b32_e32 v32, 2, v30
	s_addc_u32 s37, s2, s3
	s_lshl_b32 s39, s9, 6
	s_sub_i32 s16, s42, 64
	s_mov_b32 s0, 0xfeffffff
	s_cmp_ge_i32 s39, s16
	v_mov_b32_e32 v7, 0
	v_mov_b32_e32 v38, 0
	v_mul_lo_u32 v43, v1, s43
	v_lshrrev_b32_e32 v1, 4, v30
	v_and_b32_e32 v2, 60, v32
	v_or_b32_e32 v41, 1, v33
	v_lshlrev_b32_e32 v34, 3, v30
	v_mbcnt_lo_u32_b32 v42, -1, 0
	s_cbranch_scc1 .LBB88_35
; %bb.7:
	v_add_u32_e32 v4, v1, v31
	v_lshlrev_b32_e32 v5, 2, v2
	s_movk_i32 s0, 0x110
	v_mad_u32_u24 v3, v4, s0, v5
	v_mul_lo_u32 v6, s22, v4
	s_lshl_b32 s0, s22, 4
	v_add_u32_e32 v10, s0, v6
	v_mov_b32_e32 v8, 0x4400
	v_add_u32_e32 v12, s0, v10
	v_lshl_add_u32 v48, v37, 9, v8
	s_cmp_lg_u64 s[40:41], 0
	v_mul_hi_u32 v8, s28, v41
	v_add_u32_e32 v14, s0, v12
	s_cselect_b64 s[2:3], -1, 0
	v_add_u32_e32 v8, v41, v8
	v_mul_lo_u32 v16, s8, v4
	s_lshl_b32 s0, s8, 4
	v_lshrrev_b32_e32 v8, s29, v8
	v_add_u32_e32 v18, s0, v16
	v_mul_lo_u32 v8, v8, s30
	v_add_u32_e32 v20, s0, v18
	s_add_u32 s10, s6, 0xd0
	v_sub_u32_e32 v8, v41, v8
	v_add_u32_e32 v22, s0, v20
	s_addc_u32 s11, s7, 0
	v_mov_b32_e32 v35, 0
	v_ashrrev_i32_e32 v7, 31, v6
	v_ashrrev_i32_e32 v11, 31, v10
	;; [unrolled: 1-line block ×4, first 2 shown]
	v_mul_lo_u32 v49, v8, s43
	v_mov_b32_e32 v8, 0x5400
	v_lshl_or_b32 v51, v4, 8, v5
	v_ashrrev_i32_e32 v17, 31, v16
	v_ashrrev_i32_e32 v19, 31, v18
	;; [unrolled: 1-line block ×4, first 2 shown]
	s_add_u32 s17, s40, 64
	v_mov_b32_e32 v4, 0xfeffffff
	v_add_u32_e32 v44, 0x1100, v3
	v_add_u32_e32 v45, 0x2200, v3
	v_add_u32_e32 v46, 0x3300, v3
	v_mul_u32_u24_e32 v47, 0x110, v30
	v_lshl_add_u32 v50, v37, 8, v8
	v_add_u32_e32 v52, 0x1000, v51
	v_add_u32_e32 v53, 0x2000, v51
	v_add_u32_e32 v54, 0x3000, v51
	s_mov_b32 s18, s19
	s_addc_u32 s23, s41, 0
	v_lshlrev_b64 v[8:9], 2, v[6:7]
	v_lshlrev_b32_e32 v55, 2, v2
	v_lshlrev_b64 v[10:11], 2, v[10:11]
	v_lshlrev_b64 v[12:13], 2, v[12:13]
	;; [unrolled: 1-line block ×3, first 2 shown]
	s_mov_b32 s44, 0x3f200000
	s_mov_b32 s45, 0x3fb8aa3b
	;; [unrolled: 1-line block ×4, first 2 shown]
	v_mov_b32_e32 v56, 0xbd5c1c4e
	v_mov_b32_e32 v57, 0x3e088382
	;; [unrolled: 1-line block ×3, first 2 shown]
	s_brev_b32 s48, -2
	v_mbcnt_hi_u32_b32 v59, -1, v42
	v_lshlrev_b64 v[16:17], 2, v[16:17]
	v_lshlrev_b64 v[18:19], 2, v[18:19]
	;; [unrolled: 1-line block ×4, first 2 shown]
	v_mov_b32_e32 v60, 0x7f800000
	v_mov_b32_e32 v36, 0
	;; [unrolled: 1-line block ×7, first 2 shown]
	s_branch .LBB88_11
.LBB88_8:                               ;   in Loop: Header=BB88_11 Depth=1
	s_or_b64 exec, exec, s[12:13]
	s_and_b64 vcc, exec, s[0:1]
	s_cbranch_vccnz .LBB88_32
; %bb.9:                                ;   in Loop: Header=BB88_11 Depth=1
	v_lshlrev_b64 v[26:27], 1, v[26:27]
	v_mov_b32_e32 v25, s23
	v_add_co_u32_e32 v26, vcc, s17, v26
	v_addc_co_u32_e32 v27, vcc, v25, v27, vcc
	flat_load_ushort v25, v[26:27]
	s_waitcnt vmcnt(0) lgkmcnt(0)
	v_cvt_f32_f16_e32 v25, v25
	v_mul_f32_e32 v25, v40, v25
.LBB88_10:                              ;   in Loop: Header=BB88_11 Depth=1
	v_bfi_b32 v27, s48, v67, v62
	v_bfi_b32 v26, s48, v73, v61
	v_pk_fma_f32 v[74:75], v[26:27], s[18:19], v[24:25]
	v_add_f32_e32 v24, 0x40051340, v74
	v_add_f32_e32 v25, 0x40051340, v75
	v_max3_f32 v24, v5, v24, v25
	ds_bpermute_b32 v25, v65, v24
	v_mov_b32_e32 v76, v4
	v_mov_b32_e32 v77, v5
	s_mul_hi_i32 s1, s39, s8
	s_mul_i32 s0, s39, s8
	s_waitcnt lgkmcnt(0)
	v_max_f32_e32 v4, v25, v25
	v_max_f32_e32 v5, v24, v4
	ds_bpermute_b32 v24, v70, v5
	v_max_f32_e32 v4, v72, v72
	v_max_f32_e32 v25, v71, v71
	;; [unrolled: 1-line block ×3, first 2 shown]
	v_sub_f32_e32 v61, v63, v4
	s_waitcnt lgkmcnt(0)
	v_max_f32_e32 v24, v24, v24
	v_max_f32_e32 v5, v5, v24
	ds_bpermute_b32 v24, v69, v5
	v_mul_f32_e32 v25, 0x3fb8aa3b, v61
	v_fma_f32 v26, v61, s45, -v25
	v_rndne_f32_e32 v27, v25
	v_fmac_f32_e32 v26, 0x32a5705f, v61
	s_waitcnt lgkmcnt(0)
	v_max_f32_e32 v24, v24, v24
	v_max_f32_e32 v5, v5, v24
	ds_bpermute_b32 v24, v68, v5
	v_sub_f32_e32 v25, v25, v27
	v_add_f32_e32 v25, v25, v26
	v_cvt_i32_f32_e32 v27, v27
	v_exp_f32_e32 v25, v25
	s_waitcnt lgkmcnt(0)
	v_max_f32_e32 v24, v24, v24
	v_max_f32_e32 v5, v5, v24
	ds_bpermute_b32 v24, v66, v5
	v_sub_f32_e32 v79, v64, v4
	v_ldexp_f32 v25, v25, v27
	v_cmp_ngt_f32_e32 vcc, s46, v61
	s_lshl_b64 s[0:1], s[0:1], 2
	s_waitcnt lgkmcnt(0)
	v_max_f32_e32 v24, v24, v24
	v_max_f32_e32 v5, v5, v24
	v_mul_f32_e32 v24, 0x3fb8aa3b, v79
	v_cndmask_b32_e32 v78, 0, v25, vcc
	v_fma_f32 v25, v79, s45, -v24
	v_rndne_f32_e32 v80, v24
	s_add_u32 s0, s36, s0
	v_fmac_f32_e32 v25, 0x32a5705f, v79
	v_sub_f32_e32 v24, v24, v80
	s_addc_u32 s1, s37, s1
	v_add_f32_e32 v81, v24, v25
	v_mov_b32_e32 v24, s1
	v_add_co_u32_e32 v25, vcc, s0, v16
	v_addc_co_u32_e32 v24, vcc, v24, v17, vcc
	v_add_co_u32_e32 v66, vcc, v25, v55
	v_addc_co_u32_e32 v67, vcc, 0, v24, vcc
	v_mov_b32_e32 v24, s1
	v_add_co_u32_e32 v25, vcc, s0, v18
	v_addc_co_u32_e32 v24, vcc, v24, v19, vcc
	v_add_co_u32_e32 v68, vcc, v25, v55
	v_addc_co_u32_e32 v69, vcc, 0, v24, vcc
	s_barrier
	global_load_dwordx4 v[24:27], v[66:67], off
	global_load_dwordx4 v[62:65], v[68:69], off
	v_mov_b32_e32 v66, s1
	v_add_co_u32_e32 v67, vcc, s0, v20
	v_addc_co_u32_e32 v68, vcc, v66, v21, vcc
	v_add_co_u32_e32 v66, vcc, v67, v55
	v_addc_co_u32_e32 v67, vcc, 0, v68, vcc
	v_mov_b32_e32 v68, s1
	v_add_co_u32_e32 v69, vcc, s0, v22
	v_addc_co_u32_e32 v68, vcc, v68, v23, vcc
	v_add_co_u32_e32 v70, vcc, v69, v55
	v_addc_co_u32_e32 v71, vcc, 0, v68, vcc
	global_load_dwordx4 v[66:69], v[66:67], off
	s_nop 0
	global_load_dwordx4 v[70:73], v[70:71], off
	v_exp_f32_e32 v81, v81
	v_cvt_i32_f32_e32 v80, v80
	v_cmp_nlt_f32_e32 vcc, s47, v61
	v_cndmask_b32_e32 v78, v60, v78, vcc
	v_cmp_ngt_f32_e32 vcc, s46, v79
	v_ldexp_f32 v80, v81, v80
	v_cndmask_b32_e32 v81, 0, v80, vcc
	v_mov_b32_e32 v80, v5
	v_pk_add_f32 v[74:75], v[74:75], v[80:81] op_sel_hi:[1,0] neg_lo:[0,1] neg_hi:[0,1]
	v_mul_f32_e32 v80, 0x3fb8aa3b, v75
	v_fma_f32 v82, v75, s45, -v80
	v_rndne_f32_e32 v83, v80
	v_fmac_f32_e32 v82, 0x32a5705f, v75
	v_sub_f32_e32 v80, v80, v83
	v_add_f32_e32 v80, v80, v82
	v_exp_f32_e32 v82, v80
	v_cvt_i32_f32_e32 v83, v83
	v_cmp_nlt_f32_e32 vcc, s47, v79
	v_cndmask_b32_e32 v80, v60, v81, vcc
	v_mul_f32_e32 v81, 0x3fb8aa3b, v74
	v_ldexp_f32 v79, v82, v83
	v_fma_f32 v82, v74, s45, -v81
	v_rndne_f32_e32 v83, v81
	v_fmac_f32_e32 v82, 0x32a5705f, v74
	v_sub_f32_e32 v81, v81, v83
	v_add_f32_e32 v81, v81, v82
	v_exp_f32_e32 v82, v81
	v_cvt_i32_f32_e32 v83, v83
	v_cmp_ngt_f32_e32 vcc, s46, v75
	v_pk_add_f32 v[76:77], v[76:77], v[4:5] neg_lo:[0,1] neg_hi:[0,1]
	v_cndmask_b32_e32 v79, 0, v79, vcc
	v_cmp_nlt_f32_e32 vcc, s47, v75
	v_cndmask_b32_e32 v81, v60, v79, vcc
	v_mul_f32_e32 v79, 0x3fb8aa3b, v77
	v_ldexp_f32 v75, v82, v83
	v_fma_f32 v82, v77, s45, -v79
	v_rndne_f32_e32 v83, v79
	v_fmac_f32_e32 v82, 0x32a5705f, v77
	v_sub_f32_e32 v79, v79, v83
	v_add_f32_e32 v79, v79, v82
	v_cmp_ngt_f32_e32 vcc, s46, v74
	v_exp_f32_e32 v82, v79
	v_cvt_i32_f32_e32 v83, v83
	v_cndmask_b32_e32 v75, 0, v75, vcc
	v_cmp_nlt_f32_e32 vcc, s47, v74
	v_cndmask_b32_e32 v79, v60, v75, vcc
	v_cvt_f16_f32_e32 v84, v80
	v_pk_add_f32 v[74:75], v[78:79], v[80:81]
	v_mul_f32_e32 v80, 0x3fb8aa3b, v76
	v_cvt_f16_f32_e32 v61, v78
	v_ldexp_f32 v78, v82, v83
	v_fma_f32 v82, v76, s45, -v80
	v_rndne_f32_e32 v83, v80
	v_fmac_f32_e32 v82, 0x32a5705f, v76
	v_sub_f32_e32 v80, v80, v83
	v_add_f32_e32 v80, v80, v82
	v_exp_f32_e32 v80, v80
	v_cvt_i32_f32_e32 v82, v83
	v_cmp_ngt_f32_e32 vcc, s46, v77
	v_cndmask_b32_e32 v78, 0, v78, vcc
	v_cmp_nlt_f32_e32 vcc, s47, v77
	v_cndmask_b32_e32 v77, v60, v78, vcc
	v_ldexp_f32 v78, v80, v82
	v_cmp_ngt_f32_e32 vcc, s46, v76
	v_cndmask_b32_e32 v78, 0, v78, vcc
	v_cmp_nlt_f32_e32 vcc, s47, v76
	v_cndmask_b32_e32 v76, v60, v78, vcc
	v_pk_fma_f32 v[6:7], v[6:7], v[76:77], v[74:75]
	v_cvt_f16_f32_e32 v74, v79
	v_cvt_f16_f32_e32 v75, v81
	v_cvt_f16_f32_e32 v78, v76
	v_add_u32_e32 v76, v50, v32
	v_pack_b32_f16 v61, v61, v74
	v_pack_b32_f16 v74, v84, v75
	ds_write2_b32 v76, v61, v74 offset1:32
	s_waitcnt vmcnt(3)
	ds_write_b128 v51, v[24:27]
	s_waitcnt vmcnt(2)
	ds_write_b128 v52, v[62:65]
	;; [unrolled: 2-line block ×4, first 2 shown]
	s_waitcnt lgkmcnt(0)
	s_barrier
	ds_read2_b64 v[24:27], v34 offset1:32
	ds_read_b128 v[62:65], v50
	v_cvt_f16_f32_e32 v79, v77
	ds_read_b128 v[66:69], v50 offset:16
	ds_read_b128 v[70:73], v50 offset:32
	;; [unrolled: 1-line block ×3, first 2 shown]
	s_waitcnt lgkmcnt(3)
	v_pk_mul_f16 v61, v24, v62 op_sel_hi:[1,0]
	v_pk_mul_f16 v24, v24, v62 op_sel:[0,1]
	v_pk_fma_f16 v24, v79, v36, v24 op_sel_hi:[0,1,1]
	v_pk_mul_f16 v36, v25, v62 op_sel_hi:[1,0]
	v_pk_mul_f16 v35, v79, v35 op_sel_hi:[0,1]
	v_pk_fma_f16 v38, v78, v38, v61 op_sel_hi:[0,1,1]
	v_pk_fma_f16 v36, v78, v39, v36 op_sel_hi:[0,1,1]
	ds_read2_b64 v[78:81], v34 offset0:64 offset1:96
	v_pk_fma_f16 v25, v25, v62, v35 op_sel:[0,1,0]
	v_pk_fma_f16 v35, v26, v63, v38 op_sel_hi:[1,0,1]
	v_pk_fma_f16 v24, v26, v63, v24 op_sel:[0,1,0]
	v_pk_fma_f16 v26, v27, v63, v36 op_sel_hi:[1,0,1]
	v_pk_fma_f16 v25, v27, v63, v25 op_sel:[0,1,0]
	s_waitcnt lgkmcnt(0)
	v_pk_fma_f16 v36, v78, v64, v24 op_sel:[0,1,0]
	v_pk_fma_f16 v38, v79, v64, v26 op_sel_hi:[1,0,1]
	v_pk_fma_f16 v39, v79, v64, v25 op_sel:[0,1,0]
	ds_read2_b64 v[24:27], v34 offset0:128 offset1:160
	v_pk_fma_f16 v35, v78, v64, v35 op_sel_hi:[1,0,1]
	v_pk_fma_f16 v35, v80, v65, v35 op_sel_hi:[1,0,1]
	v_pk_fma_f16 v36, v80, v65, v36 op_sel:[0,1,0]
	v_pk_fma_f16 v38, v81, v65, v38 op_sel_hi:[1,0,1]
	v_pk_fma_f16 v39, v81, v65, v39 op_sel:[0,1,0]
	ds_read2_b64 v[62:65], v34 offset0:192 offset1:224
	s_waitcnt lgkmcnt(1)
	v_pk_fma_f16 v35, v24, v66, v35 op_sel_hi:[1,0,1]
	v_pk_fma_f16 v24, v24, v66, v36 op_sel:[0,1,0]
	v_pk_fma_f16 v36, v25, v66, v38 op_sel_hi:[1,0,1]
	v_pk_fma_f16 v25, v25, v66, v39 op_sel:[0,1,0]
	;; [unrolled: 2-line block ×4, first 2 shown]
	v_add_u32_e32 v61, 0x800, v34
	s_waitcnt lgkmcnt(0)
	v_pk_fma_f16 v36, v62, v68, v24 op_sel:[0,1,0]
	v_pk_fma_f16 v38, v63, v68, v26 op_sel_hi:[1,0,1]
	v_pk_fma_f16 v39, v63, v68, v25 op_sel:[0,1,0]
	ds_read2_b64 v[24:27], v61 offset1:32
	v_pk_fma_f16 v35, v62, v68, v35 op_sel_hi:[1,0,1]
	v_pk_fma_f16 v35, v64, v69, v35 op_sel_hi:[1,0,1]
	v_pk_fma_f16 v36, v64, v69, v36 op_sel:[0,1,0]
	v_pk_fma_f16 v38, v65, v69, v38 op_sel_hi:[1,0,1]
	v_pk_fma_f16 v39, v65, v69, v39 op_sel:[0,1,0]
	ds_read2_b64 v[62:65], v61 offset0:64 offset1:96
	s_waitcnt lgkmcnt(1)
	v_pk_fma_f16 v35, v24, v70, v35 op_sel_hi:[1,0,1]
	v_pk_fma_f16 v24, v24, v70, v36 op_sel:[0,1,0]
	v_pk_fma_f16 v36, v25, v70, v38 op_sel_hi:[1,0,1]
	v_pk_fma_f16 v25, v25, v70, v39 op_sel:[0,1,0]
	;; [unrolled: 2-line block ×4, first 2 shown]
	s_waitcnt lgkmcnt(0)
	v_pk_fma_f16 v36, v62, v72, v24 op_sel:[0,1,0]
	v_pk_fma_f16 v38, v63, v72, v26 op_sel_hi:[1,0,1]
	v_pk_fma_f16 v39, v63, v72, v25 op_sel:[0,1,0]
	ds_read2_b64 v[24:27], v61 offset0:128 offset1:160
	v_pk_fma_f16 v35, v62, v72, v35 op_sel_hi:[1,0,1]
	v_pk_fma_f16 v35, v64, v73, v35 op_sel_hi:[1,0,1]
	v_pk_fma_f16 v36, v64, v73, v36 op_sel:[0,1,0]
	v_pk_fma_f16 v38, v65, v73, v38 op_sel_hi:[1,0,1]
	v_pk_fma_f16 v39, v65, v73, v39 op_sel:[0,1,0]
	ds_read2_b64 v[62:65], v61 offset0:192 offset1:224
	s_waitcnt lgkmcnt(1)
	v_pk_fma_f16 v35, v24, v74, v35 op_sel_hi:[1,0,1]
	v_pk_fma_f16 v24, v24, v74, v36 op_sel:[0,1,0]
	v_pk_fma_f16 v36, v25, v74, v38 op_sel_hi:[1,0,1]
	v_pk_fma_f16 v25, v25, v74, v39 op_sel:[0,1,0]
	;; [unrolled: 2-line block ×4, first 2 shown]
	s_waitcnt lgkmcnt(0)
	v_pk_fma_f16 v27, v62, v76, v35 op_sel_hi:[1,0,1]
	v_add_u32_e32 v61, 0x1000, v34
	v_pk_fma_f16 v35, v62, v76, v24 op_sel:[0,1,0]
	v_pk_fma_f16 v36, v63, v76, v26 op_sel_hi:[1,0,1]
	v_pk_fma_f16 v38, v63, v76, v25 op_sel:[0,1,0]
	v_pk_fma_f16 v39, v64, v77, v27 op_sel_hi:[1,0,1]
	ds_read2_b64 v[24:27], v61 offset1:32
	ds_read_b128 v[66:69], v50 offset:64
	ds_read2_b64 v[70:73], v61 offset0:64 offset1:96
	v_pk_fma_f16 v35, v64, v77, v35 op_sel:[0,1,0]
	v_pk_fma_f16 v36, v65, v77, v36 op_sel_hi:[1,0,1]
	v_pk_fma_f16 v38, v65, v77, v38 op_sel:[0,1,0]
	s_waitcnt lgkmcnt(1)
	v_pk_fma_f16 v39, v24, v66, v39 op_sel_hi:[1,0,1]
	v_pk_fma_f16 v24, v24, v66, v35 op_sel:[0,1,0]
	v_pk_fma_f16 v35, v25, v66, v36 op_sel_hi:[1,0,1]
	v_pk_fma_f16 v25, v25, v66, v38 op_sel:[0,1,0]
	v_pk_fma_f16 v36, v26, v67, v39 op_sel_hi:[1,0,1]
	v_pk_fma_f16 v24, v26, v67, v24 op_sel:[0,1,0]
	v_pk_fma_f16 v26, v27, v67, v35 op_sel_hi:[1,0,1]
	v_pk_fma_f16 v25, v27, v67, v25 op_sel:[0,1,0]
	ds_read_b128 v[62:65], v50 offset:80
	s_waitcnt lgkmcnt(1)
	v_pk_fma_f16 v35, v70, v68, v36 op_sel_hi:[1,0,1]
	v_pk_fma_f16 v36, v70, v68, v24 op_sel:[0,1,0]
	v_pk_fma_f16 v38, v71, v68, v26 op_sel_hi:[1,0,1]
	v_pk_fma_f16 v39, v71, v68, v25 op_sel:[0,1,0]
	ds_read2_b64 v[24:27], v61 offset0:128 offset1:160
	v_pk_fma_f16 v35, v72, v69, v35 op_sel_hi:[1,0,1]
	v_pk_fma_f16 v36, v72, v69, v36 op_sel:[0,1,0]
	v_pk_fma_f16 v38, v73, v69, v38 op_sel_hi:[1,0,1]
	v_pk_fma_f16 v39, v73, v69, v39 op_sel:[0,1,0]
	ds_read2_b64 v[66:69], v61 offset0:192 offset1:224
	s_waitcnt lgkmcnt(1)
	v_pk_fma_f16 v35, v24, v62, v35 op_sel_hi:[1,0,1]
	v_pk_fma_f16 v24, v24, v62, v36 op_sel:[0,1,0]
	v_pk_fma_f16 v36, v25, v62, v38 op_sel_hi:[1,0,1]
	v_pk_fma_f16 v25, v25, v62, v39 op_sel:[0,1,0]
	v_pk_fma_f16 v35, v26, v63, v35 op_sel_hi:[1,0,1]
	v_pk_fma_f16 v24, v26, v63, v24 op_sel:[0,1,0]
	v_pk_fma_f16 v26, v27, v63, v36 op_sel_hi:[1,0,1]
	v_pk_fma_f16 v25, v27, v63, v25 op_sel:[0,1,0]
	s_waitcnt lgkmcnt(0)
	v_pk_fma_f16 v27, v66, v64, v35 op_sel_hi:[1,0,1]
	v_add_u32_e32 v61, 0x1800, v34
	v_pk_fma_f16 v35, v66, v64, v24 op_sel:[0,1,0]
	v_pk_fma_f16 v36, v67, v64, v26 op_sel_hi:[1,0,1]
	v_pk_fma_f16 v38, v67, v64, v25 op_sel:[0,1,0]
	v_pk_fma_f16 v39, v68, v65, v27 op_sel_hi:[1,0,1]
	ds_read2_b64 v[24:27], v61 offset1:32
	ds_read_b128 v[70:73], v50 offset:96
	v_pk_fma_f16 v35, v68, v65, v35 op_sel:[0,1,0]
	v_pk_fma_f16 v36, v69, v65, v36 op_sel_hi:[1,0,1]
	v_pk_fma_f16 v38, v69, v65, v38 op_sel:[0,1,0]
	ds_read2_b64 v[66:69], v61 offset0:64 offset1:96
	s_waitcnt lgkmcnt(1)
	v_pk_fma_f16 v39, v24, v70, v39 op_sel_hi:[1,0,1]
	v_pk_fma_f16 v24, v24, v70, v35 op_sel:[0,1,0]
	v_pk_fma_f16 v35, v25, v70, v36 op_sel_hi:[1,0,1]
	v_pk_fma_f16 v25, v25, v70, v38 op_sel:[0,1,0]
	v_pk_fma_f16 v36, v26, v71, v39 op_sel_hi:[1,0,1]
	v_pk_fma_f16 v24, v26, v71, v24 op_sel:[0,1,0]
	v_pk_fma_f16 v26, v27, v71, v35 op_sel_hi:[1,0,1]
	v_pk_fma_f16 v25, v27, v71, v25 op_sel:[0,1,0]
	ds_read_b128 v[62:65], v50 offset:112
	s_waitcnt lgkmcnt(1)
	v_pk_fma_f16 v35, v66, v72, v36 op_sel_hi:[1,0,1]
	v_pk_fma_f16 v36, v66, v72, v24 op_sel:[0,1,0]
	v_pk_fma_f16 v38, v67, v72, v26 op_sel_hi:[1,0,1]
	v_pk_fma_f16 v39, v67, v72, v25 op_sel:[0,1,0]
	ds_read2_b64 v[24:27], v61 offset0:128 offset1:160
	v_pk_fma_f16 v35, v68, v73, v35 op_sel_hi:[1,0,1]
	v_pk_fma_f16 v36, v68, v73, v36 op_sel:[0,1,0]
	v_pk_fma_f16 v38, v69, v73, v38 op_sel_hi:[1,0,1]
	v_pk_fma_f16 v39, v69, v73, v39 op_sel:[0,1,0]
	ds_read2_b64 v[66:69], v61 offset0:192 offset1:224
	s_waitcnt lgkmcnt(1)
	v_pk_fma_f16 v35, v24, v62, v35 op_sel_hi:[1,0,1]
	v_pk_fma_f16 v24, v24, v62, v36 op_sel:[0,1,0]
	v_pk_fma_f16 v36, v25, v62, v38 op_sel_hi:[1,0,1]
	v_pk_fma_f16 v25, v25, v62, v39 op_sel:[0,1,0]
	v_pk_fma_f16 v35, v26, v63, v35 op_sel_hi:[1,0,1]
	v_pk_fma_f16 v24, v26, v63, v24 op_sel:[0,1,0]
	v_pk_fma_f16 v26, v27, v63, v36 op_sel_hi:[1,0,1]
	v_pk_fma_f16 v25, v27, v63, v25 op_sel:[0,1,0]
	s_waitcnt lgkmcnt(0)
	v_pk_fma_f16 v27, v66, v64, v35 op_sel_hi:[1,0,1]
	v_add_u32_e32 v61, 0x2000, v34
	v_pk_fma_f16 v35, v66, v64, v24 op_sel:[0,1,0]
	v_pk_fma_f16 v36, v67, v64, v26 op_sel_hi:[1,0,1]
	v_pk_fma_f16 v38, v67, v64, v25 op_sel:[0,1,0]
	v_pk_fma_f16 v39, v68, v65, v27 op_sel_hi:[1,0,1]
	ds_read2_b64 v[24:27], v61 offset1:32
	ds_read_b128 v[70:73], v50 offset:128
	v_pk_fma_f16 v35, v68, v65, v35 op_sel:[0,1,0]
	v_pk_fma_f16 v36, v69, v65, v36 op_sel_hi:[1,0,1]
	v_pk_fma_f16 v38, v69, v65, v38 op_sel:[0,1,0]
	ds_read2_b64 v[66:69], v61 offset0:64 offset1:96
	;; [unrolled: 43-line block ×5, first 2 shown]
	s_waitcnt lgkmcnt(1)
	v_pk_fma_f16 v39, v24, v70, v39 op_sel_hi:[1,0,1]
	v_pk_fma_f16 v24, v24, v70, v35 op_sel:[0,1,0]
	v_pk_fma_f16 v35, v25, v70, v36 op_sel_hi:[1,0,1]
	v_pk_fma_f16 v25, v25, v70, v38 op_sel:[0,1,0]
	;; [unrolled: 2-line block ×4, first 2 shown]
	ds_read_b128 v[62:65], v50 offset:240
	s_waitcnt lgkmcnt(1)
	v_pk_fma_f16 v35, v66, v72, v36 op_sel_hi:[1,0,1]
	v_pk_fma_f16 v36, v66, v72, v24 op_sel:[0,1,0]
	v_pk_fma_f16 v38, v67, v72, v26 op_sel_hi:[1,0,1]
	v_pk_fma_f16 v39, v67, v72, v25 op_sel:[0,1,0]
	ds_read2_b64 v[24:27], v61 offset0:128 offset1:160
	v_pk_fma_f16 v35, v68, v73, v35 op_sel_hi:[1,0,1]
	v_pk_fma_f16 v36, v68, v73, v36 op_sel:[0,1,0]
	v_pk_fma_f16 v38, v69, v73, v38 op_sel_hi:[1,0,1]
	v_pk_fma_f16 v39, v69, v73, v39 op_sel:[0,1,0]
	ds_read2_b64 v[66:69], v61 offset0:192 offset1:224
	s_waitcnt lgkmcnt(0)
	s_barrier
	s_load_dword s0, s[10:11], 0x4
	v_pk_fma_f16 v35, v24, v62, v35 op_sel_hi:[1,0,1]
	v_pk_fma_f16 v24, v24, v62, v36 op_sel:[0,1,0]
	v_pk_fma_f16 v36, v25, v62, v38 op_sel_hi:[1,0,1]
	v_pk_fma_f16 v25, v25, v62, v39 op_sel:[0,1,0]
	;; [unrolled: 2-line block ×4, first 2 shown]
	s_waitcnt lgkmcnt(0)
	s_lshl_b32 s0, s0, 6
	v_pk_fma_f16 v27, v66, v64, v35 op_sel_hi:[1,0,1]
	v_pk_fma_f16 v24, v66, v64, v24 op_sel:[0,1,0]
	v_pk_fma_f16 v26, v67, v64, v26 op_sel_hi:[1,0,1]
	v_pk_fma_f16 v25, v67, v64, v25 op_sel:[0,1,0]
	s_add_i32 s39, s0, s39
	v_pk_fma_f16 v38, v68, v65, v27 op_sel_hi:[1,0,1]
	v_pk_fma_f16 v36, v68, v65, v24 op_sel:[0,1,0]
	v_pk_fma_f16 v39, v69, v65, v26 op_sel_hi:[1,0,1]
	s_cmp_lt_i32 s39, s16
	v_pk_fma_f16 v35, v69, v65, v25 op_sel:[0,1,0]
	s_cbranch_scc0 .LBB88_36
.LBB88_11:                              ; =>This Inner Loop Header: Depth=1
	s_mul_hi_i32 s1, s39, s22
	s_mul_i32 s0, s39, s22
	s_lshl_b64 s[0:1], s[0:1], 2
	s_add_u32 s0, s14, s0
	s_addc_u32 s1, s15, s1
	v_mov_b32_e32 v24, s1
	v_add_co_u32_e32 v25, vcc, s0, v8
	v_addc_co_u32_e32 v26, vcc, v24, v9, vcc
	v_add_co_u32_e32 v24, vcc, v25, v55
	v_addc_co_u32_e32 v25, vcc, 0, v26, vcc
	v_mov_b32_e32 v26, s1
	v_add_co_u32_e32 v27, vcc, s0, v10
	v_addc_co_u32_e32 v61, vcc, v26, v11, vcc
	v_add_co_u32_e32 v26, vcc, v27, v55
	v_addc_co_u32_e32 v27, vcc, 0, v61, vcc
	global_load_dwordx4 v[62:65], v[24:25], off
	global_load_dwordx4 v[66:69], v[26:27], off
	v_mov_b32_e32 v24, s1
	v_add_co_u32_e32 v25, vcc, s0, v12
	v_addc_co_u32_e32 v26, vcc, v24, v13, vcc
	v_add_co_u32_e32 v24, vcc, v25, v55
	v_addc_co_u32_e32 v25, vcc, 0, v26, vcc
	v_mov_b32_e32 v26, s1
	v_add_co_u32_e32 v27, vcc, s0, v14
	v_addc_co_u32_e32 v61, vcc, v26, v15, vcc
	v_add_co_u32_e32 v26, vcc, v27, v55
	v_addc_co_u32_e32 v27, vcc, 0, v61, vcc
	global_load_dwordx4 v[70:73], v[24:25], off
	global_load_dwordx4 v[74:77], v[26:27], off
	v_mov_b32_e32 v26, 0
	v_mov_b32_e32 v61, 0
	;; [unrolled: 1-line block ×3, first 2 shown]
	s_waitcnt vmcnt(3)
	ds_write_b128 v3, v[62:65]
	s_waitcnt vmcnt(2)
	ds_write_b128 v44, v[66:69]
	;; [unrolled: 2-line block ×4, first 2 shown]
	s_waitcnt lgkmcnt(0)
	s_barrier
	ds_read_b128 v[64:67], v48
	ds_read_b128 v[68:71], v47
	ds_read_b128 v[72:75], v47 offset:8704
	ds_read_b128 v[76:79], v48 offset:256
	s_waitcnt lgkmcnt(2)
	;;#ASMSTART
	v_dot2_f32_f16 v26, v68, v64, v26
	;;#ASMEND
	;;#ASMSTART
	v_dot2_f32_f16 v26, v69, v65, v26
	;;#ASMEND
	;; [unrolled: 3-line block ×4, first 2 shown]
	s_waitcnt lgkmcnt(0)
	;;#ASMSTART
	v_dot2_f32_f16 v61, v68, v76, v61
	;;#ASMEND
	;;#ASMSTART
	v_dot2_f32_f16 v61, v69, v77, v61
	;;#ASMEND
	;; [unrolled: 3-line block ×6, first 2 shown]
	v_mov_b32_e32 v62, 0
	;;#ASMSTART
	v_dot2_f32_f16 v27, v74, v66, v27
	;;#ASMEND
	;;#ASMSTART
	v_dot2_f32_f16 v27, v75, v67, v27
	;;#ASMEND
	;;#ASMSTART
	v_dot2_f32_f16 v62, v72, v76, v62
	;;#ASMEND
	;;#ASMSTART
	v_dot2_f32_f16 v62, v73, v77, v62
	;;#ASMEND
	;;#ASMSTART
	v_dot2_f32_f16 v62, v74, v78, v62
	;;#ASMEND
	;;#ASMSTART
	v_dot2_f32_f16 v62, v75, v79, v62
	;;#ASMEND
	ds_read_b128 v[64:67], v48 offset:16
	ds_read_b128 v[68:71], v47 offset:16
	ds_read_b128 v[72:75], v47 offset:8720
	ds_read_b128 v[76:79], v48 offset:272
	s_waitcnt lgkmcnt(2)
	;;#ASMSTART
	v_dot2_f32_f16 v26, v68, v64, v26
	;;#ASMEND
	;;#ASMSTART
	v_dot2_f32_f16 v26, v69, v65, v26
	;;#ASMEND
	;;#ASMSTART
	v_dot2_f32_f16 v26, v70, v66, v26
	;;#ASMEND
	;;#ASMSTART
	v_dot2_f32_f16 v26, v71, v67, v26
	;;#ASMEND
	s_waitcnt lgkmcnt(0)
	;;#ASMSTART
	v_dot2_f32_f16 v61, v68, v76, v61
	;;#ASMEND
	;;#ASMSTART
	v_dot2_f32_f16 v61, v69, v77, v61
	;;#ASMEND
	;;#ASMSTART
	v_dot2_f32_f16 v61, v70, v78, v61
	;;#ASMEND
	;;#ASMSTART
	v_dot2_f32_f16 v61, v71, v79, v61
	;;#ASMEND
	;;#ASMSTART
	v_dot2_f32_f16 v27, v72, v64, v27
	;;#ASMEND
	;;#ASMSTART
	v_dot2_f32_f16 v27, v73, v65, v27
	;;#ASMEND
	;;#ASMSTART
	v_dot2_f32_f16 v27, v74, v66, v27
	;;#ASMEND
	;;#ASMSTART
	v_dot2_f32_f16 v27, v75, v67, v27
	;;#ASMEND
	;;#ASMSTART
	v_dot2_f32_f16 v62, v72, v76, v62
	;;#ASMEND
	;;#ASMSTART
	v_dot2_f32_f16 v62, v73, v77, v62
	;;#ASMEND
	;;#ASMSTART
	v_dot2_f32_f16 v62, v74, v78, v62
	;;#ASMEND
	;;#ASMSTART
	v_dot2_f32_f16 v62, v75, v79, v62
	;;#ASMEND
	ds_read_b128 v[64:67], v48 offset:32
	ds_read_b128 v[68:71], v47 offset:32
	ds_read_b128 v[72:75], v47 offset:8736
	ds_read_b128 v[76:79], v48 offset:288
	s_waitcnt lgkmcnt(2)
	;;#ASMSTART
	v_dot2_f32_f16 v26, v68, v64, v26
	;;#ASMEND
	;;#ASMSTART
	v_dot2_f32_f16 v26, v69, v65, v26
	;;#ASMEND
	;;#ASMSTART
	v_dot2_f32_f16 v26, v70, v66, v26
	;;#ASMEND
	;;#ASMSTART
	v_dot2_f32_f16 v26, v71, v67, v26
	;;#ASMEND
	s_waitcnt lgkmcnt(0)
	;;#ASMSTART
	v_dot2_f32_f16 v61, v68, v76, v61
	;;#ASMEND
	;;#ASMSTART
	v_dot2_f32_f16 v61, v69, v77, v61
	;;#ASMEND
	;;#ASMSTART
	v_dot2_f32_f16 v61, v70, v78, v61
	;;#ASMEND
	;;#ASMSTART
	v_dot2_f32_f16 v61, v71, v79, v61
	;;#ASMEND
	;;#ASMSTART
	v_dot2_f32_f16 v27, v72, v64, v27
	;;#ASMEND
	;;#ASMSTART
	v_dot2_f32_f16 v27, v73, v65, v27
	;;#ASMEND
	;; [unrolled: 54-line block ×15, first 2 shown]
	;;#ASMSTART
	v_dot2_f32_f16 v27, v74, v66, v27
	;;#ASMEND
	;;#ASMSTART
	v_dot2_f32_f16 v27, v75, v67, v27
	;;#ASMEND
	;; [unrolled: 3-line block ×5, first 2 shown]
	v_cmp_nlt_f32_e64 s[0:1], |v26|, s44
	;;#ASMSTART
	v_dot2_f32_f16 v62, v75, v79, v62
	;;#ASMEND
                                        ; implicit-def: $vgpr65
	s_and_saveexec_b64 s[12:13], s[0:1]
	s_xor_b64 s[0:1], exec, s[12:13]
	s_cbranch_execz .LBB88_13
; %bb.12:                               ;   in Loop: Header=BB88_11 Depth=1
	v_add_f32_e64 v24, |v26|, |v26|
	v_mul_f32_e32 v25, 0x3fb8aa3b, v24
	v_rndne_f32_e32 v63, v25
	v_sub_f32_e32 v64, v25, v63
	v_fma_f32 v25, v24, s45, -v25
	v_fmac_f32_e32 v25, 0x32a5705f, v24
	v_add_f32_e32 v25, v64, v25
	v_cvt_i32_f32_e32 v63, v63
	v_exp_f32_e32 v25, v25
	v_cmp_ngt_f32_e32 vcc, s46, v24
	v_ldexp_f32 v25, v25, v63
	v_cndmask_b32_e32 v25, 0, v25, vcc
	v_cmp_nlt_f32_e32 vcc, s47, v24
	v_cndmask_b32_e32 v24, v60, v25, vcc
	v_add_f32_e32 v24, 1.0, v24
	v_rcp_f32_e32 v24, v24
	v_fma_f32 v65, v24, -2.0, 1.0
.LBB88_13:                              ;   in Loop: Header=BB88_11 Depth=1
	s_andn2_saveexec_b64 s[0:1], s[0:1]
; %bb.14:                               ;   in Loop: Header=BB88_11 Depth=1
	v_mul_f32_e32 v24, v26, v26
	v_mov_b32_e32 v25, 0x3ca908c9
	v_fmac_f32_e32 v25, 0xbbbac73d, v24
	v_fma_f32 v25, v24, v25, v56
	v_fma_f32 v25, v24, v25, v57
	;; [unrolled: 1-line block ×3, first 2 shown]
	v_mul_f32_e64 v25, |v26|, v25
	v_fma_f32 v65, v24, v25, |v26|
; %bb.15:                               ;   in Loop: Header=BB88_11 Depth=1
	s_or_b64 exec, exec, s[0:1]
	v_add_u32_e32 v67, s39, v30
	v_add_u32_e32 v24, v67, v43
	v_cndmask_b32_e64 v25, 0, 1, s[2:3]
	v_cmp_ne_u32_e64 s[0:1], 1, v25
	s_andn2_b64 vcc, exec, s[2:3]
	v_ashrrev_i32_e32 v25, 31, v24
	s_cbranch_vccnz .LBB88_33
; %bb.16:                               ;   in Loop: Header=BB88_11 Depth=1
	v_lshlrev_b64 v[68:69], 1, v[24:25]
	v_mov_b32_e32 v63, s41
	v_add_co_u32_e32 v68, vcc, s40, v68
	v_addc_co_u32_e32 v69, vcc, v63, v69, vcc
	flat_load_ushort v63, v[68:69]
	s_waitcnt vmcnt(0) lgkmcnt(0)
	v_cvt_f32_f16_e32 v63, v63
	v_mul_f32_e32 v63, v40, v63
	v_cmp_nlt_f32_e64 s[12:13], |v27|, s44
                                        ; implicit-def: $vgpr66
	s_and_saveexec_b64 s[50:51], s[12:13]
	s_xor_b64 s[12:13], exec, s[50:51]
	s_cbranch_execz .LBB88_18
.LBB88_17:                              ;   in Loop: Header=BB88_11 Depth=1
	v_add_f32_e64 v64, |v27|, |v27|
	v_mul_f32_e32 v66, 0x3fb8aa3b, v64
	v_rndne_f32_e32 v68, v66
	v_sub_f32_e32 v69, v66, v68
	v_fma_f32 v66, v64, s45, -v66
	v_fmac_f32_e32 v66, 0x32a5705f, v64
	v_add_f32_e32 v66, v69, v66
	v_cvt_i32_f32_e32 v68, v68
	v_exp_f32_e32 v66, v66
	v_cmp_ngt_f32_e32 vcc, s46, v64
	v_ldexp_f32 v66, v66, v68
	v_cndmask_b32_e32 v66, 0, v66, vcc
	v_cmp_nlt_f32_e32 vcc, s47, v64
	v_cndmask_b32_e32 v64, v60, v66, vcc
	v_add_f32_e32 v64, 1.0, v64
	v_rcp_f32_e32 v64, v64
	v_fma_f32 v66, v64, -2.0, 1.0
.LBB88_18:                              ;   in Loop: Header=BB88_11 Depth=1
	s_andn2_saveexec_b64 s[12:13], s[12:13]
	s_cbranch_execz .LBB88_21
; %bb.19:                               ;   in Loop: Header=BB88_11 Depth=1
	v_mul_f32_e32 v64, v27, v27
	v_mov_b32_e32 v66, 0x3ca908c9
	v_fmac_f32_e32 v66, 0xbbbac73d, v64
	v_fma_f32 v66, v64, v66, v56
	v_fma_f32 v66, v64, v66, v57
	v_fma_f32 v66, v64, v66, v58
	v_mul_f32_e64 v66, |v27|, v66
	v_fma_f32 v66, v64, v66, |v27|
	s_or_b64 exec, exec, s[12:13]
	s_and_b64 vcc, exec, s[0:1]
	s_cbranch_vccz .LBB88_22
.LBB88_20:                              ;   in Loop: Header=BB88_11 Depth=1
	v_mov_b32_e32 v64, 0
	s_branch .LBB88_23
.LBB88_21:                              ;   in Loop: Header=BB88_11 Depth=1
	s_or_b64 exec, exec, s[12:13]
	s_and_b64 vcc, exec, s[0:1]
	s_cbranch_vccnz .LBB88_20
.LBB88_22:                              ;   in Loop: Header=BB88_11 Depth=1
	v_lshlrev_b64 v[24:25], 1, v[24:25]
	v_mov_b32_e32 v64, s23
	v_add_co_u32_e32 v24, vcc, s17, v24
	v_addc_co_u32_e32 v25, vcc, v64, v25, vcc
	flat_load_ushort v24, v[24:25]
	s_waitcnt vmcnt(0) lgkmcnt(0)
	v_cvt_f32_f16_e32 v24, v24
	v_mul_f32_e32 v64, v40, v24
.LBB88_23:                              ;   in Loop: Header=BB88_11 Depth=1
	v_bfi_b32 v25, s48, v65, v26
	v_and_b32_e32 v26, 0x60, v59
	v_bfi_b32 v24, s48, v66, v27
	v_add_u32_e32 v26, 32, v26
	v_xor_b32_e32 v27, 16, v59
	v_fmac_f32_e32 v63, s19, v25
	v_cmp_lt_i32_e32 vcc, v27, v26
	v_fmac_f32_e32 v64, s19, v24
	v_add_f32_e32 v25, 0x40051340, v63
	v_cndmask_b32_e32 v27, v59, v27, vcc
	v_add_f32_e32 v24, 0x40051340, v64
	v_lshlrev_b32_e32 v65, 2, v27
	v_max3_f32 v24, v4, v25, v24
	ds_bpermute_b32 v25, v65, v24
	v_xor_b32_e32 v27, 8, v59
	v_cmp_lt_i32_e32 vcc, v27, v26
	v_cndmask_b32_e32 v27, v59, v27, vcc
	v_lshlrev_b32_e32 v70, 2, v27
	s_waitcnt lgkmcnt(0)
	v_max_f32_e32 v25, v25, v25
	v_max_f32_e32 v24, v24, v25
	ds_bpermute_b32 v25, v70, v24
	v_xor_b32_e32 v27, 4, v59
	v_cmp_lt_i32_e32 vcc, v27, v26
	v_cndmask_b32_e32 v27, v59, v27, vcc
	v_lshlrev_b32_e32 v69, 2, v27
	s_waitcnt lgkmcnt(0)
	v_max_f32_e32 v25, v25, v25
	v_max_f32_e32 v24, v24, v25
	;; [unrolled: 8-line block ×4, first 2 shown]
	ds_bpermute_b32 v72, v66, v71
	v_cmp_nlt_f32_e64 s[12:13], |v61|, s44
                                        ; implicit-def: $vgpr73
	s_and_saveexec_b64 s[50:51], s[12:13]
	s_xor_b64 s[12:13], exec, s[50:51]
	s_cbranch_execz .LBB88_25
; %bb.24:                               ;   in Loop: Header=BB88_11 Depth=1
	v_add_f32_e64 v24, |v61|, |v61|
	v_mul_f32_e32 v25, 0x3fb8aa3b, v24
	v_rndne_f32_e32 v26, v25
	v_sub_f32_e32 v27, v25, v26
	v_fma_f32 v25, v24, s45, -v25
	v_fmac_f32_e32 v25, 0x32a5705f, v24
	v_add_f32_e32 v25, v27, v25
	v_cvt_i32_f32_e32 v26, v26
	v_exp_f32_e32 v25, v25
	v_cmp_ngt_f32_e32 vcc, s46, v24
	v_ldexp_f32 v25, v25, v26
	v_cndmask_b32_e32 v25, 0, v25, vcc
	v_cmp_nlt_f32_e32 vcc, s47, v24
	v_cndmask_b32_e32 v24, v60, v25, vcc
	v_add_f32_e32 v24, 1.0, v24
	v_rcp_f32_e32 v24, v24
	v_fma_f32 v73, v24, -2.0, 1.0
.LBB88_25:                              ;   in Loop: Header=BB88_11 Depth=1
	s_andn2_saveexec_b64 s[12:13], s[12:13]
; %bb.26:                               ;   in Loop: Header=BB88_11 Depth=1
	v_mul_f32_e32 v24, v61, v61
	v_mov_b32_e32 v25, 0x3ca908c9
	v_fmac_f32_e32 v25, 0xbbbac73d, v24
	v_fma_f32 v25, v24, v25, v56
	v_fma_f32 v25, v24, v25, v57
	;; [unrolled: 1-line block ×3, first 2 shown]
	v_mul_f32_e64 v25, |v61|, v25
	v_fma_f32 v73, v24, v25, |v61|
; %bb.27:                               ;   in Loop: Header=BB88_11 Depth=1
	s_or_b64 exec, exec, s[12:13]
	v_add_u32_e32 v26, v67, v49
	s_and_b64 vcc, exec, s[0:1]
	v_ashrrev_i32_e32 v27, 31, v26
	s_cbranch_vccnz .LBB88_34
; %bb.28:                               ;   in Loop: Header=BB88_11 Depth=1
	v_lshlrev_b64 v[24:25], 1, v[26:27]
	v_mov_b32_e32 v67, s41
	v_add_co_u32_e32 v24, vcc, s40, v24
	v_addc_co_u32_e32 v25, vcc, v67, v25, vcc
	flat_load_ushort v24, v[24:25]
	s_waitcnt vmcnt(0) lgkmcnt(0)
	v_cvt_f32_f16_e32 v24, v24
	v_mul_f32_e32 v24, v40, v24
	v_cmp_nlt_f32_e64 s[12:13], |v62|, s44
                                        ; implicit-def: $vgpr67
	s_and_saveexec_b64 s[50:51], s[12:13]
	s_xor_b64 s[12:13], exec, s[50:51]
	s_cbranch_execz .LBB88_30
.LBB88_29:                              ;   in Loop: Header=BB88_11 Depth=1
	v_add_f32_e64 v25, |v62|, |v62|
	v_mul_f32_e32 v67, 0x3fb8aa3b, v25
	v_rndne_f32_e32 v74, v67
	v_sub_f32_e32 v75, v67, v74
	v_fma_f32 v67, v25, s45, -v67
	v_fmac_f32_e32 v67, 0x32a5705f, v25
	v_add_f32_e32 v67, v75, v67
	v_cvt_i32_f32_e32 v74, v74
	v_exp_f32_e32 v67, v67
	v_cmp_ngt_f32_e32 vcc, s46, v25
	v_ldexp_f32 v67, v67, v74
	v_cndmask_b32_e32 v67, 0, v67, vcc
	v_cmp_nlt_f32_e32 vcc, s47, v25
	v_cndmask_b32_e32 v25, v60, v67, vcc
	v_add_f32_e32 v25, 1.0, v25
	v_rcp_f32_e32 v25, v25
	v_fma_f32 v67, v25, -2.0, 1.0
.LBB88_30:                              ;   in Loop: Header=BB88_11 Depth=1
	s_andn2_saveexec_b64 s[12:13], s[12:13]
	s_cbranch_execz .LBB88_8
; %bb.31:                               ;   in Loop: Header=BB88_11 Depth=1
	v_mul_f32_e32 v25, v62, v62
	v_mov_b32_e32 v67, 0x3ca908c9
	v_fmac_f32_e32 v67, 0xbbbac73d, v25
	v_fma_f32 v67, v25, v67, v56
	v_fma_f32 v67, v25, v67, v57
	;; [unrolled: 1-line block ×3, first 2 shown]
	v_mul_f32_e64 v67, |v62|, v67
	v_fma_f32 v67, v25, v67, |v62|
	s_branch .LBB88_8
.LBB88_32:                              ;   in Loop: Header=BB88_11 Depth=1
	v_mov_b32_e32 v25, 0
	s_branch .LBB88_10
.LBB88_33:                              ;   in Loop: Header=BB88_11 Depth=1
	v_mov_b32_e32 v63, 0
	v_cmp_nlt_f32_e64 s[12:13], |v27|, s44
                                        ; implicit-def: $vgpr66
	s_and_saveexec_b64 s[50:51], s[12:13]
	s_xor_b64 s[12:13], exec, s[50:51]
	s_cbranch_execz .LBB88_18
	s_branch .LBB88_17
.LBB88_34:                              ;   in Loop: Header=BB88_11 Depth=1
	v_mov_b32_e32 v24, 0
	v_cmp_nlt_f32_e64 s[12:13], |v62|, s44
                                        ; implicit-def: $vgpr67
	s_and_saveexec_b64 s[50:51], s[12:13]
	s_xor_b64 s[12:13], exec, s[50:51]
	s_cbranch_execz .LBB88_30
	s_branch .LBB88_29
.LBB88_35:
	s_mov_b32 s1, s0
	v_pk_mov_b32 v[4:5], s[0:1], s[0:1] op_sel:[0,1]
	v_mov_b32_e32 v6, v7
	v_mov_b32_e32 v39, 0
	;; [unrolled: 1-line block ×4, first 2 shown]
.LBB88_36:
	s_cmp_gt_i32 s42, s39
	s_cbranch_scc1 .LBB88_38
; %bb.37:
	v_mbcnt_hi_u32_b32 v16, -1, v42
	v_and_b32_e32 v3, 0x60, v16
	v_add_u32_e32 v17, 32, v3
	v_xor_b32_e32 v18, 16, v16
	v_xor_b32_e32 v19, 8, v16
	;; [unrolled: 1-line block ×5, first 2 shown]
	s_cbranch_execz .LBB88_39
	s_branch .LBB88_76
.LBB88_38:
                                        ; implicit-def: $vgpr16
                                        ; implicit-def: $vgpr17
                                        ; implicit-def: $vgpr18
                                        ; implicit-def: $vgpr19
                                        ; implicit-def: $vgpr20
                                        ; implicit-def: $vgpr21
                                        ; implicit-def: $vgpr22
.LBB88_39:
	s_load_dwordx2 s[0:1], s[4:5], 0x4
	v_bfe_u32 v0, v0, 20, 10
	s_mul_hi_i32 s3, s39, s22
	s_mul_i32 s2, s39, s22
	v_add_u32_e32 v12, v1, v31
	s_waitcnt lgkmcnt(0)
	s_lshr_b32 s0, s0, 16
	s_mul_i32 s0, s0, s1
	v_mul_u32_u24_e32 v3, s1, v37
	v_mul_lo_u32 v8, s0, v30
	v_add3_u32 v0, v8, v3, v0
	s_sub_i32 s18, s42, s39
	v_lshlrev_b32_e32 v10, 4, v0
	s_lshl_b64 s[0:1], s[2:3], 2
	v_mul_lo_u32 v0, s22, v12
	s_add_u32 s10, s14, s0
	v_ashrrev_i32_e32 v1, 31, v0
	s_addc_u32 s11, s15, s1
	v_lshlrev_b64 v[8:9], 2, v[0:1]
	v_lshlrev_b32_e32 v11, 2, v2
	v_mov_b32_e32 v1, s11
	v_add_co_u32_e32 v2, vcc, s10, v8
	v_addc_co_u32_e32 v1, vcc, v1, v9, vcc
	s_mov_b64 s[0:1], src_shared_base
	v_add_co_u32_e32 v2, vcc, v2, v11
	v_add_u32_e32 v20, 0x5c00, v10
	v_mov_b32_e32 v3, 0
	v_addc_co_u32_e32 v1, vcc, 0, v1, vcc
	v_mov_b32_e32 v22, s1
	v_cmp_gt_i32_e64 s[0:1], s18, v12
	v_add_u32_e32 v21, 0x5c04, v10
	ds_write_b32 v10, v3 offset:23552
	ds_write2_b32 v21, v3, v3 offset1:1
	ds_write_b32 v10, v3 offset:23564
	v_cndmask_b32_e64 v9, v22, v1, s[0:1]
	v_cndmask_b32_e64 v8, v20, v2, s[0:1]
	flat_load_dwordx4 v[14:17], v[8:9]
	s_lshl_b32 s12, s22, 4
	v_add_u32_e32 v0, s12, v0
	v_ashrrev_i32_e32 v1, 31, v0
	v_lshlrev_b64 v[8:9], 2, v[0:1]
	v_mov_b32_e32 v18, s11
	v_add_co_u32_e32 v1, vcc, s10, v8
	v_addc_co_u32_e32 v8, vcc, v18, v9, vcc
	s_movk_i32 s2, 0x110
	v_add_u32_e32 v13, 16, v12
	v_add_co_u32_e32 v1, vcc, v1, v11
	v_mad_u32_u24 v2, v12, s2, v11
	v_addc_co_u32_e32 v8, vcc, 0, v8, vcc
	v_cmp_gt_i32_e64 s[2:3], s18, v13
	ds_write_b32 v10, v3 offset:23552
	ds_write2_b32 v21, v3, v3 offset1:1
	ds_write_b32 v10, v3 offset:23564
	v_cndmask_b32_e64 v9, v22, v8, s[2:3]
	v_cndmask_b32_e64 v8, v20, v1, s[2:3]
	v_add_u32_e32 v0, s12, v0
	v_ashrrev_i32_e32 v1, 31, v0
	s_waitcnt vmcnt(0) lgkmcnt(0)
	ds_write_b128 v2, v[14:17]
	flat_load_dwordx4 v[16:19], v[8:9]
	v_lshlrev_b64 v[8:9], 2, v[0:1]
	v_mov_b32_e32 v15, s11
	v_add_co_u32_e32 v1, vcc, s10, v8
	v_addc_co_u32_e32 v8, vcc, v15, v9, vcc
	v_add_u32_e32 v14, 32, v12
	v_add_co_u32_e32 v1, vcc, v1, v11
	v_addc_co_u32_e32 v8, vcc, 0, v8, vcc
	v_cmp_gt_i32_e64 s[4:5], s18, v14
	v_cndmask_b32_e64 v9, v22, v8, s[4:5]
	v_cndmask_b32_e64 v8, v20, v1, s[4:5]
	v_add_u32_e32 v0, s12, v0
	v_ashrrev_i32_e32 v1, 31, v0
	v_lshlrev_b64 v[0:1], 2, v[0:1]
	v_add_co_u32_e32 v0, vcc, s10, v0
	v_add_u32_e32 v15, 48, v12
	v_cmp_gt_i32_e64 s[16:17], s18, v15
	s_mov_b32 s10, 0x3f200000
	ds_write_b32 v10, v3 offset:23552
	ds_write2_b32 v21, v3, v3 offset1:1
	ds_write_b32 v10, v3 offset:23564
	s_waitcnt vmcnt(0) lgkmcnt(0)
	ds_write_b128 v2, v[16:19] offset:4352
	flat_load_dwordx4 v[16:19], v[8:9]
	v_mov_b32_e32 v8, s11
	v_addc_co_u32_e32 v1, vcc, v8, v1, vcc
	v_add_co_u32_e32 v0, vcc, v0, v11
	v_addc_co_u32_e32 v1, vcc, 0, v1, vcc
	v_cndmask_b32_e64 v1, v22, v1, s[16:17]
	v_cndmask_b32_e64 v0, v20, v0, s[16:17]
	v_lshlrev_b32_e32 v9, 9, v37
	v_mul_u32_u24_e32 v8, 0x110, v30
	ds_write_b32 v10, v3 offset:23552
	ds_write2_b32 v21, v3, v3 offset1:1
	ds_write_b32 v10, v3 offset:23564
	s_waitcnt vmcnt(0) lgkmcnt(0)
	ds_write_b128 v2, v[16:19] offset:8704
	flat_load_dwordx4 v[16:19], v[0:1]
	v_mov_b32_e32 v0, 0
	v_mov_b32_e32 v1, 0
	s_waitcnt vmcnt(0) lgkmcnt(0)
	ds_write_b128 v2, v[16:19] offset:13056
	s_waitcnt lgkmcnt(0)
	s_barrier
	ds_read_b128 v[16:19], v9 offset:17408
	ds_read_b128 v[20:23], v8
	ds_read_b128 v[24:27], v8 offset:8704
	ds_read_b128 v[44:47], v9 offset:17664
	s_waitcnt lgkmcnt(2)
	;;#ASMSTART
	v_dot2_f32_f16 v0, v20, v16, v0
	;;#ASMEND
	;;#ASMSTART
	v_dot2_f32_f16 v0, v21, v17, v0
	;;#ASMEND
	;; [unrolled: 3-line block ×4, first 2 shown]
	s_waitcnt lgkmcnt(0)
	;;#ASMSTART
	v_dot2_f32_f16 v1, v20, v44, v1
	;;#ASMEND
	;;#ASMSTART
	v_dot2_f32_f16 v1, v21, v45, v1
	;;#ASMEND
	v_mov_b32_e32 v2, 0
	;;#ASMSTART
	v_dot2_f32_f16 v1, v22, v46, v1
	;;#ASMEND
	;;#ASMSTART
	v_dot2_f32_f16 v1, v23, v47, v1
	;;#ASMEND
	;;#ASMSTART
	v_dot2_f32_f16 v2, v24, v16, v2
	;;#ASMEND
	;;#ASMSTART
	v_dot2_f32_f16 v2, v25, v17, v2
	;;#ASMEND
	;;#ASMSTART
	v_dot2_f32_f16 v2, v26, v18, v2
	;;#ASMEND
	;;#ASMSTART
	v_dot2_f32_f16 v2, v27, v19, v2
	;;#ASMEND
	;;#ASMSTART
	v_dot2_f32_f16 v3, v24, v44, v3
	;;#ASMEND
	;;#ASMSTART
	v_dot2_f32_f16 v3, v25, v45, v3
	;;#ASMEND
	;;#ASMSTART
	v_dot2_f32_f16 v3, v26, v46, v3
	;;#ASMEND
	;;#ASMSTART
	v_dot2_f32_f16 v3, v27, v47, v3
	;;#ASMEND
	ds_read_b128 v[16:19], v9 offset:17424
	ds_read_b128 v[20:23], v8 offset:16
	ds_read_b128 v[24:27], v8 offset:8720
	ds_read_b128 v[44:47], v9 offset:17680
	s_waitcnt lgkmcnt(2)
	;;#ASMSTART
	v_dot2_f32_f16 v0, v20, v16, v0
	;;#ASMEND
	;;#ASMSTART
	v_dot2_f32_f16 v0, v21, v17, v0
	;;#ASMEND
	;;#ASMSTART
	v_dot2_f32_f16 v0, v22, v18, v0
	;;#ASMEND
	;;#ASMSTART
	v_dot2_f32_f16 v0, v23, v19, v0
	;;#ASMEND
	s_waitcnt lgkmcnt(0)
	;;#ASMSTART
	v_dot2_f32_f16 v1, v20, v44, v1
	;;#ASMEND
	;;#ASMSTART
	v_dot2_f32_f16 v1, v21, v45, v1
	;;#ASMEND
	;;#ASMSTART
	v_dot2_f32_f16 v1, v22, v46, v1
	;;#ASMEND
	;;#ASMSTART
	v_dot2_f32_f16 v1, v23, v47, v1
	;;#ASMEND
	;;#ASMSTART
	v_dot2_f32_f16 v2, v24, v16, v2
	;;#ASMEND
	;;#ASMSTART
	v_dot2_f32_f16 v2, v25, v17, v2
	;;#ASMEND
	;;#ASMSTART
	v_dot2_f32_f16 v2, v26, v18, v2
	;;#ASMEND
	;;#ASMSTART
	v_dot2_f32_f16 v2, v27, v19, v2
	;;#ASMEND
	;;#ASMSTART
	v_dot2_f32_f16 v3, v24, v44, v3
	;;#ASMEND
	;;#ASMSTART
	v_dot2_f32_f16 v3, v25, v45, v3
	;;#ASMEND
	;;#ASMSTART
	v_dot2_f32_f16 v3, v26, v46, v3
	;;#ASMEND
	;;#ASMSTART
	v_dot2_f32_f16 v3, v27, v47, v3
	;;#ASMEND
	ds_read_b128 v[16:19], v9 offset:17440
	ds_read_b128 v[20:23], v8 offset:32
	ds_read_b128 v[24:27], v8 offset:8736
	ds_read_b128 v[44:47], v9 offset:17696
	s_waitcnt lgkmcnt(2)
	;;#ASMSTART
	v_dot2_f32_f16 v0, v20, v16, v0
	;;#ASMEND
	;;#ASMSTART
	v_dot2_f32_f16 v0, v21, v17, v0
	;;#ASMEND
	;;#ASMSTART
	v_dot2_f32_f16 v0, v22, v18, v0
	;;#ASMEND
	;;#ASMSTART
	v_dot2_f32_f16 v0, v23, v19, v0
	;;#ASMEND
	s_waitcnt lgkmcnt(0)
	;;#ASMSTART
	v_dot2_f32_f16 v1, v20, v44, v1
	;;#ASMEND
	;;#ASMSTART
	v_dot2_f32_f16 v1, v21, v45, v1
	;;#ASMEND
	;; [unrolled: 54-line block ×15, first 2 shown]
	;;#ASMSTART
	v_dot2_f32_f16 v1, v22, v46, v1
	;;#ASMEND
	;;#ASMSTART
	v_dot2_f32_f16 v1, v23, v47, v1
	;;#ASMEND
	;; [unrolled: 3-line block ×9, first 2 shown]
	v_cmp_nlt_f32_e64 s[10:11], |v0|, s10
	;;#ASMSTART
	v_dot2_f32_f16 v3, v27, v47, v3
	;;#ASMEND
                                        ; implicit-def: $vgpr8
	s_and_saveexec_b64 s[12:13], s[10:11]
	s_xor_b64 s[10:11], exec, s[12:13]
	s_cbranch_execz .LBB88_41
; %bb.40:
	v_add_f32_e64 v8, |v0|, |v0|
	v_mul_f32_e32 v9, 0x3fb8aa3b, v8
	s_mov_b32 s12, 0x3fb8aa3b
	v_rndne_f32_e32 v16, v9
	v_sub_f32_e32 v17, v9, v16
	v_fma_f32 v9, v8, s12, -v9
	v_fmac_f32_e32 v9, 0x32a5705f, v8
	v_add_f32_e32 v9, v17, v9
	v_exp_f32_e32 v9, v9
	v_cvt_i32_f32_e32 v16, v16
	s_mov_b32 s12, 0xc2ce8ed0
	v_cmp_ngt_f32_e32 vcc, s12, v8
	s_mov_b32 s12, 0x42b17218
	v_ldexp_f32 v9, v9, v16
	v_cndmask_b32_e32 v9, 0, v9, vcc
	v_mov_b32_e32 v16, 0x7f800000
	v_cmp_nlt_f32_e32 vcc, s12, v8
	v_cndmask_b32_e32 v8, v16, v9, vcc
	v_add_f32_e32 v8, 1.0, v8
	v_rcp_f32_e32 v8, v8
	v_fma_f32 v8, v8, -2.0, 1.0
.LBB88_41:
	s_andn2_saveexec_b64 s[10:11], s[10:11]
; %bb.42:
	v_mul_f32_e32 v8, v0, v0
	v_mov_b32_e32 v9, 0x3ca908c9
	v_fmac_f32_e32 v9, 0xbbbac73d, v8
	v_mov_b32_e32 v16, 0xbd5c1c4e
	v_fmac_f32_e32 v16, v8, v9
	;; [unrolled: 2-line block ×4, first 2 shown]
	v_mul_f32_e64 v9, |v0|, v16
	v_fma_f32 v8, v8, v9, |v0|
; %bb.43:
	s_or_b64 exec, exec, s[10:11]
	s_cmp_lg_u64 s[40:41], 0
	s_brev_b32 s10, -2
	v_bfi_b32 v0, s10, v8, v0
	s_cselect_b64 s[10:11], -1, 0
	v_cndmask_b32_e64 v8, 0, 1, s[10:11]
	v_add_u32_e32 v16, s39, v43
	v_mul_f32_e32 v0, s19, v0
	v_cmp_gt_i32_e64 s[12:13], s18, v30
	v_cmp_ne_u32_e64 s[10:11], 1, v8
	v_pk_mov_b32 v[8:9], v[4:5], v[4:5] op_sel:[0,1]
	s_and_saveexec_b64 s[14:15], s[12:13]
	s_cbranch_execz .LBB88_48
; %bb.44:
	s_and_b64 vcc, exec, s[10:11]
	s_cbranch_vccnz .LBB88_46
; %bb.45:
	v_add_u32_e32 v8, v16, v30
	v_ashrrev_i32_e32 v9, 31, v8
	v_lshlrev_b64 v[8:9], 1, v[8:9]
	v_mov_b32_e32 v17, s41
	v_add_co_u32_e32 v8, vcc, s40, v8
	v_addc_co_u32_e32 v9, vcc, v17, v9, vcc
	flat_load_ushort v8, v[8:9]
	s_waitcnt vmcnt(0) lgkmcnt(0)
	v_cvt_f32_f16_e32 v8, v8
	v_mul_f32_e32 v8, v40, v8
	s_branch .LBB88_47
.LBB88_46:
	v_mov_b32_e32 v8, 0
.LBB88_47:
	v_add_f32_e32 v0, v0, v8
	v_add_f32_e32 v8, 0x40051340, v0
	v_max_f32_e32 v9, v4, v4
	v_max_f32_e32 v8, v9, v8
	v_mov_b32_e32 v9, v5
.LBB88_48:
	s_or_b64 exec, exec, s[14:15]
	s_mov_b32 s14, 0x3f200000
	v_cmp_nlt_f32_e64 s[14:15], |v2|, s14
                                        ; implicit-def: $vgpr17
	s_and_saveexec_b64 s[22:23], s[14:15]
	s_xor_b64 s[14:15], exec, s[22:23]
	s_cbranch_execz .LBB88_50
; %bb.49:
	v_add_f32_e64 v17, |v2|, |v2|
	v_mul_f32_e32 v18, 0x3fb8aa3b, v17
	s_mov_b32 s22, 0x3fb8aa3b
	v_rndne_f32_e32 v19, v18
	v_sub_f32_e32 v20, v18, v19
	v_fma_f32 v18, v17, s22, -v18
	v_fmac_f32_e32 v18, 0x32a5705f, v17
	v_add_f32_e32 v18, v20, v18
	v_exp_f32_e32 v18, v18
	v_cvt_i32_f32_e32 v19, v19
	s_mov_b32 s22, 0xc2ce8ed0
	v_cmp_ngt_f32_e32 vcc, s22, v17
	s_mov_b32 s22, 0x42b17218
	v_ldexp_f32 v18, v18, v19
	v_cndmask_b32_e32 v18, 0, v18, vcc
	v_mov_b32_e32 v19, 0x7f800000
	v_cmp_nlt_f32_e32 vcc, s22, v17
	v_cndmask_b32_e32 v17, v19, v18, vcc
	v_add_f32_e32 v17, 1.0, v17
	v_rcp_f32_e32 v17, v17
	v_fma_f32 v17, v17, -2.0, 1.0
.LBB88_50:
	s_andn2_saveexec_b64 s[14:15], s[14:15]
; %bb.51:
	v_mul_f32_e32 v17, v2, v2
	v_mov_b32_e32 v18, 0x3ca908c9
	v_fmac_f32_e32 v18, 0xbbbac73d, v17
	v_mov_b32_e32 v19, 0xbd5c1c4e
	v_fmac_f32_e32 v19, v17, v18
	v_mov_b32_e32 v18, 0x3e088382
	v_fmac_f32_e32 v18, v17, v19
	v_mov_b32_e32 v19, 0xbeaaaa99
	v_fmac_f32_e32 v19, v17, v18
	v_mul_f32_e64 v18, |v2|, v19
	v_fma_f32 v17, v17, v18, |v2|
; %bb.52:
	s_or_b64 exec, exec, s[14:15]
	s_brev_b32 s14, -2
	v_add_u32_e32 v24, 32, v30
	v_bfi_b32 v2, s14, v17, v2
	v_mul_f32_e32 v2, s19, v2
	v_cmp_gt_i32_e64 s[14:15], s18, v24
	s_and_saveexec_b64 s[22:23], s[14:15]
	s_cbranch_execz .LBB88_57
; %bb.53:
	s_and_b64 vcc, exec, s[10:11]
	s_cbranch_vccnz .LBB88_55
; %bb.54:
	v_ashrrev_i32_e32 v17, 31, v16
	v_add_co_u32_e32 v16, vcc, v16, v30
	v_addc_co_u32_e32 v17, vcc, 0, v17, vcc
	v_lshlrev_b64 v[16:17], 1, v[16:17]
	v_mov_b32_e32 v18, s41
	v_add_co_u32_e32 v16, vcc, s40, v16
	v_addc_co_u32_e32 v17, vcc, v18, v17, vcc
	flat_load_ushort v16, v[16:17] offset:64
	s_waitcnt vmcnt(0) lgkmcnt(0)
	v_cvt_f32_f16_e32 v16, v16
	v_mul_f32_e32 v16, v40, v16
	s_branch .LBB88_56
.LBB88_55:
	v_mov_b32_e32 v16, 0
.LBB88_56:
	v_add_f32_e32 v2, v2, v16
	v_add_f32_e32 v16, 0x40051340, v2
	v_max_f32_e32 v8, v8, v8
	v_max_f32_e32 v8, v8, v16
.LBB88_57:
	s_or_b64 exec, exec, s[22:23]
	v_mbcnt_hi_u32_b32 v16, -1, v42
	v_and_b32_e32 v17, 0x60, v16
	v_add_u32_e32 v17, 32, v17
	v_xor_b32_e32 v18, 16, v16
	v_cmp_lt_i32_e32 vcc, v18, v17
	v_cndmask_b32_e32 v19, v16, v18, vcc
	v_lshlrev_b32_e32 v27, 2, v19
	ds_bpermute_b32 v20, v27, v8
	v_xor_b32_e32 v19, 8, v16
	v_cmp_lt_i32_e32 vcc, v19, v17
	v_cndmask_b32_e32 v21, v16, v19, vcc
	v_max_f32_e32 v8, v8, v8
	s_waitcnt lgkmcnt(0)
	v_max_f32_e32 v20, v20, v20
	v_lshlrev_b32_e32 v42, 2, v21
	v_max_f32_e32 v8, v8, v20
	ds_bpermute_b32 v21, v42, v8
	v_xor_b32_e32 v20, 4, v16
	v_cmp_lt_i32_e32 vcc, v20, v17
	v_cndmask_b32_e32 v22, v16, v20, vcc
	v_lshlrev_b32_e32 v23, 2, v22
	s_waitcnt lgkmcnt(0)
	v_max_f32_e32 v21, v21, v21
	v_max_f32_e32 v8, v8, v21
	ds_bpermute_b32 v22, v23, v8
	v_xor_b32_e32 v21, 2, v16
	v_cmp_lt_i32_e32 vcc, v21, v17
	v_cndmask_b32_e32 v25, v16, v21, vcc
	v_lshlrev_b32_e32 v25, 2, v25
	s_waitcnt lgkmcnt(0)
	v_max_f32_e32 v22, v22, v22
	;; [unrolled: 8-line block ×3, first 2 shown]
	v_max_f32_e32 v8, v8, v43
	ds_bpermute_b32 v43, v26, v8
	s_mov_b32 s22, 0x3f200000
	v_cmp_nlt_f32_e64 s[22:23], |v1|, s22
                                        ; implicit-def: $vgpr44
	s_and_saveexec_b64 s[44:45], s[22:23]
	s_xor_b64 s[22:23], exec, s[44:45]
	s_cbranch_execz .LBB88_59
; %bb.58:
	v_add_f32_e64 v44, |v1|, |v1|
	v_mul_f32_e32 v45, 0x3fb8aa3b, v44
	s_mov_b32 s42, 0x3fb8aa3b
	v_rndne_f32_e32 v46, v45
	v_sub_f32_e32 v47, v45, v46
	v_fma_f32 v45, v44, s42, -v45
	v_fmac_f32_e32 v45, 0x32a5705f, v44
	v_add_f32_e32 v45, v47, v45
	v_exp_f32_e32 v45, v45
	v_cvt_i32_f32_e32 v46, v46
	s_mov_b32 s42, 0xc2ce8ed0
	v_cmp_ngt_f32_e32 vcc, s42, v44
	s_mov_b32 s42, 0x42b17218
	v_ldexp_f32 v45, v45, v46
	v_cndmask_b32_e32 v45, 0, v45, vcc
	v_mov_b32_e32 v46, 0x7f800000
	v_cmp_nlt_f32_e32 vcc, s42, v44
	v_cndmask_b32_e32 v44, v46, v45, vcc
	v_add_f32_e32 v44, 1.0, v44
	v_rcp_f32_e32 v44, v44
	v_fma_f32 v44, v44, -2.0, 1.0
.LBB88_59:
	s_andn2_saveexec_b64 s[22:23], s[22:23]
; %bb.60:
	v_mul_f32_e32 v44, v1, v1
	v_mov_b32_e32 v45, 0x3ca908c9
	v_fmac_f32_e32 v45, 0xbbbac73d, v44
	v_mov_b32_e32 v46, 0xbd5c1c4e
	v_fmac_f32_e32 v46, v44, v45
	;; [unrolled: 2-line block ×4, first 2 shown]
	v_mul_f32_e64 v45, |v1|, v46
	v_fma_f32 v44, v44, v45, |v1|
; %bb.61:
	s_or_b64 exec, exec, s[22:23]
	s_waitcnt lgkmcnt(0)
	v_max_f32_e32 v43, v43, v43
	v_max_f32_e32 v8, v8, v8
	;; [unrolled: 1-line block ×3, first 2 shown]
	v_mul_hi_u32 v43, s28, v41
	v_add_u32_e32 v43, v41, v43
	v_lshrrev_b32_e32 v43, s29, v43
	v_mul_lo_u32 v43, v43, s30
	v_sub_u32_e32 v41, v41, v43
	s_brev_b32 s22, -2
	v_mul_lo_u32 v41, v41, s43
	v_bfi_b32 v1, s22, v44, v1
	v_add_u32_e32 v41, s39, v41
	v_mul_f32_e32 v1, s19, v1
	s_and_saveexec_b64 s[22:23], s[12:13]
	s_cbranch_execz .LBB88_66
; %bb.62:
	s_and_b64 vcc, exec, s[10:11]
	s_cbranch_vccnz .LBB88_64
; %bb.63:
	v_add_u32_e32 v44, v41, v30
	v_ashrrev_i32_e32 v45, 31, v44
	v_lshlrev_b64 v[44:45], 1, v[44:45]
	v_mov_b32_e32 v43, s41
	v_add_co_u32_e32 v44, vcc, s40, v44
	v_addc_co_u32_e32 v45, vcc, v43, v45, vcc
	flat_load_ushort v43, v[44:45]
	s_waitcnt vmcnt(0) lgkmcnt(0)
	v_cvt_f32_f16_e32 v43, v43
	v_mul_f32_e32 v43, v40, v43
	s_branch .LBB88_65
.LBB88_64:
	v_mov_b32_e32 v43, 0
.LBB88_65:
	v_add_f32_e32 v1, v1, v43
	v_add_f32_e32 v43, 0x40051340, v1
	v_max_f32_e32 v9, v9, v9
	v_max_f32_e32 v9, v9, v43
.LBB88_66:
	s_or_b64 exec, exec, s[22:23]
	s_mov_b32 s12, 0x3f200000
	v_cmp_nlt_f32_e64 s[12:13], |v3|, s12
                                        ; implicit-def: $vgpr43
	s_and_saveexec_b64 s[22:23], s[12:13]
	s_xor_b64 s[12:13], exec, s[22:23]
	s_cbranch_execz .LBB88_68
; %bb.67:
	v_add_f32_e64 v43, |v3|, |v3|
	v_mul_f32_e32 v44, 0x3fb8aa3b, v43
	s_mov_b32 s22, 0x3fb8aa3b
	v_rndne_f32_e32 v45, v44
	v_sub_f32_e32 v46, v44, v45
	v_fma_f32 v44, v43, s22, -v44
	v_fmac_f32_e32 v44, 0x32a5705f, v43
	v_add_f32_e32 v44, v46, v44
	v_exp_f32_e32 v44, v44
	v_cvt_i32_f32_e32 v45, v45
	s_mov_b32 s22, 0xc2ce8ed0
	v_cmp_ngt_f32_e32 vcc, s22, v43
	s_mov_b32 s22, 0x42b17218
	v_ldexp_f32 v44, v44, v45
	v_cndmask_b32_e32 v44, 0, v44, vcc
	v_mov_b32_e32 v45, 0x7f800000
	v_cmp_nlt_f32_e32 vcc, s22, v43
	v_cndmask_b32_e32 v43, v45, v44, vcc
	v_add_f32_e32 v43, 1.0, v43
	v_rcp_f32_e32 v43, v43
	v_fma_f32 v43, v43, -2.0, 1.0
.LBB88_68:
	s_andn2_saveexec_b64 s[12:13], s[12:13]
; %bb.69:
	v_mul_f32_e32 v43, v3, v3
	v_mov_b32_e32 v44, 0x3ca908c9
	v_fmac_f32_e32 v44, 0xbbbac73d, v43
	v_mov_b32_e32 v45, 0xbd5c1c4e
	v_fmac_f32_e32 v45, v43, v44
	;; [unrolled: 2-line block ×4, first 2 shown]
	v_mul_f32_e64 v44, |v3|, v45
	v_fma_f32 v43, v43, v44, |v3|
; %bb.70:
	s_or_b64 exec, exec, s[12:13]
	s_brev_b32 s12, -2
	v_bfi_b32 v3, s12, v43, v3
	v_mul_f32_e32 v3, s19, v3
	s_and_saveexec_b64 s[12:13], s[14:15]
	s_cbranch_execz .LBB88_75
; %bb.71:
	s_and_b64 vcc, exec, s[10:11]
	s_cbranch_vccnz .LBB88_73
; %bb.72:
	v_ashrrev_i32_e32 v43, 31, v41
	v_add_co_u32_e32 v44, vcc, v41, v30
	v_addc_co_u32_e32 v45, vcc, 0, v43, vcc
	v_lshlrev_b64 v[44:45], 1, v[44:45]
	v_mov_b32_e32 v41, s41
	v_add_co_u32_e32 v44, vcc, s40, v44
	v_addc_co_u32_e32 v45, vcc, v41, v45, vcc
	flat_load_ushort v41, v[44:45] offset:64
	s_waitcnt vmcnt(0) lgkmcnt(0)
	v_cvt_f32_f16_e32 v41, v41
	v_mul_f32_e32 v40, v40, v41
	s_branch .LBB88_74
.LBB88_73:
	v_mov_b32_e32 v40, 0
.LBB88_74:
	v_add_f32_e32 v3, v3, v40
	v_add_f32_e32 v40, 0x40051340, v3
	v_max_f32_e32 v9, v9, v9
	v_max_f32_e32 v9, v9, v40
.LBB88_75:
	s_or_b64 exec, exec, s[12:13]
	ds_bpermute_b32 v27, v27, v9
	v_max_f32_e32 v9, v9, v9
	v_sub_f32_e32 v0, v0, v8
	s_mov_b32 s15, 0x3fb8aa3b
	s_mov_b32 s14, 0xc2ce8ed0
	s_waitcnt lgkmcnt(0)
	v_max_f32_e32 v27, v27, v27
	v_max_f32_e32 v9, v9, v27
	ds_bpermute_b32 v27, v42, v9
	s_mov_b32 s19, 0x42b17218
	v_cmp_ngt_f32_e32 vcc, s14, v0
	v_sub_f32_e32 v2, v2, v8
	v_cmp_ngt_f32_e64 s[10:11], s14, v2
	s_waitcnt lgkmcnt(0)
	v_max_f32_e32 v27, v27, v27
	v_max_f32_e32 v9, v9, v27
	ds_bpermute_b32 v23, v23, v9
	v_mul_f32_e32 v27, 0x3fb8aa3b, v0
	v_fma_f32 v40, v0, s15, -v27
	v_rndne_f32_e32 v41, v27
	v_fmac_f32_e32 v40, 0x32a5705f, v0
	s_waitcnt lgkmcnt(0)
	v_max_f32_e32 v23, v23, v23
	v_max_f32_e32 v9, v9, v23
	ds_bpermute_b32 v23, v25, v9
	v_sub_f32_e32 v25, v27, v41
	v_add_f32_e32 v25, v25, v40
	v_cvt_i32_f32_e32 v27, v41
	v_exp_f32_e32 v25, v25
	s_waitcnt lgkmcnt(0)
	v_max_f32_e32 v23, v23, v23
	v_max_f32_e32 v9, v9, v23
	ds_bpermute_b32 v23, v26, v9
	v_ldexp_f32 v25, v25, v27
	v_cndmask_b32_e32 v26, 0, v25, vcc
	v_mov_b32_e32 v25, 0x7f800000
	v_cmp_nlt_f32_e32 vcc, s19, v0
	s_waitcnt lgkmcnt(0)
	v_max_f32_e32 v23, v23, v23
	v_max_f32_e32 v9, v9, v23
	v_mul_f32_e32 v23, 0x3fb8aa3b, v2
	v_cndmask_b32_e32 v0, v25, v26, vcc
	v_fma_f32 v26, v2, s15, -v23
	v_rndne_f32_e32 v27, v23
	v_fmac_f32_e32 v26, 0x32a5705f, v2
	v_sub_f32_e32 v23, v23, v27
	v_add_f32_e32 v23, v23, v26
	v_exp_f32_e32 v23, v23
	v_cvt_i32_f32_e32 v26, v27
	v_sub_f32_e32 v1, v1, v9
	v_sub_f32_e32 v3, v3, v9
	v_cmp_ngt_f32_e64 s[12:13], s14, v1
	v_ldexp_f32 v23, v23, v26
	v_cndmask_b32_e64 v23, 0, v23, s[10:11]
	v_cmp_nlt_f32_e64 s[10:11], s19, v2
	v_cndmask_b32_e64 v2, v25, v23, s[10:11]
	v_mul_f32_e32 v23, 0x3fb8aa3b, v1
	v_fma_f32 v26, v1, s15, -v23
	v_rndne_f32_e32 v27, v23
	v_fmac_f32_e32 v26, 0x32a5705f, v1
	v_sub_f32_e32 v23, v23, v27
	v_add_f32_e32 v23, v23, v26
	v_exp_f32_e32 v23, v23
	v_cvt_i32_f32_e32 v26, v27
	v_cmp_gt_u32_e32 vcc, s18, v30
	v_cndmask_b32_e32 v42, 0, v0, vcc
	v_cvt_f16_f32_e32 v0, v42
	v_ldexp_f32 v23, v23, v26
	v_mul_f32_e32 v26, 0x3fb8aa3b, v3
	v_fma_f32 v27, v3, s15, -v26
	v_rndne_f32_e32 v40, v26
	v_fmac_f32_e32 v27, 0x32a5705f, v3
	v_sub_f32_e32 v26, v26, v40
	v_add_f32_e32 v26, v26, v27
	v_exp_f32_e32 v26, v26
	v_cvt_i32_f32_e32 v27, v40
	v_cndmask_b32_e64 v23, 0, v23, s[12:13]
	v_cmp_nlt_f32_e64 s[12:13], s19, v1
	v_cndmask_b32_e64 v1, v25, v23, s[12:13]
	v_cndmask_b32_e32 v45, 0, v1, vcc
	v_ldexp_f32 v23, v26, v27
	v_cmp_ngt_f32_e32 vcc, s14, v3
	v_cndmask_b32_e32 v23, 0, v23, vcc
	v_cmp_nlt_f32_e32 vcc, s19, v3
	v_cmp_gt_u32_e64 s[10:11], s18, v24
	v_cvt_f16_f32_e32 v1, v45
	v_cndmask_b32_e32 v3, v25, v23, vcc
	v_cndmask_b32_e64 v44, 0, v2, s[10:11]
	v_cndmask_b32_e64 v46, 0, v3, s[10:11]
	v_cvt_f16_f32_e32 v2, v44
	v_cvt_f16_f32_e32 v3, v46
	v_lshlrev_b32_e32 v23, 8, v37
	v_add_u32_e32 v26, 0x5400, v23
	v_add_u32_e32 v27, v26, v32
	v_pack_b32_f16 v0, v0, v1
	s_mul_hi_i32 s11, s39, s8
	s_mul_i32 s10, s39, s8
	s_barrier
	ds_write_b32 v27, v0
	v_lshl_add_u32 v0, v24, 2, v26
	s_lshl_b64 s[10:11], s[10:11], 2
	v_mul_lo_u32 v26, s8, v12
	v_pack_b32_f16 v1, v2, v3
	s_add_u32 s12, s36, s10
	v_ashrrev_i32_e32 v27, 31, v26
	ds_write_b32 v0, v1
	s_addc_u32 s13, s37, s11
	v_lshlrev_b64 v[0:1], 2, v[26:27]
	v_mov_b32_e32 v2, s13
	v_add_co_u32_e32 v0, vcc, s12, v0
	v_addc_co_u32_e32 v1, vcc, v2, v1, vcc
	s_mov_b64 s[10:11], src_shared_base
	v_add_co_u32_e32 v0, vcc, v0, v11
	v_add_u32_e32 v43, 0x6c00, v10
	v_addc_co_u32_e32 v1, vcc, 0, v1, vcc
	v_mov_b32_e32 v37, 0
	v_mov_b32_e32 v47, s11
	v_add_u32_e32 v24, 0x6c04, v10
	ds_write_b32 v10, v37 offset:27648
	ds_write2_b32 v24, v37, v37 offset1:1
	ds_write_b32 v10, v37 offset:27660
	v_cndmask_b32_e64 v1, v47, v1, s[0:1]
	v_cndmask_b32_e64 v0, v43, v0, s[0:1]
	flat_load_dwordx4 v[0:3], v[0:1]
	s_lshl_b32 s0, s8, 4
	v_add_u32_e32 v26, s0, v26
	v_ashrrev_i32_e32 v27, 31, v26
	v_lshlrev_b64 v[40:41], 2, v[26:27]
	v_mov_b32_e32 v27, s13
	v_add_co_u32_e32 v40, vcc, s12, v40
	v_addc_co_u32_e32 v27, vcc, v27, v41, vcc
	v_add_co_u32_e32 v40, vcc, v40, v11
	v_lshl_or_b32 v12, v12, 8, v11
	v_addc_co_u32_e32 v27, vcc, 0, v27, vcc
	v_mov_b32_e32 v41, s13
	v_lshl_or_b32 v14, v14, 8, v11
	v_sub_f32_e32 v4, v4, v8
	v_sub_f32_e32 v5, v5, v9
	v_add_u32_e32 v92, 0x1000, v34
	v_add_u32_e32 v116, 0x1800, v34
	;; [unrolled: 1-line block ×4, first 2 shown]
	s_waitcnt vmcnt(0) lgkmcnt(0)
	ds_write_b128 v12, v[0:3]
	ds_write_b32 v10, v37 offset:27648
	ds_write2_b32 v24, v37, v37 offset1:1
	ds_write_b32 v10, v37 offset:27660
	v_cndmask_b32_e64 v1, v47, v27, s[2:3]
	v_cndmask_b32_e64 v0, v43, v40, s[2:3]
	flat_load_dwordx4 v[0:3], v[0:1]
	v_add_u32_e32 v12, s0, v26
	v_lshl_or_b32 v40, v13, 8, v11
	v_ashrrev_i32_e32 v13, 31, v12
	v_lshlrev_b64 v[26:27], 2, v[12:13]
	v_add_co_u32_e32 v13, vcc, s12, v26
	v_addc_co_u32_e32 v26, vcc, v41, v27, vcc
	v_add_co_u32_e32 v13, vcc, v13, v11
	v_addc_co_u32_e32 v26, vcc, 0, v26, vcc
	v_cndmask_b32_e64 v27, v47, v26, s[4:5]
	v_cndmask_b32_e64 v26, v43, v13, s[4:5]
	v_add_u32_e32 v12, s0, v12
	v_ashrrev_i32_e32 v13, 31, v12
	v_lshlrev_b64 v[12:13], 2, v[12:13]
	v_add_co_u32_e32 v12, vcc, s12, v12
	ds_write_b32 v10, v37 offset:27648
	ds_write2_b32 v24, v37, v37 offset1:1
	ds_write_b32 v10, v37 offset:27660
	s_waitcnt vmcnt(0) lgkmcnt(0)
	ds_write_b128 v40, v[0:3]
	flat_load_dwordx4 v[0:3], v[26:27]
	v_mov_b32_e32 v26, s13
	v_addc_co_u32_e32 v13, vcc, v26, v13, vcc
	v_add_co_u32_e32 v12, vcc, v12, v11
	v_addc_co_u32_e32 v13, vcc, 0, v13, vcc
	v_cndmask_b32_e64 v13, v47, v13, s[16:17]
	v_cndmask_b32_e64 v12, v43, v12, s[16:17]
	v_cmp_ngt_f32_e32 vcc, s14, v4
	ds_write_b32 v10, v37 offset:27648
	ds_write2_b32 v24, v37, v37 offset1:1
	ds_write_b32 v10, v37 offset:27660
	s_waitcnt vmcnt(0) lgkmcnt(0)
	ds_write_b128 v14, v[0:3]
	flat_load_dwordx4 v[0:3], v[12:13]
	v_mul_f32_e32 v10, 0x3fb8aa3b, v4
	v_lshl_or_b32 v12, v15, 8, v11
	v_fma_f32 v11, v4, s15, -v10
	v_rndne_f32_e32 v13, v10
	v_fmac_f32_e32 v11, 0x32a5705f, v4
	v_sub_f32_e32 v10, v10, v13
	v_add_f32_e32 v10, v10, v11
	v_cvt_i32_f32_e32 v13, v13
	v_exp_f32_e32 v10, v10
	v_mul_f32_e32 v11, 0x3fb8aa3b, v5
	v_rndne_f32_e32 v14, v11
	v_add_u32_e32 v37, 0x800, v34
	v_ldexp_f32 v10, v10, v13
	v_fma_f32 v13, v5, s15, -v11
	v_fmac_f32_e32 v13, 0x32a5705f, v5
	v_sub_f32_e32 v11, v11, v14
	v_add_f32_e32 v11, v11, v13
	v_cvt_i32_f32_e32 v14, v14
	v_exp_f32_e32 v11, v11
	v_cndmask_b32_e32 v10, 0, v10, vcc
	v_cmp_nlt_f32_e32 vcc, s19, v4
	v_cndmask_b32_e32 v4, v25, v10, vcc
	v_ldexp_f32 v11, v11, v14
	v_cmp_ngt_f32_e32 vcc, s14, v5
	v_cndmask_b32_e32 v11, 0, v11, vcc
	v_cmp_nlt_f32_e32 vcc, s19, v5
	v_cndmask_b32_e32 v5, v25, v11, vcc
	v_cvt_f16_f32_e32 v150, v5
	v_cvt_f16_f32_e32 v149, v4
	v_add_f32_e32 v10, v42, v44
	v_add_f32_e32 v11, v45, v46
	v_fmac_f32_e32 v10, v6, v4
	v_fmac_f32_e32 v11, v7, v5
	v_pk_mul_f16 v35, v150, v35 op_sel_hi:[0,1]
	s_waitcnt vmcnt(0) lgkmcnt(0)
	ds_write_b128 v12, v[0:3]
	s_waitcnt lgkmcnt(0)
	s_barrier
	ds_read2_b64 v[0:3], v34 offset1:32
	ds_read_b128 v[4:7], v23 offset:21504
	ds_read_b128 v[12:15], v23 offset:21520
	;; [unrolled: 1-line block ×4, first 2 shown]
	ds_read2_b64 v[44:47], v34 offset0:64 offset1:96
	ds_read2_b64 v[48:51], v34 offset0:128 offset1:160
	;; [unrolled: 1-line block ×3, first 2 shown]
	ds_read2_b64 v[56:59], v37 offset1:32
	ds_read2_b64 v[60:63], v37 offset0:64 offset1:96
	ds_read2_b64 v[64:67], v37 offset0:128 offset1:160
	;; [unrolled: 1-line block ×3, first 2 shown]
	ds_read2_b64 v[72:75], v92 offset1:32
	ds_read2_b64 v[76:79], v92 offset0:64 offset1:96
	ds_read2_b64 v[80:83], v92 offset0:128 offset1:160
	ds_read_b128 v[84:87], v23 offset:21568
	ds_read_b128 v[88:91], v23 offset:21584
	ds_read2_b64 v[92:95], v92 offset0:192 offset1:224
	ds_read2_b64 v[96:99], v116 offset1:32
	ds_read2_b64 v[100:103], v116 offset0:64 offset1:96
	ds_read2_b64 v[104:107], v116 offset0:128 offset1:160
	ds_read_b128 v[108:111], v23 offset:21600
	ds_read_b128 v[112:115], v23 offset:21616
	ds_read2_b64 v[116:119], v116 offset0:192 offset1:224
	;; [unrolled: 6-line block ×3, first 2 shown]
	ds_read2_b64 v[144:147], v148 offset1:32
	s_waitcnt lgkmcnt(14)
	v_pk_mul_f16 v37, v0, v4 op_sel_hi:[1,0]
	v_pk_mul_f16 v0, v0, v4 op_sel:[0,1]
	v_pk_mul_f16 v151, v1, v4 op_sel_hi:[1,0]
	v_pk_fma_f16 v1, v1, v4, v35 op_sel:[0,1,0]
	v_pk_fma_f16 v4, v149, v38, v37 op_sel_hi:[0,1,1]
	v_pk_fma_f16 v0, v150, v36, v0 op_sel_hi:[0,1,1]
	;; [unrolled: 1-line block ×3, first 2 shown]
	v_pk_fma_f16 v1, v3, v5, v1 op_sel:[0,1,0]
	v_pk_fma_f16 v4, v2, v5, v4 op_sel_hi:[1,0,1]
	v_pk_fma_f16 v0, v2, v5, v0 op_sel:[0,1,0]
	v_pk_fma_f16 v2, v3, v5, v35 op_sel_hi:[1,0,1]
	;; [unrolled: 2-line block ×42, first 2 shown]
	s_waitcnt lgkmcnt(13)
	v_pk_fma_f16 v1, v93, v90, v1 op_sel:[0,1,0]
	v_pk_fma_f16 v3, v92, v90, v3 op_sel_hi:[1,0,1]
	v_pk_fma_f16 v0, v92, v90, v0 op_sel:[0,1,0]
	v_pk_fma_f16 v2, v93, v90, v2 op_sel_hi:[1,0,1]
	;; [unrolled: 2-line block ×4, first 2 shown]
	s_waitcnt lgkmcnt(9)
	v_pk_fma_f16 v1, v97, v108, v1 op_sel:[0,1,0]
	v_pk_fma_f16 v3, v96, v108, v3 op_sel_hi:[1,0,1]
	v_pk_fma_f16 v0, v96, v108, v0 op_sel:[0,1,0]
	v_pk_fma_f16 v2, v97, v108, v2 op_sel_hi:[1,0,1]
	;; [unrolled: 2-line block ×8, first 2 shown]
	s_waitcnt lgkmcnt(8)
	v_pk_fma_f16 v1, v105, v112, v1 op_sel:[0,1,0]
	v_pk_fma_f16 v3, v104, v112, v3 op_sel_hi:[1,0,1]
	v_pk_fma_f16 v0, v104, v112, v0 op_sel:[0,1,0]
	v_pk_fma_f16 v2, v105, v112, v2 op_sel_hi:[1,0,1]
	v_pk_fma_f16 v1, v107, v113, v1 op_sel:[0,1,0]
	v_pk_fma_f16 v3, v106, v113, v3 op_sel_hi:[1,0,1]
	v_pk_fma_f16 v0, v106, v113, v0 op_sel:[0,1,0]
	v_pk_fma_f16 v2, v107, v113, v2 op_sel_hi:[1,0,1]
	s_waitcnt lgkmcnt(7)
	v_pk_fma_f16 v1, v117, v114, v1 op_sel:[0,1,0]
	v_pk_fma_f16 v3, v116, v114, v3 op_sel_hi:[1,0,1]
	v_pk_fma_f16 v0, v116, v114, v0 op_sel:[0,1,0]
	v_pk_fma_f16 v2, v117, v114, v2 op_sel_hi:[1,0,1]
	v_pk_fma_f16 v1, v119, v115, v1 op_sel:[0,1,0]
	v_pk_fma_f16 v3, v118, v115, v3 op_sel_hi:[1,0,1]
	v_pk_fma_f16 v0, v118, v115, v0 op_sel:[0,1,0]
	v_pk_fma_f16 v2, v119, v115, v2 op_sel_hi:[1,0,1]
	;; [unrolled: 9-line block ×3, first 2 shown]
	v_pk_fma_f16 v1, v125, v134, v1 op_sel:[0,1,0]
	v_pk_fma_f16 v3, v124, v134, v3 op_sel_hi:[1,0,1]
	v_pk_fma_f16 v0, v124, v134, v0 op_sel:[0,1,0]
	v_pk_fma_f16 v2, v125, v134, v2 op_sel_hi:[1,0,1]
	;; [unrolled: 2-line block ×4, first 2 shown]
	s_waitcnt lgkmcnt(2)
	v_pk_fma_f16 v1, v129, v136, v1 op_sel:[0,1,0]
	v_pk_fma_f16 v3, v128, v136, v3 op_sel_hi:[1,0,1]
	v_pk_fma_f16 v0, v128, v136, v0 op_sel:[0,1,0]
	v_pk_fma_f16 v2, v129, v136, v2 op_sel_hi:[1,0,1]
	;; [unrolled: 2-line block ×4, first 2 shown]
	s_waitcnt lgkmcnt(1)
	v_pk_fma_f16 v4, v141, v138, v1 op_sel:[0,1,0]
	v_pk_fma_f16 v1, v140, v138, v3 op_sel_hi:[1,0,1]
	v_pk_fma_f16 v5, v140, v138, v0 op_sel:[0,1,0]
	v_pk_fma_f16 v6, v141, v138, v2 op_sel_hi:[1,0,1]
	v_pk_fma_f16 v12, v142, v139, v1 op_sel_hi:[1,0,1]
	ds_read_b128 v[0:3], v23 offset:21664
	v_pk_fma_f16 v13, v142, v139, v5 op_sel:[0,1,0]
	v_pk_fma_f16 v14, v143, v139, v6 op_sel_hi:[1,0,1]
	v_pk_fma_f16 v15, v143, v139, v4 op_sel:[0,1,0]
	ds_read_b128 v[4:7], v23 offset:21680
	s_waitcnt lgkmcnt(1)
	v_pk_fma_f16 v24, v144, v0, v12 op_sel_hi:[1,0,1]
	v_pk_fma_f16 v25, v144, v0, v13 op_sel:[0,1,0]
	v_pk_fma_f16 v26, v145, v0, v14 op_sel_hi:[1,0,1]
	v_pk_fma_f16 v0, v145, v0, v15 op_sel:[0,1,0]
	ds_read2_b64 v[12:15], v148 offset0:64 offset1:96
	v_pk_fma_f16 v24, v146, v1, v24 op_sel_hi:[1,0,1]
	v_pk_fma_f16 v25, v146, v1, v25 op_sel:[0,1,0]
	v_pk_fma_f16 v26, v147, v1, v26 op_sel_hi:[1,0,1]
	v_pk_fma_f16 v0, v147, v1, v0 op_sel:[0,1,0]
	s_waitcnt lgkmcnt(0)
	v_pk_fma_f16 v1, v12, v2, v24 op_sel_hi:[1,0,1]
	v_pk_fma_f16 v12, v12, v2, v25 op_sel:[0,1,0]
	v_pk_fma_f16 v35, v13, v2, v26 op_sel_hi:[1,0,1]
	ds_read2_b64 v[24:27], v148 offset0:128 offset1:160
	v_pk_fma_f16 v0, v13, v2, v0 op_sel:[0,1,0]
	v_pk_fma_f16 v1, v14, v3, v1 op_sel_hi:[1,0,1]
	v_pk_fma_f16 v2, v14, v3, v12 op_sel:[0,1,0]
	v_pk_fma_f16 v12, v15, v3, v35 op_sel_hi:[1,0,1]
	v_pk_fma_f16 v0, v15, v3, v0 op_sel:[0,1,0]
	s_waitcnt lgkmcnt(0)
	v_pk_fma_f16 v13, v24, v4, v1 op_sel_hi:[1,0,1]
	v_pk_fma_f16 v14, v24, v4, v2 op_sel:[0,1,0]
	v_pk_fma_f16 v12, v25, v4, v12 op_sel_hi:[1,0,1]
	v_pk_fma_f16 v4, v25, v4, v0 op_sel:[0,1,0]
	ds_read2_b64 v[0:3], v148 offset0:192 offset1:224
	v_pk_fma_f16 v13, v26, v5, v13 op_sel_hi:[1,0,1]
	v_pk_fma_f16 v14, v26, v5, v14 op_sel:[0,1,0]
	v_pk_fma_f16 v12, v27, v5, v12 op_sel_hi:[1,0,1]
	v_add_u32_e32 v36, 0x3000, v34
	v_pk_fma_f16 v4, v27, v5, v4 op_sel:[0,1,0]
	s_waitcnt lgkmcnt(0)
	v_pk_fma_f16 v5, v0, v6, v13 op_sel_hi:[1,0,1]
	v_pk_fma_f16 v0, v0, v6, v14 op_sel:[0,1,0]
	v_pk_fma_f16 v35, v1, v6, v12 op_sel_hi:[1,0,1]
	ds_read2_b64 v[12:15], v36 offset1:32
	ds_read_b128 v[24:27], v23 offset:21696
	v_pk_fma_f16 v1, v1, v6, v4 op_sel:[0,1,0]
	v_pk_fma_f16 v4, v2, v7, v5 op_sel_hi:[1,0,1]
	v_pk_fma_f16 v5, v2, v7, v0 op_sel:[0,1,0]
	v_pk_fma_f16 v6, v3, v7, v35 op_sel_hi:[1,0,1]
	v_pk_fma_f16 v7, v3, v7, v1 op_sel:[0,1,0]
	s_waitcnt lgkmcnt(0)
	v_pk_fma_f16 v35, v12, v24, v4 op_sel_hi:[1,0,1]
	v_pk_fma_f16 v12, v12, v24, v5 op_sel:[0,1,0]
	v_pk_fma_f16 v37, v13, v24, v6 op_sel_hi:[1,0,1]
	v_pk_fma_f16 v13, v13, v24, v7 op_sel:[0,1,0]
	ds_read2_b64 v[4:7], v36 offset0:64 offset1:96
	v_pk_fma_f16 v24, v14, v25, v35 op_sel_hi:[1,0,1]
	v_pk_fma_f16 v12, v14, v25, v12 op_sel:[0,1,0]
	v_pk_fma_f16 v14, v15, v25, v37 op_sel_hi:[1,0,1]
	v_pk_fma_f16 v13, v15, v25, v13 op_sel:[0,1,0]
	ds_read_b128 v[0:3], v23 offset:21712
	s_waitcnt lgkmcnt(1)
	v_pk_fma_f16 v24, v4, v26, v24 op_sel_hi:[1,0,1]
	v_pk_fma_f16 v4, v4, v26, v12 op_sel:[0,1,0]
	v_pk_fma_f16 v25, v5, v26, v14 op_sel_hi:[1,0,1]
	v_pk_fma_f16 v5, v5, v26, v13 op_sel:[0,1,0]
	ds_read2_b64 v[12:15], v36 offset0:128 offset1:160
	v_pk_fma_f16 v24, v6, v27, v24 op_sel_hi:[1,0,1]
	v_pk_fma_f16 v4, v6, v27, v4 op_sel:[0,1,0]
	v_pk_fma_f16 v6, v7, v27, v25 op_sel_hi:[1,0,1]
	v_pk_fma_f16 v5, v7, v27, v5 op_sel:[0,1,0]
	s_waitcnt lgkmcnt(0)
	v_pk_fma_f16 v24, v12, v0, v24 op_sel_hi:[1,0,1]
	v_pk_fma_f16 v12, v12, v0, v4 op_sel:[0,1,0]
	v_pk_fma_f16 v25, v13, v0, v6 op_sel_hi:[1,0,1]
	v_pk_fma_f16 v0, v13, v0, v5 op_sel:[0,1,0]
	ds_read2_b64 v[4:7], v36 offset0:192 offset1:224
	v_pk_fma_f16 v13, v14, v1, v24 op_sel_hi:[1,0,1]
	v_pk_fma_f16 v12, v14, v1, v12 op_sel:[0,1,0]
	v_pk_fma_f16 v14, v15, v1, v25 op_sel_hi:[1,0,1]
	v_add_u32_e32 v34, 0x3800, v34
	v_pk_fma_f16 v0, v15, v1, v0 op_sel:[0,1,0]
	s_waitcnt lgkmcnt(0)
	v_pk_fma_f16 v1, v4, v2, v13 op_sel_hi:[1,0,1]
	v_pk_fma_f16 v4, v4, v2, v12 op_sel:[0,1,0]
	v_pk_fma_f16 v35, v5, v2, v14 op_sel_hi:[1,0,1]
	ds_read2_b64 v[12:15], v34 offset1:32
	ds_read_b128 v[24:27], v23 offset:21728
	v_pk_fma_f16 v0, v5, v2, v0 op_sel:[0,1,0]
	v_pk_fma_f16 v5, v6, v3, v1 op_sel_hi:[1,0,1]
	v_pk_fma_f16 v4, v6, v3, v4 op_sel:[0,1,0]
	v_pk_fma_f16 v6, v7, v3, v35 op_sel_hi:[1,0,1]
	v_pk_fma_f16 v7, v7, v3, v0 op_sel:[0,1,0]
	ds_read_b128 v[0:3], v23 offset:21744
	s_waitcnt lgkmcnt(1)
	v_pk_fma_f16 v23, v12, v24, v5 op_sel_hi:[1,0,1]
	v_pk_fma_f16 v12, v12, v24, v4 op_sel:[0,1,0]
	v_pk_fma_f16 v35, v13, v24, v6 op_sel_hi:[1,0,1]
	v_pk_fma_f16 v13, v13, v24, v7 op_sel:[0,1,0]
	ds_read2_b64 v[4:7], v34 offset0:64 offset1:96
	v_pk_fma_f16 v23, v14, v25, v23 op_sel_hi:[1,0,1]
	v_pk_fma_f16 v12, v14, v25, v12 op_sel:[0,1,0]
	v_pk_fma_f16 v14, v15, v25, v35 op_sel_hi:[1,0,1]
	v_pk_fma_f16 v13, v15, v25, v13 op_sel:[0,1,0]
	s_waitcnt lgkmcnt(0)
	v_pk_fma_f16 v23, v4, v26, v23 op_sel_hi:[1,0,1]
	v_pk_fma_f16 v4, v4, v26, v12 op_sel:[0,1,0]
	v_pk_fma_f16 v24, v5, v26, v14 op_sel_hi:[1,0,1]
	v_pk_fma_f16 v5, v5, v26, v13 op_sel:[0,1,0]
	ds_read2_b64 v[12:15], v34 offset0:128 offset1:160
	v_pk_fma_f16 v23, v6, v27, v23 op_sel_hi:[1,0,1]
	v_pk_fma_f16 v4, v6, v27, v4 op_sel:[0,1,0]
	v_pk_fma_f16 v6, v7, v27, v24 op_sel_hi:[1,0,1]
	v_pk_fma_f16 v5, v7, v27, v5 op_sel:[0,1,0]
	;; [unrolled: 10-line block ×3, first 2 shown]
	s_waitcnt lgkmcnt(0)
	v_pk_fma_f16 v1, v4, v2, v13 op_sel_hi:[1,0,1]
	v_pk_fma_f16 v4, v4, v2, v12 op_sel:[0,1,0]
	v_pk_fma_f16 v12, v5, v2, v14 op_sel_hi:[1,0,1]
	v_pk_fma_f16 v0, v5, v2, v0 op_sel:[0,1,0]
	;; [unrolled: 2-line block ×4, first 2 shown]
	v_pk_mov_b32 v[4:5], v[8:9], v[8:9] op_sel:[0,1]
	v_pk_mov_b32 v[6:7], v[10:11], v[10:11] op_sel:[0,1]
	s_barrier
.LBB88_76:
	v_cmp_lt_i32_e32 vcc, v18, v17
	v_cndmask_b32_e32 v0, v16, v18, vcc
	v_lshlrev_b32_e32 v1, 2, v0
	ds_bpermute_b32 v0, v1, v6
	ds_bpermute_b32 v1, v1, v7
	v_cmp_lt_i32_e32 vcc, v19, v17
	v_cndmask_b32_e32 v2, v16, v19, vcc
	v_lshlrev_b32_e32 v3, 2, v2
	v_cmp_lt_i32_e32 vcc, v20, v17
	s_waitcnt lgkmcnt(0)
	v_pk_add_f32 v[0:1], v[6:7], v[0:1]
	ds_bpermute_b32 v2, v3, v0
	ds_bpermute_b32 v3, v3, v1
	v_cndmask_b32_e32 v6, v16, v20, vcc
	v_lshlrev_b32_e32 v6, 2, v6
	v_cmp_lt_i32_e32 vcc, v21, v17
	s_cmp_eq_u64 s[20:21], 0
	s_waitcnt lgkmcnt(0)
	v_pk_add_f32 v[0:1], v[0:1], v[2:3]
	ds_bpermute_b32 v2, v6, v0
	ds_bpermute_b32 v3, v6, v1
	v_cndmask_b32_e32 v6, v16, v21, vcc
	v_lshlrev_b32_e32 v6, 2, v6
	v_cmp_lt_i32_e32 vcc, v22, v17
	s_cselect_b64 s[0:1], -1, 0
	s_waitcnt lgkmcnt(0)
	v_pk_add_f32 v[0:1], v[0:1], v[2:3]
	ds_bpermute_b32 v2, v6, v0
	ds_bpermute_b32 v3, v6, v1
	v_cndmask_b32_e32 v6, v16, v22, vcc
	v_lshlrev_b32_e32 v6, 2, v6
	s_cmp_lg_u32 s9, 0
	s_cselect_b64 s[2:3], -1, 0
	s_waitcnt lgkmcnt(0)
	v_pk_add_f32 v[0:1], v[0:1], v[2:3]
	ds_bpermute_b32 v2, v6, v0
	ds_bpermute_b32 v3, v6, v1
	s_or_b64 s[0:1], s[2:3], s[0:1]
	s_and_b64 vcc, exec, s[0:1]
	s_waitcnt lgkmcnt(0)
	v_pk_add_f32 v[0:1], v[0:1], v[2:3]
	s_cbranch_vccnz .LBB88_78
; %bb.77:
	s_lshl_b64 s[0:1], s[34:35], 2
	s_add_u32 s0, s20, s0
	s_addc_u32 s1, s21, s1
	v_mov_b32_e32 v2, 0
	global_load_dword v2, v2, s[0:1]
	v_max_f32_e32 v3, v5, v5
	v_max_f32_e32 v6, v4, v4
	s_mov_b32 s0, 0x3fb8aa3b
	s_mov_b32 s1, 0xc2ce8ed0
	;; [unrolled: 1-line block ×3, first 2 shown]
	v_mov_b32_e32 v8, 0x7f800000
	s_waitcnt vmcnt(0)
	v_max_f32_e32 v9, v2, v2
	v_max_f32_e32 v7, v3, v9
	;; [unrolled: 1-line block ×3, first 2 shown]
	v_pk_add_f32 v[4:5], v[4:5], v[6:7] neg_lo:[0,1] neg_hi:[0,1]
	v_mul_f32_e32 v9, 0x3fb8aa3b, v5
	v_pk_add_f32 v[2:3], v[2:3], v[6:7] op_sel_hi:[0,1] neg_lo:[0,1] neg_hi:[0,1]
	v_mul_f32_e32 v10, 0x3fb8aa3b, v4
	v_fma_f32 v13, v5, s0, -v9
	v_rndne_f32_e32 v14, v9
	v_mul_f32_e32 v11, 0x3fb8aa3b, v3
	v_fma_f32 v15, v4, s0, -v10
	v_rndne_f32_e32 v16, v10
	v_fmac_f32_e32 v13, 0x32a5705f, v5
	v_sub_f32_e32 v9, v9, v14
	v_mul_f32_e32 v12, 0x3fb8aa3b, v2
	v_fma_f32 v17, v3, s0, -v11
	v_rndne_f32_e32 v18, v11
	v_fmac_f32_e32 v15, 0x32a5705f, v4
	v_sub_f32_e32 v10, v10, v16
	v_add_f32_e32 v9, v9, v13
	v_fma_f32 v19, v2, s0, -v12
	v_rndne_f32_e32 v20, v12
	v_cvt_i32_f32_e32 v14, v14
	v_fmac_f32_e32 v17, 0x32a5705f, v3
	v_sub_f32_e32 v11, v11, v18
	v_add_f32_e32 v10, v10, v15
	v_exp_f32_e32 v9, v9
	v_cvt_i32_f32_e32 v16, v16
	v_fmac_f32_e32 v19, 0x32a5705f, v2
	v_sub_f32_e32 v12, v12, v20
	v_add_f32_e32 v11, v11, v17
	v_exp_f32_e32 v10, v10
	v_cvt_i32_f32_e32 v18, v18
	v_add_f32_e32 v12, v12, v19
	v_exp_f32_e32 v11, v11
	v_cvt_i32_f32_e32 v20, v20
	v_exp_f32_e32 v12, v12
	v_ldexp_f32 v9, v9, v14
	v_cmp_ngt_f32_e32 vcc, s1, v5
	v_ldexp_f32 v10, v10, v16
	v_cndmask_b32_e32 v9, 0, v9, vcc
	v_cmp_ngt_f32_e32 vcc, s1, v4
	v_ldexp_f32 v11, v11, v18
	v_cndmask_b32_e32 v10, 0, v10, vcc
	;; [unrolled: 3-line block ×3, first 2 shown]
	v_cmp_ngt_f32_e32 vcc, s1, v2
	v_cndmask_b32_e32 v12, 0, v12, vcc
	v_cmp_nlt_f32_e32 vcc, s2, v5
	v_cndmask_b32_e32 v5, v8, v9, vcc
	v_cmp_nlt_f32_e32 vcc, s2, v4
	;; [unrolled: 2-line block ×4, first 2 shown]
	v_cvt_f16_f32_e32 v9, v4
	v_cndmask_b32_e32 v2, v8, v12, vcc
	v_cvt_f16_f32_e32 v8, v5
	v_pk_fma_f32 v[0:1], v[0:1], v[4:5], v[2:3]
	v_pk_mul_f16 v38, v9, v38 op_sel_hi:[0,1]
	v_pk_mul_f16 v39, v9, v39 op_sel_hi:[0,1]
	;; [unrolled: 1-line block ×4, first 2 shown]
	v_pk_mov_b32 v[4:5], v[6:7], v[6:7] op_sel:[0,1]
.LBB88_78:
	v_cmp_gt_i32_e32 vcc, s30, v33
	s_and_saveexec_b64 s[0:1], vcc
	s_cbranch_execz .LBB88_88
; %bb.79:
	s_load_dword s6, s[6:7], 0xd4
	v_mov_b32_e32 v2, 1.0
	s_waitcnt lgkmcnt(0)
	s_cmp_lg_u32 s6, 1
	s_cselect_b64 s[4:5], -1, 0
	s_cmp_eq_u32 s6, 1
	s_cselect_b64 s[2:3], -1, 0
	s_and_b64 vcc, exec, s[4:5]
	s_cbranch_vccnz .LBB88_81
; %bb.80:
	v_div_scale_f32 v2, s[0:1], v0, v0, 1.0
	v_rcp_f32_e32 v3, v2
	v_div_scale_f32 v6, vcc, 1.0, v0, 1.0
	v_fma_f32 v7, -v2, v3, 1.0
	v_fmac_f32_e32 v3, v7, v3
	v_mul_f32_e32 v7, v6, v3
	v_fma_f32 v8, -v2, v7, v6
	v_fmac_f32_e32 v7, v8, v3
	v_fma_f32 v2, -v2, v7, v6
	v_div_fmas_f32 v2, v2, v3, v7
	v_div_fixup_f32 v2, v2, v0, 1.0
.LBB88_81:
	s_mul_i32 s7, s33, s30
	s_add_i32 s7, s7, s38
	v_add_u32_e32 v3, s7, v31
	v_mul_lo_u32 v3, v3, s31
	v_add_u32_e32 v3, s34, v3
	v_mul_lo_u32 v3, s6, v3
	v_add_u32_e32 v6, s9, v3
	v_lshl_add_u32 v8, v6, 7, v32
	v_mov_b32_e32 v9, 0
	v_cvt_f32_f16_sdwa v11, v38 dst_sel:DWORD dst_unused:UNUSED_PAD src0_sel:WORD_1
	v_cvt_f32_f16_e32 v10, v38
	v_cvt_f32_f16_sdwa v13, v39 dst_sel:DWORD dst_unused:UNUSED_PAD src0_sel:WORD_1
	v_cvt_f32_f16_e32 v12, v39
	v_lshlrev_b64 v[8:9], 2, v[8:9]
	v_mov_b32_e32 v3, s25
	v_add_co_u32_e64 v14, s[0:1], s24, v8
	v_cmp_eq_u32_e32 vcc, 0, v30
	v_addc_co_u32_e64 v15, s[0:1], v3, v9, s[0:1]
	v_pk_mul_f32 v[8:9], v[2:3], v[10:11] op_sel_hi:[0,1]
	v_pk_mul_f32 v[10:11], v[2:3], v[12:13] op_sel_hi:[0,1]
	s_and_b64 s[0:1], vcc, s[4:5]
	global_store_dwordx4 v[14:15], v[8:11], off
	s_and_saveexec_b64 s[4:5], s[0:1]
	s_cbranch_execz .LBB88_83
; %bb.82:
	v_ashrrev_i32_e32 v7, 31, v6
	v_lshlrev_b64 v[2:3], 3, v[6:7]
	v_mov_b32_e32 v6, s27
	v_add_co_u32_e32 v2, vcc, s26, v2
	v_addc_co_u32_e32 v3, vcc, v6, v3, vcc
	v_mov_b32_e32 v6, v4
	v_mov_b32_e32 v7, v0
	global_store_dwordx2 v[2:3], v[6:7], off
.LBB88_83:
	s_or_b64 exec, exec, s[4:5]
	v_cmp_gt_i32_e32 vcc, s30, v29
	s_and_b64 exec, exec, vcc
	s_cbranch_execz .LBB88_88
; %bb.84:
	s_andn2_b64 vcc, exec, s[2:3]
	v_mov_b32_e32 v0, 1.0
	s_cbranch_vccnz .LBB88_86
; %bb.85:
	v_div_scale_f32 v0, s[2:3], v1, v1, 1.0
	v_rcp_f32_e32 v2, v0
	v_div_scale_f32 v3, vcc, 1.0, v1, 1.0
	v_fma_f32 v4, -v0, v2, 1.0
	v_fmac_f32_e32 v2, v4, v2
	v_mul_f32_e32 v4, v3, v2
	v_fma_f32 v6, -v0, v4, v3
	v_fmac_f32_e32 v4, v6, v2
	v_fma_f32 v0, -v0, v4, v3
	v_div_fmas_f32 v0, v0, v2, v4
	v_div_fixup_f32 v0, v0, v1, 1.0
.LBB88_86:
	v_add_u32_e32 v2, s7, v28
	v_mul_lo_u32 v2, v2, s31
	v_add_u32_e32 v2, s34, v2
	v_mul_lo_u32 v2, s6, v2
	v_add_u32_e32 v2, s9, v2
	v_cvt_f32_f16_sdwa v9, v36 dst_sel:DWORD dst_unused:UNUSED_PAD src0_sel:WORD_1
	v_cvt_f32_f16_e32 v8, v36
	v_cvt_f32_f16_sdwa v11, v35 dst_sel:DWORD dst_unused:UNUSED_PAD src0_sel:WORD_1
	v_cvt_f32_f16_e32 v10, v35
	v_lshl_add_u32 v6, v2, 7, v32
	v_mov_b32_e32 v7, 0
	v_lshlrev_b64 v[6:7], 2, v[6:7]
	v_mov_b32_e32 v3, s25
	v_add_co_u32_e32 v12, vcc, s24, v6
	v_addc_co_u32_e32 v13, vcc, v3, v7, vcc
	v_pk_mul_f32 v[6:7], v[0:1], v[8:9] op_sel_hi:[0,1]
	v_pk_mul_f32 v[8:9], v[0:1], v[10:11] op_sel_hi:[0,1]
	global_store_dwordx4 v[12:13], v[6:9], off
	s_and_b64 exec, exec, s[0:1]
	s_cbranch_execz .LBB88_88
; %bb.87:
	v_ashrrev_i32_e32 v3, 31, v2
	v_lshlrev_b64 v[2:3], 3, v[2:3]
	v_mov_b32_e32 v0, s27
	v_add_co_u32_e32 v2, vcc, s26, v2
	v_addc_co_u32_e32 v3, vcc, v0, v3, vcc
	v_mov_b32_e32 v0, v5
	global_store_dwordx2 v[2:3], v[0:1], off
.LBB88_88:
	s_endpgm
	.section	.rodata,"a",@progbits
	.p2align	6, 0x0
	.amdhsa_kernel _ZL15flash_attn_tileILi128ELi128ELi16ELi1ELb1EEvPKcS1_S1_S1_S1_PKiPfP15HIP_vector_typeIfLj2EEffffjfiS5_IjLj3EEiiiiiiiiiiiliiliiiiil
		.amdhsa_group_segment_fixed_size 31744
		.amdhsa_private_segment_fixed_size 0
		.amdhsa_kernarg_size 464
		.amdhsa_user_sgpr_count 8
		.amdhsa_user_sgpr_private_segment_buffer 1
		.amdhsa_user_sgpr_dispatch_ptr 1
		.amdhsa_user_sgpr_queue_ptr 0
		.amdhsa_user_sgpr_kernarg_segment_ptr 1
		.amdhsa_user_sgpr_dispatch_id 0
		.amdhsa_user_sgpr_flat_scratch_init 0
		.amdhsa_user_sgpr_kernarg_preload_length 0
		.amdhsa_user_sgpr_kernarg_preload_offset 0
		.amdhsa_user_sgpr_private_segment_size 0
		.amdhsa_uses_dynamic_stack 0
		.amdhsa_system_sgpr_private_segment_wavefront_offset 0
		.amdhsa_system_sgpr_workgroup_id_x 1
		.amdhsa_system_sgpr_workgroup_id_y 1
		.amdhsa_system_sgpr_workgroup_id_z 1
		.amdhsa_system_sgpr_workgroup_info 0
		.amdhsa_system_vgpr_workitem_id 2
		.amdhsa_next_free_vgpr 152
		.amdhsa_next_free_sgpr 52
		.amdhsa_accum_offset 152
		.amdhsa_reserve_vcc 1
		.amdhsa_reserve_flat_scratch 0
		.amdhsa_float_round_mode_32 0
		.amdhsa_float_round_mode_16_64 0
		.amdhsa_float_denorm_mode_32 3
		.amdhsa_float_denorm_mode_16_64 3
		.amdhsa_dx10_clamp 1
		.amdhsa_ieee_mode 1
		.amdhsa_fp16_overflow 0
		.amdhsa_tg_split 0
		.amdhsa_exception_fp_ieee_invalid_op 0
		.amdhsa_exception_fp_denorm_src 0
		.amdhsa_exception_fp_ieee_div_zero 0
		.amdhsa_exception_fp_ieee_overflow 0
		.amdhsa_exception_fp_ieee_underflow 0
		.amdhsa_exception_fp_ieee_inexact 0
		.amdhsa_exception_int_div_zero 0
	.end_amdhsa_kernel
	.section	.text._ZL15flash_attn_tileILi128ELi128ELi16ELi1ELb1EEvPKcS1_S1_S1_S1_PKiPfP15HIP_vector_typeIfLj2EEffffjfiS5_IjLj3EEiiiiiiiiiiiliiliiiiil,"axG",@progbits,_ZL15flash_attn_tileILi128ELi128ELi16ELi1ELb1EEvPKcS1_S1_S1_S1_PKiPfP15HIP_vector_typeIfLj2EEffffjfiS5_IjLj3EEiiiiiiiiiiiliiliiiiil,comdat
.Lfunc_end88:
	.size	_ZL15flash_attn_tileILi128ELi128ELi16ELi1ELb1EEvPKcS1_S1_S1_S1_PKiPfP15HIP_vector_typeIfLj2EEffffjfiS5_IjLj3EEiiiiiiiiiiiliiliiiiil, .Lfunc_end88-_ZL15flash_attn_tileILi128ELi128ELi16ELi1ELb1EEvPKcS1_S1_S1_S1_PKiPfP15HIP_vector_typeIfLj2EEffffjfiS5_IjLj3EEiiiiiiiiiiiliiliiiiil
                                        ; -- End function
	.section	.AMDGPU.csdata,"",@progbits
; Kernel info:
; codeLenInByte = 20584
; NumSgprs: 56
; NumVgprs: 152
; NumAgprs: 0
; TotalNumVgprs: 152
; ScratchSize: 0
; MemoryBound: 0
; FloatMode: 240
; IeeeMode: 1
; LDSByteSize: 31744 bytes/workgroup (compile time only)
; SGPRBlocks: 6
; VGPRBlocks: 18
; NumSGPRsForWavesPerEU: 56
; NumVGPRsForWavesPerEU: 152
; AccumOffset: 152
; Occupancy: 2
; WaveLimiterHint : 1
; COMPUTE_PGM_RSRC2:SCRATCH_EN: 0
; COMPUTE_PGM_RSRC2:USER_SGPR: 8
; COMPUTE_PGM_RSRC2:TRAP_HANDLER: 0
; COMPUTE_PGM_RSRC2:TGID_X_EN: 1
; COMPUTE_PGM_RSRC2:TGID_Y_EN: 1
; COMPUTE_PGM_RSRC2:TGID_Z_EN: 1
; COMPUTE_PGM_RSRC2:TIDIG_COMP_CNT: 2
; COMPUTE_PGM_RSRC3_GFX90A:ACCUM_OFFSET: 37
; COMPUTE_PGM_RSRC3_GFX90A:TG_SPLIT: 0
	.section	.text._ZL15flash_attn_tileILi128ELi128ELi8ELi1ELb1EEvPKcS1_S1_S1_S1_PKiPfP15HIP_vector_typeIfLj2EEffffjfiS5_IjLj3EEiiiiiiiiiiiliiliiiiil,"axG",@progbits,_ZL15flash_attn_tileILi128ELi128ELi8ELi1ELb1EEvPKcS1_S1_S1_S1_PKiPfP15HIP_vector_typeIfLj2EEffffjfiS5_IjLj3EEiiiiiiiiiiiliiliiiiil,comdat
	.globl	_ZL15flash_attn_tileILi128ELi128ELi8ELi1ELb1EEvPKcS1_S1_S1_S1_PKiPfP15HIP_vector_typeIfLj2EEffffjfiS5_IjLj3EEiiiiiiiiiiiliiliiiiil ; -- Begin function _ZL15flash_attn_tileILi128ELi128ELi8ELi1ELb1EEvPKcS1_S1_S1_S1_PKiPfP15HIP_vector_typeIfLj2EEffffjfiS5_IjLj3EEiiiiiiiiiiiliiliiiiil
	.p2align	8
	.type	_ZL15flash_attn_tileILi128ELi128ELi8ELi1ELb1EEvPKcS1_S1_S1_S1_PKiPfP15HIP_vector_typeIfLj2EEffffjfiS5_IjLj3EEiiiiiiiiiiiliiliiiiil,@function
_ZL15flash_attn_tileILi128ELi128ELi8ELi1ELb1EEvPKcS1_S1_S1_S1_PKiPfP15HIP_vector_typeIfLj2EEffffjfiS5_IjLj3EEiiiiiiiiiiiliiliiiiil: ; @_ZL15flash_attn_tileILi128ELi128ELi8ELi1ELb1EEvPKcS1_S1_S1_S1_PKiPfP15HIP_vector_typeIfLj2EEffffjfiS5_IjLj3EEiiiiiiiiiiiliiliiiiil
; %bb.0:
	s_load_dwordx4 s[36:39], s[4:5], 0x5c
	s_load_dwordx2 s[14:15], s[4:5], 0x80
	s_add_u32 flat_scratch_lo, s6, s11
	s_addc_u32 flat_scratch_hi, s7, 0
	s_add_u32 s0, s0, s11
	s_waitcnt lgkmcnt(0)
	v_cvt_f32_u32_e32 v1, s39
	s_addc_u32 s1, s1, 0
	s_sub_i32 s6, 0, s39
	s_load_dwordx16 s[16:31], s[4:5], 0x0
	v_rcp_iflag_f32_e32 v1, v1
	s_load_dwordx2 s[46:47], s[4:5], 0xb8
	s_mov_b64 s[44:45], 0
	v_mul_f32_e32 v1, 0x4f7ffffe, v1
	v_cvt_u32_f32_e32 v1, v1
	v_readfirstlane_b32 s7, v1
	s_mul_i32 s6, s6, s7
	s_mul_hi_u32 s6, s7, s6
	s_add_i32 s7, s7, s6
	s_mul_hi_u32 s6, s10, s7
	s_mul_i32 s7, s6, s39
	s_sub_i32 s7, s10, s7
	s_add_i32 s11, s6, 1
	s_sub_i32 s12, s7, s39
	s_cmp_ge_u32 s7, s39
	s_cselect_b32 s6, s11, s6
	s_cselect_b32 s7, s12, s7
	s_add_i32 s11, s6, 1
	s_cmp_ge_u32 s7, s39
	s_cselect_b32 s33, s11, s6
	s_abs_i32 s6, s15
	v_cvt_f32_u32_e32 v1, s6
	s_mul_i32 s12, s33, s39
	s_sub_i32 s13, 0, s6
	s_sub_i32 s34, s10, s12
	v_rcp_iflag_f32_e32 v1, v1
	s_abs_i32 s11, s39
	s_xor_b32 s7, s39, s15
	s_ashr_i32 s7, s7, 31
	v_mul_f32_e32 v1, 0x4f7ffffe, v1
	v_cvt_u32_f32_e32 v1, v1
	v_readfirstlane_b32 s10, v1
	s_mul_i32 s13, s13, s10
	s_mul_hi_u32 s12, s10, s13
	s_add_i32 s10, s10, s12
	s_mul_hi_u32 s10, s11, s10
	s_mul_i32 s12, s10, s6
	s_sub_i32 s11, s11, s12
	s_add_i32 s13, s10, 1
	s_sub_i32 s12, s11, s6
	s_cmp_ge_u32 s11, s6
	s_cselect_b32 s10, s13, s10
	s_cselect_b32 s11, s12, s11
	s_add_i32 s12, s10, 1
	s_cmp_ge_u32 s11, s6
	s_cselect_b32 s6, s12, s10
	s_xor_b32 s6, s6, s7
	s_sub_i32 s15, s6, s7
	s_abs_i32 s48, s15
	v_cvt_f32_u32_e32 v1, s48
	s_sub_i32 s6, 0, s48
	s_abs_i32 s49, s34
	v_rcp_iflag_f32_e32 v1, v1
	v_mul_f32_e32 v1, 0x4f7ffffe, v1
	v_cvt_u32_f32_e32 v1, v1
	v_readfirstlane_b32 s7, v1
	s_mul_i32 s6, s6, s7
	s_mul_hi_u32 s6, s7, s6
	s_add_i32 s6, s7, s6
	s_waitcnt lgkmcnt(0)
	s_cmp_eq_u64 s[22:23], 0
	s_cbranch_scc1 .LBB89_2
; %bb.1:
	s_abs_i32 s7, s46
	v_cvt_f32_u32_e32 v1, s7
	s_sub_i32 s35, 0, s7
	s_abs_i32 s13, s33
	s_ashr_i32 s12, s33, 31
	v_rcp_iflag_f32_e32 v1, v1
	s_load_dwordx2 s[10:11], s[4:5], 0xc8
	v_mul_f32_e32 v1, 0x4f7ffffe, v1
	v_cvt_u32_f32_e32 v1, v1
	v_readfirstlane_b32 s40, v1
	s_mul_i32 s35, s35, s40
	s_mul_hi_u32 s35, s40, s35
	s_add_i32 s40, s40, s35
	s_mul_hi_u32 s35, s13, s40
	s_mul_i32 s35, s35, s7
	s_sub_i32 s13, s13, s35
	s_sub_i32 s35, s13, s7
	s_cmp_ge_u32 s13, s7
	s_cselect_b32 s13, s35, s13
	s_sub_i32 s35, s13, s7
	s_cmp_ge_u32 s13, s7
	s_cselect_b32 s7, s35, s13
	s_xor_b32 s7, s7, s12
	s_sub_i32 s7, s7, s12
	s_ashr_i32 s12, s7, 31
	s_waitcnt lgkmcnt(0)
	s_mul_i32 s11, s7, s11
	s_mul_hi_u32 s13, s7, s10
	s_add_i32 s11, s13, s11
	s_mul_i32 s12, s12, s10
	s_add_i32 s11, s11, s12
	s_mul_i32 s7, s7, s10
	s_add_u32 s44, s22, s7
	s_addc_u32 s45, s23, s11
.LBB89_2:
	s_load_dwordx4 s[40:43], s[4:5], 0x40
	s_load_dwordx2 s[22:23], s[4:5], 0x50
	s_mul_hi_u32 s46, s49, s6
	v_mov_b32_e32 v32, 1.0
	s_waitcnt lgkmcnt(0)
	v_cmp_le_f32_e64 s[6:7], s41, 0
	s_and_b64 vcc, exec, s[6:7]
	s_cbranch_vccnz .LBB89_4
; %bb.3:
	s_sub_i32 s6, s34, s22
	s_lshl_b32 s6, s6, 1
	s_add_i32 s10, s34, 1
	s_or_b32 s11, s6, 1
	s_cmp_lt_u32 s34, s22
	s_cselect_b64 vcc, -1, 0
	s_and_b64 s[6:7], vcc, exec
	v_mov_b32_e32 v1, s43
	v_mov_b32_e32 v2, s42
	s_cselect_b32 s6, s10, s11
	v_cndmask_b32_e32 v18, v1, v2, vcc
	v_cvt_f32_i32_e32 v1, s6
	v_cmp_neq_f32_e32 vcc, 1.0, v18
	s_mov_b32 s6, 0x3f2aaaab
	s_movk_i32 s10, 0x204
	v_cndmask_b32_e32 v19, 1.0, v1, vcc
	v_cmp_eq_f32_e32 vcc, 0, v19
	v_cndmask_b32_e64 v20, |v18|, 1.0, vcc
	v_frexp_mant_f32_e32 v1, v20
	v_cmp_gt_f32_e64 s[6:7], s6, v1
	v_cndmask_b32_e64 v2, 1.0, 2.0, s[6:7]
	v_mul_f32_e32 v1, v1, v2
	v_add_f32_e32 v2, 1.0, v1
	v_rcp_f32_e32 v10, v2
	v_add_f32_e32 v3, -1.0, v2
	v_sub_f32_e32 v5, v1, v3
	v_add_f32_e32 v3, -1.0, v1
	v_mul_f32_e32 v1, v3, v10
	v_mul_f32_e32 v4, v2, v1
	v_fma_f32 v6, v1, v2, -v4
	v_fmac_f32_e32 v6, v1, v5
	v_add_f32_e32 v2, v4, v6
	v_sub_f32_e32 v5, v3, v2
	v_pk_add_f32 v[8:9], v[2:3], v[4:5] neg_lo:[0,1] neg_hi:[0,1]
	v_mov_b32_e32 v7, v2
	v_pk_add_f32 v[2:3], v[8:9], v[6:7] neg_lo:[0,1] neg_hi:[0,1]
	v_add_f32_e32 v2, v2, v3
	v_add_f32_e32 v2, v5, v2
	v_mul_f32_e32 v3, v10, v2
	v_add_f32_e32 v2, v1, v3
	v_sub_f32_e32 v1, v2, v1
	v_sub_f32_e32 v1, v3, v1
	v_mul_f32_e32 v3, v2, v2
	v_fma_f32 v5, v2, v2, -v3
	v_add_f32_e32 v4, v1, v1
	v_fmac_f32_e32 v5, v2, v4
	v_add_f32_e32 v4, v3, v5
	v_mov_b32_e32 v6, 0x3e91f4c4
	v_fmac_f32_e32 v6, 0x3e76c4e1, v4
	v_mov_b32_e32 v7, 0x3ecccdef
	v_fmac_f32_e32 v7, v4, v6
	v_sub_f32_e32 v3, v4, v3
	v_sub_f32_e32 v12, v5, v3
	v_mul_f32_e32 v3, v4, v7
	v_fma_f32 v5, v4, v7, -v3
	v_fmac_f32_e32 v5, v12, v7
	v_add_f32_e32 v6, v3, v5
	v_add_f32_e32 v7, 0x3f2aaaaa, v6
	v_sub_f32_e32 v3, v6, v3
	v_sub_f32_e32 v3, v5, v3
	v_add_f32_e32 v5, 0xbf2aaaaa, v7
	v_add_f32_e32 v3, 0x31739010, v3
	v_sub_f32_e32 v5, v6, v5
	v_pk_mul_f32 v[8:9], v[2:3], v[4:5]
	v_fma_f32 v6, v4, v2, -v8
	v_pk_add_f32 v[10:11], v[2:3], v[4:5]
	v_fmac_f32_e32 v6, v4, v1
	v_mov_b32_e32 v9, v11
	v_fmac_f32_e32 v6, v12, v2
	v_pk_add_f32 v[4:5], v[8:9], v[6:7]
	v_sub_f32_e32 v3, v4, v8
	v_sub_f32_e32 v3, v6, v3
	;; [unrolled: 1-line block ×3, first 2 shown]
	v_add_f32_e32 v9, v11, v6
	v_mov_b32_e32 v6, v5
	v_pk_mul_f32 v[6:7], v[4:5], v[6:7]
	v_cvt_f64_f32_e32 v[10:11], v20
	v_frexp_exp_i32_f64_e32 v7, v[10:11]
	v_subbrev_co_u32_e64 v7, s[6:7], 0, v7, s[6:7]
	v_cvt_f32_i32_e32 v7, v7
	v_fma_f32 v8, v4, v5, -v6
	v_fmac_f32_e32 v8, v4, v9
	s_mov_b32 s6, 0x3f317218
	v_mul_f32_e32 v4, 0x3f317218, v7
	v_fmac_f32_e32 v8, v3, v5
	v_fma_f32 v10, v7, s6, -v4
	v_fmac_f32_e32 v10, 0xb102e308, v7
	v_ldexp_f32 v11, v2, 1
	v_add_f32_e32 v5, v6, v8
	v_pk_add_f32 v[2:3], v[4:5], v[10:11]
	v_mov_b32_e32 v12, v5
	v_mov_b32_e32 v13, v3
	;; [unrolled: 1-line block ×3, first 2 shown]
	v_pk_add_f32 v[6:7], v[12:13], v[6:7] neg_lo:[0,1] neg_hi:[0,1]
	v_mov_b32_e32 v9, v5
	v_ldexp_f32 v1, v1, 1
	v_pk_add_f32 v[6:7], v[8:9], v[6:7] neg_lo:[0,1] neg_hi:[0,1]
	v_add_f32_e32 v1, v1, v6
	v_add_f32_e32 v5, v1, v7
	v_pk_add_f32 v[6:7], v[2:3], v[4:5] neg_lo:[0,1] neg_hi:[0,1]
	v_pk_add_f32 v[8:9], v[2:3], v[4:5]
	v_mov_b32_e32 v12, v6
	v_mov_b32_e32 v13, v9
	;; [unrolled: 1-line block ×3, first 2 shown]
	v_pk_add_f32 v[12:13], v[10:11], v[12:13]
	v_mov_b32_e32 v4, v13
	v_pk_add_f32 v[14:15], v[4:5], v[2:3] neg_lo:[0,1] neg_hi:[0,1]
	v_mov_b32_e32 v1, v14
	v_mov_b32_e32 v12, v9
	;; [unrolled: 1-line block ×4, first 2 shown]
	v_pk_add_f32 v[6:7], v[10:11], v[6:7] neg_lo:[0,1] neg_hi:[0,1]
	v_pk_add_f32 v[16:17], v[8:9], v[0:1] neg_lo:[0,1] neg_hi:[0,1]
	;; [unrolled: 1-line block ×3, first 2 shown]
	v_mov_b32_e32 v10, v5
	v_pk_add_f32 v[2:3], v[10:11], v[2:3] neg_lo:[0,1] neg_hi:[0,1]
	v_mov_b32_e32 v16, v6
	v_pk_add_f32 v[8:9], v[16:17], v[2:3]
	v_mov_b32_e32 v10, v9
	v_pk_add_f32 v[10:11], v[8:9], v[10:11]
	v_pk_add_f32 v[4:5], v[4:5], v[10:11]
	v_mov_b32_e32 v7, v13
	v_mov_b32_e32 v9, v4
	v_pk_add_f32 v[12:13], v[8:9], v[6:7] neg_lo:[0,1] neg_hi:[0,1]
	v_mov_b32_e32 v3, v10
	v_sub_f32_e32 v1, v8, v12
	v_pk_add_f32 v[2:3], v[2:3], v[12:13] neg_lo:[0,1] neg_hi:[0,1]
	v_sub_f32_e32 v1, v6, v1
	v_add_f32_e32 v1, v2, v1
	v_add_f32_e32 v1, v1, v3
	;; [unrolled: 1-line block ×3, first 2 shown]
	v_sub_f32_e32 v3, v2, v4
	v_sub_f32_e32 v1, v1, v3
	v_mul_f32_e32 v3, v19, v2
	v_fma_f32 v2, v19, v2, -v3
	v_fmac_f32_e32 v2, v19, v1
	v_add_f32_e32 v1, v3, v2
	v_cmp_class_f32_e64 s[6:7], v3, s10
	v_sub_f32_e32 v4, v1, v3
	v_cndmask_b32_e64 v1, v1, v3, s[6:7]
	s_mov_b32 s12, 0x42b17218
	v_mov_b32_e32 v3, 0x37000000
	v_cmp_eq_f32_e64 s[6:7], s12, v1
	v_cndmask_b32_e64 v3, 0, v3, s[6:7]
	v_sub_f32_e32 v2, v2, v4
	v_sub_f32_e32 v4, v1, v3
	s_mov_b32 s6, 0x3fb8aa3b
	v_mul_f32_e32 v5, 0x3fb8aa3b, v4
	v_fma_f32 v6, v4, s6, -v5
	v_rndne_f32_e32 v7, v5
	v_fmac_f32_e32 v6, 0x32a5705f, v4
	v_sub_f32_e32 v5, v5, v7
	v_add_f32_e32 v5, v5, v6
	v_exp_f32_e32 v5, v5
	v_cvt_i32_f32_e32 v6, v7
	s_mov_b32 s11, 0x7f800000
	v_cmp_neq_f32_e64 s[6:7], |v1|, s11
	v_cndmask_b32_e64 v1, 0, v2, s[6:7]
	s_mov_b32 s6, 0xc2ce8ed0
	v_ldexp_f32 v2, v5, v6
	v_cmp_ngt_f32_e64 s[6:7], s6, v4
	v_add_f32_e32 v1, v3, v1
	v_cndmask_b32_e64 v2, 0, v2, s[6:7]
	v_mov_b32_e32 v3, 0x7f800000
	v_cmp_nlt_f32_e64 s[6:7], s12, v4
	v_cndmask_b32_e64 v2, v3, v2, s[6:7]
	v_fma_f32 v1, v2, v1, v2
	v_cmp_class_f32_e64 s[6:7], v2, s10
	v_trunc_f32_e32 v4, v19
	v_cndmask_b32_e64 v1, v1, v2, s[6:7]
	v_cndmask_b32_e64 v2, v18, 1.0, vcc
	v_cmp_eq_f32_e32 vcc, v4, v19
	v_mul_f32_e32 v4, 0.5, v19
	v_trunc_f32_e32 v6, v4
	v_cmp_neq_f32_e64 s[6:7], v6, v4
	s_and_b64 s[6:7], vcc, s[6:7]
	v_cndmask_b32_e64 v4, 1.0, v2, s[6:7]
	s_brev_b32 s22, -2
	v_mov_b32_e32 v5, 0x7fc00000
	v_bfi_b32 v1, s22, v1, v4
	v_cndmask_b32_e32 v4, v5, v1, vcc
	v_cmp_gt_f32_e32 vcc, 0, v2
	v_cndmask_b32_e32 v1, v1, v4, vcc
	v_cmp_eq_f32_e32 vcc, s11, v20
	v_cmp_eq_f32_e64 s[10:11], 0, v2
	v_cmp_gt_f32_e64 s[12:13], 0, v19
	s_xor_b64 s[12:13], s[12:13], s[10:11]
	v_cndmask_b32_e64 v3, v3, 0, s[12:13]
	v_cndmask_b32_e64 v4, 0, v2, s[6:7]
	v_bfi_b32 v3, s22, v3, v4
	s_or_b64 vcc, vcc, s[10:11]
	v_cndmask_b32_e32 v1, v1, v3, vcc
	v_cmp_o_f32_e32 vcc, v2, v2
	v_cndmask_b32_e32 v32, v5, v1, vcc
.LBB89_4:
	s_load_dwordx4 s[52:55], s[4:5], 0x70
	v_bfe_u32 v30, v0, 10, 10
	v_lshl_add_u32 v5, s8, 3, v30
	s_ashr_i32 s35, s34, 31
	s_ashr_i32 s6, s15, 31
	s_waitcnt lgkmcnt(0)
	s_mul_i32 s7, s33, s54
	s_ashr_i32 s11, s7, 31
	v_mul_hi_u32 v1, s36, v5
	s_mul_i32 s10, s34, s53
	s_add_u32 s7, s16, s7
	v_add_u32_e32 v1, v5, v1
	s_addc_u32 s11, s17, s11
	s_ashr_i32 s12, s10, 31
	v_lshrrev_b32_e32 v1, s37, v1
	s_add_u32 s7, s7, s10
	v_mul_lo_u32 v1, v1, s38
	s_addc_u32 s12, s11, s12
	v_sub_u32_e32 v34, v5, v1
	s_ashr_i32 s13, s52, 31
	v_mov_b32_e32 v1, s52
	v_alignbit_b32 v1, s13, v1, 2
	v_mad_u64_u32 v[2:3], s[10:11], v1, v34, 0
	v_mov_b32_e32 v4, v3
	s_lshr_b32 s10, s13, 2
	v_mad_u64_u32 v[6:7], s[10:11], s10, v34, v[4:5]
	v_mov_b32_e32 v3, v6
	v_and_b32_e32 v4, 0x3ff, v0
	v_lshlrev_b64 v[0:1], 2, v[2:3]
	v_mov_b32_e32 v2, s12
	v_add_co_u32_e32 v0, vcc, s7, v0
	v_addc_co_u32_e32 v1, vcc, v2, v1, vcc
	v_lshlrev_b32_e32 v2, 4, v4
	v_add_co_u32_e32 v0, vcc, v0, v2
	v_addc_co_u32_e32 v1, vcc, 0, v1, vcc
	global_load_dwordx4 v[0:3], v[0:1], off
	v_lshlrev_b32_e32 v6, 6, v30
	v_lshlrev_b32_e32 v31, 1, v4
	v_mov_b32_e32 v7, 0
	s_cmp_eq_u64 s[26:27], 0
	s_waitcnt vmcnt(0)
	v_pk_mul_f32 v[0:1], v[0:1], s[40:41] op_sel_hi:[1,0]
	v_pk_mul_f32 v[2:3], v[2:3], s[40:41] op_sel_hi:[1,0]
	v_cvt_f16_f32_e32 v8, v1
	v_cvt_f16_f32_e32 v1, v3
	;; [unrolled: 1-line block ×4, first 2 shown]
	v_add_lshl_u32 v3, v6, v31, 2
	v_pack_b32_f16 v1, v2, v1
	v_pack_b32_f16 v0, v0, v8
	ds_write_b64 v3, v[0:1] offset:17408
	s_waitcnt lgkmcnt(0)
	s_barrier
	s_cbranch_scc1 .LBB89_6
; %bb.5:
	s_load_dword s7, s[4:5], 0xd0
	s_mov_b32 s11, 0
	s_waitcnt lgkmcnt(0)
	s_mul_i32 s7, s7, s33
	s_add_i32 s10, s7, s8
	s_lshl_b64 s[10:11], s[10:11], 2
	s_add_u32 s10, s26, s10
	s_addc_u32 s11, s27, s11
	s_load_dword s14, s[10:11], 0x0
.LBB89_6:
	s_nop 0
	s_load_dwordx2 s[10:11], s[4:5], 0x8c
	s_load_dwordx4 s[40:43], s[4:5], 0x98
	s_ashr_i32 s7, s33, 31
	s_ashr_i32 s27, s47, 1
	s_mul_i32 s17, s46, s48
	s_waitcnt lgkmcnt(0)
	s_ashr_i32 s15, s10, 2
	s_mul_i32 s10, s33, s41
	s_mul_hi_u32 s16, s33, s40
	s_add_i32 s10, s16, s10
	s_mul_i32 s16, s7, s40
	s_ashr_i32 s8, s42, 2
	s_add_i32 s10, s10, s16
	s_mul_i32 s16, s33, s40
	s_add_u32 s16, s18, s16
	s_addc_u32 s10, s19, s10
	s_sub_i32 s17, s49, s17
	s_xor_b32 s6, s35, s6
	s_add_i32 s18, s46, 1
	s_sub_i32 s19, s17, s48
	s_cmp_ge_u32 s17, s48
	s_cselect_b32 s18, s18, s46
	s_cselect_b32 s17, s19, s17
	s_add_i32 s19, s18, 1
	s_cmp_ge_u32 s17, s48
	s_cselect_b32 s17, s19, s18
	s_load_dwordx2 s[12:13], s[4:5], 0xa8
	s_xor_b32 s17, s17, s6
	s_sub_i32 s6, s17, s6
	s_mul_i32 s11, s6, s11
	s_ashr_i32 s17, s11, 31
	s_add_u32 s18, s16, s11
	s_addc_u32 s19, s10, s17
	s_waitcnt lgkmcnt(0)
	s_mul_i32 s10, s33, s13
	s_mul_hi_u32 s11, s33, s12
	s_add_i32 s10, s11, s10
	s_mul_i32 s7, s7, s12
	s_add_i32 s10, s10, s7
	s_mul_i32 s7, s33, s12
	s_add_u32 s7, s20, s7
	s_mul_i32 s6, s6, s43
	s_addc_u32 s10, s21, s10
	s_ashr_i32 s11, s6, 31
	s_add_u32 s20, s7, s6
	v_lshlrev_b32_e32 v26, 2, v4
	s_addc_u32 s21, s10, s11
	s_lshl_b32 s26, s9, 6
	s_sub_i32 s36, s14, 64
	s_cmp_ge_i32 s26, s36
	v_mov_b32_e32 v6, 0xfeffffff
	v_mov_b32_e32 v29, 0
	v_lshrrev_b32_e32 v1, 4, v4
	v_and_b32_e32 v0, 60, v26
	v_lshlrev_b32_e32 v27, 3, v4
	v_mbcnt_lo_u32_b32 v33, -1, 0
	s_cbranch_scc1 .LBB89_23
; %bb.7:
	v_lshl_add_u32 v8, v30, 1, v1
	v_lshlrev_b32_e32 v9, 2, v0
	s_movk_i32 s6, 0x110
	v_mad_u32_u24 v35, v8, s6, v9
	v_mul_lo_u32 v6, s15, v8
	s_lshl_b32 s6, s15, 4
	v_add_u32_e32 v10, s6, v6
	v_add_u32_e32 v12, s6, v10
	v_mov_b32_e32 v2, 0x4400
	v_add_u32_e32 v14, s6, v12
	v_lshl_add_u32 v39, v30, 8, v2
	s_cmp_lg_u64 s[44:45], 0
	v_mad_u64_u32 v[2:3], s[6:7], v34, s27, v[4:5]
	s_cselect_b64 s[10:11], -1, 0
	v_mul_lo_u32 v16, s8, v8
	s_lshl_b32 s6, s8, 4
	v_add_u32_e32 v18, s6, v16
	v_add_u32_e32 v20, s6, v18
	s_add_u32 s12, s4, 0xd0
	v_mov_b32_e32 v3, 0x4c00
	v_add_u32_e32 v22, s6, v20
	s_addc_u32 s13, s5, 0
	v_ashrrev_i32_e32 v7, 31, v6
	v_ashrrev_i32_e32 v11, 31, v10
	;; [unrolled: 1-line block ×4, first 2 shown]
	v_lshl_add_u32 v3, v30, 7, v3
	v_lshl_or_b32 v42, v8, 8, v9
	v_ashrrev_i32_e32 v17, 31, v16
	v_ashrrev_i32_e32 v19, 31, v18
	;; [unrolled: 1-line block ×4, first 2 shown]
	s_add_u32 s37, s44, 64
	v_mov_b32_e32 v28, 0
	v_add_u32_e32 v36, 0x1100, v35
	v_add_u32_e32 v37, 0x2200, v35
	v_add_u32_e32 v38, 0x3300, v35
	v_mul_u32_u24_e32 v40, 0x110, v4
	v_lshl_add_u32 v41, v4, 1, v3
	v_add_u32_e32 v43, 0x1000, v42
	v_add_u32_e32 v44, 0x2000, v42
	v_add_u32_e32 v45, 0x3000, v42
	s_mov_b32 s22, s23
	s_addc_u32 s40, s45, 0
	v_mov_b32_e32 v53, 0xfeffffff
	v_lshlrev_b64 v[8:9], 2, v[6:7]
	v_lshlrev_b32_e32 v46, 2, v0
	v_lshlrev_b64 v[10:11], 2, v[10:11]
	v_lshlrev_b64 v[12:13], 2, v[12:13]
	;; [unrolled: 1-line block ×3, first 2 shown]
	s_mov_b32 s41, 0x3f200000
	s_mov_b32 s42, 0x3fb8aa3b
	;; [unrolled: 1-line block ×4, first 2 shown]
	v_mov_b32_e32 v47, 0xbd5c1c4e
	v_mov_b32_e32 v48, 0x3e088382
	;; [unrolled: 1-line block ×3, first 2 shown]
	s_brev_b32 s47, -2
	v_mbcnt_hi_u32_b32 v50, -1, v33
	v_lshlrev_b64 v[16:17], 2, v[16:17]
	v_lshlrev_b64 v[18:19], 2, v[18:19]
	;; [unrolled: 1-line block ×4, first 2 shown]
	v_mov_b32_e32 v51, 0x7f800000
	v_mov_b32_e32 v29, 0
	;; [unrolled: 1-line block ×3, first 2 shown]
.LBB89_8:                               ; =>This Inner Loop Header: Depth=1
	s_mul_hi_i32 s7, s26, s15
	s_mul_i32 s6, s26, s15
	s_lshl_b64 s[6:7], s[6:7], 2
	s_add_u32 s6, s18, s6
	s_addc_u32 s7, s19, s7
	v_mov_b32_e32 v6, s7
	v_add_co_u32_e32 v7, vcc, s6, v8
	v_addc_co_u32_e32 v24, vcc, v6, v9, vcc
	v_add_co_u32_e32 v6, vcc, v7, v46
	v_addc_co_u32_e32 v7, vcc, 0, v24, vcc
	v_mov_b32_e32 v24, s7
	v_add_co_u32_e32 v25, vcc, s6, v10
	v_addc_co_u32_e32 v54, vcc, v24, v11, vcc
	v_add_co_u32_e32 v24, vcc, v25, v46
	v_addc_co_u32_e32 v25, vcc, 0, v54, vcc
	global_load_dwordx4 v[54:57], v[6:7], off
	global_load_dwordx4 v[58:61], v[24:25], off
	v_mov_b32_e32 v6, s7
	v_add_co_u32_e32 v7, vcc, s6, v12
	v_addc_co_u32_e32 v24, vcc, v6, v13, vcc
	v_add_co_u32_e32 v6, vcc, v7, v46
	v_addc_co_u32_e32 v7, vcc, 0, v24, vcc
	v_mov_b32_e32 v24, s7
	v_add_co_u32_e32 v25, vcc, s6, v14
	v_addc_co_u32_e32 v62, vcc, v24, v15, vcc
	v_add_co_u32_e32 v24, vcc, v25, v46
	v_addc_co_u32_e32 v25, vcc, 0, v62, vcc
	global_load_dwordx4 v[62:65], v[6:7], off
	global_load_dwordx4 v[66:69], v[24:25], off
	s_waitcnt vmcnt(3)
	ds_write_b128 v35, v[54:57]
	s_waitcnt vmcnt(2)
	ds_write_b128 v36, v[58:61]
	;; [unrolled: 2-line block ×4, first 2 shown]
	s_waitcnt lgkmcnt(0)
	s_barrier
	ds_read_b128 v[56:59], v40
	ds_read_b128 v[60:63], v39
	v_mov_b32_e32 v54, 0
	ds_read_b128 v[64:67], v40 offset:8704
	s_waitcnt lgkmcnt(1)
	;;#ASMSTART
	v_dot2_f32_f16 v54, v56, v60, v54
	;;#ASMEND
	;;#ASMSTART
	v_dot2_f32_f16 v54, v57, v61, v54
	;;#ASMEND
	v_mov_b32_e32 v55, 0
	;;#ASMSTART
	v_dot2_f32_f16 v54, v58, v62, v54
	;;#ASMEND
	;;#ASMSTART
	v_dot2_f32_f16 v54, v59, v63, v54
	;;#ASMEND
	s_waitcnt lgkmcnt(0)
	;;#ASMSTART
	v_dot2_f32_f16 v55, v64, v60, v55
	;;#ASMEND
	;;#ASMSTART
	v_dot2_f32_f16 v55, v65, v61, v55
	;;#ASMEND
	;;#ASMSTART
	v_dot2_f32_f16 v55, v66, v62, v55
	;;#ASMEND
	;;#ASMSTART
	v_dot2_f32_f16 v55, v67, v63, v55
	;;#ASMEND
	ds_read_b128 v[56:59], v40 offset:16
	ds_read_b128 v[60:63], v39 offset:16
	ds_read_b128 v[64:67], v40 offset:8720
	s_waitcnt lgkmcnt(1)
	;;#ASMSTART
	v_dot2_f32_f16 v54, v56, v60, v54
	;;#ASMEND
	;;#ASMSTART
	v_dot2_f32_f16 v54, v57, v61, v54
	;;#ASMEND
	;;#ASMSTART
	v_dot2_f32_f16 v54, v58, v62, v54
	;;#ASMEND
	;;#ASMSTART
	v_dot2_f32_f16 v54, v59, v63, v54
	;;#ASMEND
	s_waitcnt lgkmcnt(0)
	;;#ASMSTART
	v_dot2_f32_f16 v55, v64, v60, v55
	;;#ASMEND
	;;#ASMSTART
	v_dot2_f32_f16 v55, v65, v61, v55
	;;#ASMEND
	;;#ASMSTART
	v_dot2_f32_f16 v55, v66, v62, v55
	;;#ASMEND
	;;#ASMSTART
	v_dot2_f32_f16 v55, v67, v63, v55
	;;#ASMEND
	ds_read_b128 v[56:59], v40 offset:32
	ds_read_b128 v[60:63], v39 offset:32
	ds_read_b128 v[64:67], v40 offset:8736
	s_waitcnt lgkmcnt(1)
	;;#ASMSTART
	v_dot2_f32_f16 v54, v56, v60, v54
	;;#ASMEND
	;;#ASMSTART
	v_dot2_f32_f16 v54, v57, v61, v54
	;;#ASMEND
	;; [unrolled: 29-line block ×15, first 2 shown]
	;;#ASMSTART
	v_dot2_f32_f16 v54, v58, v62, v54
	;;#ASMEND
	;;#ASMSTART
	v_dot2_f32_f16 v54, v59, v63, v54
	;;#ASMEND
	s_waitcnt lgkmcnt(0)
	;;#ASMSTART
	v_dot2_f32_f16 v55, v64, v60, v55
	;;#ASMEND
	;;#ASMSTART
	v_dot2_f32_f16 v55, v65, v61, v55
	;;#ASMEND
	;; [unrolled: 3-line block ×3, first 2 shown]
	v_cmp_nlt_f32_e64 s[6:7], |v54|, s41
	;;#ASMSTART
	v_dot2_f32_f16 v55, v67, v63, v55
	;;#ASMEND
                                        ; implicit-def: $vgpr56
	s_and_saveexec_b64 s[16:17], s[6:7]
	s_xor_b64 s[6:7], exec, s[16:17]
	s_cbranch_execz .LBB89_10
; %bb.9:                                ;   in Loop: Header=BB89_8 Depth=1
	v_add_f32_e64 v6, |v54|, |v54|
	v_mul_f32_e32 v7, 0x3fb8aa3b, v6
	v_rndne_f32_e32 v24, v7
	v_sub_f32_e32 v25, v7, v24
	v_fma_f32 v7, v6, s42, -v7
	v_fmac_f32_e32 v7, 0x32a5705f, v6
	v_add_f32_e32 v7, v25, v7
	v_cvt_i32_f32_e32 v24, v24
	v_exp_f32_e32 v7, v7
	v_cmp_ngt_f32_e32 vcc, s43, v6
	v_ldexp_f32 v7, v7, v24
	v_cndmask_b32_e32 v7, 0, v7, vcc
	v_cmp_nlt_f32_e32 vcc, s46, v6
	v_cndmask_b32_e32 v6, v51, v7, vcc
	v_add_f32_e32 v6, 1.0, v6
	v_rcp_f32_e32 v6, v6
	v_fma_f32 v56, v6, -2.0, 1.0
.LBB89_10:                              ;   in Loop: Header=BB89_8 Depth=1
	s_andn2_saveexec_b64 s[6:7], s[6:7]
; %bb.11:                               ;   in Loop: Header=BB89_8 Depth=1
	v_mul_f32_e32 v6, v54, v54
	v_mov_b32_e32 v7, 0x3ca908c9
	v_fmac_f32_e32 v7, 0xbbbac73d, v6
	v_fma_f32 v7, v6, v7, v47
	v_fma_f32 v7, v6, v7, v48
	;; [unrolled: 1-line block ×3, first 2 shown]
	v_mul_f32_e64 v7, |v54|, v7
	v_fma_f32 v56, v6, v7, |v54|
; %bb.12:                               ;   in Loop: Header=BB89_8 Depth=1
	s_or_b64 exec, exec, s[6:7]
	v_add_u32_e32 v24, s26, v2
	v_cndmask_b32_e64 v6, 0, 1, s[10:11]
	v_cmp_ne_u32_e64 s[6:7], 1, v6
	s_andn2_b64 vcc, exec, s[10:11]
	v_ashrrev_i32_e32 v25, 31, v24
	s_cbranch_vccnz .LBB89_22
; %bb.13:                               ;   in Loop: Header=BB89_8 Depth=1
	v_lshlrev_b64 v[6:7], 1, v[24:25]
	v_mov_b32_e32 v57, s45
	v_add_co_u32_e32 v6, vcc, s44, v6
	v_addc_co_u32_e32 v7, vcc, v57, v7, vcc
	flat_load_ushort v6, v[6:7]
	s_waitcnt vmcnt(0) lgkmcnt(0)
	v_cvt_f32_f16_e32 v6, v6
	v_mul_f32_e32 v6, v32, v6
	v_cmp_nlt_f32_e64 s[16:17], |v55|, s41
                                        ; implicit-def: $vgpr57
	s_and_saveexec_b64 s[48:49], s[16:17]
	s_xor_b64 s[16:17], exec, s[48:49]
	s_cbranch_execz .LBB89_15
.LBB89_14:                              ;   in Loop: Header=BB89_8 Depth=1
	v_add_f32_e64 v7, |v55|, |v55|
	v_mul_f32_e32 v57, 0x3fb8aa3b, v7
	v_rndne_f32_e32 v58, v57
	v_sub_f32_e32 v59, v57, v58
	v_fma_f32 v57, v7, s42, -v57
	v_fmac_f32_e32 v57, 0x32a5705f, v7
	v_add_f32_e32 v57, v59, v57
	v_cvt_i32_f32_e32 v58, v58
	v_exp_f32_e32 v57, v57
	v_cmp_ngt_f32_e32 vcc, s43, v7
	v_ldexp_f32 v57, v57, v58
	v_cndmask_b32_e32 v57, 0, v57, vcc
	v_cmp_nlt_f32_e32 vcc, s46, v7
	v_cndmask_b32_e32 v7, v51, v57, vcc
	v_add_f32_e32 v7, 1.0, v7
	v_rcp_f32_e32 v7, v7
	v_fma_f32 v57, v7, -2.0, 1.0
.LBB89_15:                              ;   in Loop: Header=BB89_8 Depth=1
	s_andn2_saveexec_b64 s[16:17], s[16:17]
	s_cbranch_execz .LBB89_18
; %bb.16:                               ;   in Loop: Header=BB89_8 Depth=1
	v_mul_f32_e32 v7, v55, v55
	v_mov_b32_e32 v57, 0x3ca908c9
	v_fmac_f32_e32 v57, 0xbbbac73d, v7
	v_fma_f32 v57, v7, v57, v47
	v_fma_f32 v57, v7, v57, v48
	v_fma_f32 v57, v7, v57, v49
	v_mul_f32_e64 v57, |v55|, v57
	v_fma_f32 v57, v7, v57, |v55|
	s_or_b64 exec, exec, s[16:17]
	s_and_b64 vcc, exec, s[6:7]
	s_cbranch_vccz .LBB89_19
.LBB89_17:                              ;   in Loop: Header=BB89_8 Depth=1
	v_mov_b32_e32 v7, 0
	s_branch .LBB89_20
.LBB89_18:                              ;   in Loop: Header=BB89_8 Depth=1
	s_or_b64 exec, exec, s[16:17]
	s_and_b64 vcc, exec, s[6:7]
	s_cbranch_vccnz .LBB89_17
.LBB89_19:                              ;   in Loop: Header=BB89_8 Depth=1
	v_lshlrev_b64 v[24:25], 1, v[24:25]
	v_mov_b32_e32 v7, s40
	v_add_co_u32_e32 v24, vcc, s37, v24
	v_addc_co_u32_e32 v25, vcc, v7, v25, vcc
	flat_load_ushort v7, v[24:25]
	s_waitcnt vmcnt(0) lgkmcnt(0)
	v_cvt_f32_f16_e32 v7, v7
	v_mul_f32_e32 v7, v32, v7
.LBB89_20:                              ;   in Loop: Header=BB89_8 Depth=1
	v_bfi_b32 v24, s47, v56, v54
	v_and_b32_e32 v54, 0x60, v50
	v_bfi_b32 v25, s47, v57, v55
	v_add_u32_e32 v72, 32, v54
	v_xor_b32_e32 v54, 16, v50
	v_cmp_lt_i32_e32 vcc, v54, v72
	v_pk_fma_f32 v[24:25], v[24:25], s[22:23], v[6:7]
	v_cndmask_b32_e32 v54, v50, v54, vcc
	v_add_f32_e32 v6, 0x40051340, v24
	v_add_f32_e32 v7, 0x40051340, v25
	v_lshlrev_b32_e32 v54, 2, v54
	v_max3_f32 v6, v53, v6, v7
	ds_bpermute_b32 v7, v54, v6
	s_mul_hi_i32 s7, s26, s8
	s_mul_i32 s6, s26, s8
	v_xor_b32_e32 v55, 8, v50
	s_lshl_b64 s[6:7], s[6:7], 2
	v_cmp_lt_i32_e32 vcc, v55, v72
	s_add_u32 s6, s20, s6
	v_cndmask_b32_e32 v55, v50, v55, vcc
	s_waitcnt lgkmcnt(0)
	v_max_f32_e32 v7, v7, v7
	s_addc_u32 s7, s21, s7
	v_lshlrev_b32_e32 v54, 2, v55
	v_max_f32_e32 v73, v6, v7
	v_mov_b32_e32 v6, s7
	v_add_co_u32_e32 v7, vcc, s6, v16
	ds_bpermute_b32 v74, v54, v73
	v_addc_co_u32_e32 v54, vcc, v6, v17, vcc
	v_add_co_u32_e32 v6, vcc, v7, v46
	v_addc_co_u32_e32 v7, vcc, 0, v54, vcc
	v_mov_b32_e32 v54, s7
	v_add_co_u32_e32 v55, vcc, s6, v18
	v_addc_co_u32_e32 v54, vcc, v54, v19, vcc
	v_add_co_u32_e32 v62, vcc, v55, v46
	v_addc_co_u32_e32 v63, vcc, 0, v54, vcc
	s_waitcnt lgkmcnt(0)
	s_barrier
	global_load_dwordx4 v[54:57], v[6:7], off
	global_load_dwordx4 v[58:61], v[62:63], off
	v_mov_b32_e32 v6, s7
	v_add_co_u32_e32 v7, vcc, s6, v20
	v_addc_co_u32_e32 v62, vcc, v6, v21, vcc
	v_add_co_u32_e32 v6, vcc, v7, v46
	v_addc_co_u32_e32 v7, vcc, 0, v62, vcc
	v_mov_b32_e32 v62, s7
	v_add_co_u32_e32 v63, vcc, s6, v22
	v_addc_co_u32_e32 v62, vcc, v62, v23, vcc
	v_add_co_u32_e32 v70, vcc, v63, v46
	v_addc_co_u32_e32 v71, vcc, 0, v62, vcc
	global_load_dwordx4 v[62:65], v[6:7], off
	global_load_dwordx4 v[66:69], v[70:71], off
	v_xor_b32_e32 v6, 4, v50
	v_cmp_lt_i32_e32 vcc, v6, v72
	v_cndmask_b32_e32 v6, v50, v6, vcc
	v_max_f32_e32 v7, v74, v74
	v_lshlrev_b32_e32 v6, 2, v6
	v_max_f32_e32 v7, v73, v7
	ds_bpermute_b32 v6, v6, v7
	v_xor_b32_e32 v70, 2, v50
	v_cmp_lt_i32_e32 vcc, v70, v72
	v_cndmask_b32_e32 v70, v50, v70, vcc
	v_lshlrev_b32_e32 v70, 2, v70
	s_waitcnt lgkmcnt(0)
	v_max_f32_e32 v6, v6, v6
	v_max_f32_e32 v6, v7, v6
	ds_bpermute_b32 v7, v70, v6
	v_xor_b32_e32 v70, 1, v50
	v_cmp_lt_i32_e32 vcc, v70, v72
	v_cndmask_b32_e32 v70, v50, v70, vcc
	v_lshlrev_b32_e32 v70, 2, v70
	s_waitcnt lgkmcnt(0)
	v_max_f32_e32 v7, v7, v7
	v_max_f32_e32 v6, v6, v7
	ds_bpermute_b32 v7, v70, v6
	s_waitcnt lgkmcnt(0)
	v_max_f32_e32 v7, v7, v7
	v_max_f32_e32 v6, v6, v7
	v_pk_add_f32 v[24:25], v[24:25], v[6:7] op_sel_hi:[1,0] neg_lo:[0,1] neg_hi:[0,1]
	v_mul_f32_e32 v7, 0x3fb8aa3b, v25
	v_fma_f32 v70, v25, s42, -v7
	v_rndne_f32_e32 v71, v7
	v_fmac_f32_e32 v70, 0x32a5705f, v25
	v_sub_f32_e32 v7, v7, v71
	v_add_f32_e32 v7, v7, v70
	v_exp_f32_e32 v7, v7
	v_cvt_i32_f32_e32 v70, v71
	v_cmp_ngt_f32_e32 vcc, s43, v25
	v_sub_f32_e32 v53, v53, v6
	v_ldexp_f32 v7, v7, v70
	v_mul_f32_e32 v70, 0x3fb8aa3b, v24
	v_fma_f32 v71, v24, s42, -v70
	v_rndne_f32_e32 v72, v70
	v_fmac_f32_e32 v71, 0x32a5705f, v24
	v_sub_f32_e32 v70, v70, v72
	v_add_f32_e32 v70, v70, v71
	v_exp_f32_e32 v70, v70
	v_cvt_i32_f32_e32 v71, v72
	v_cndmask_b32_e32 v7, 0, v7, vcc
	v_cmp_nlt_f32_e32 vcc, s46, v25
	v_cndmask_b32_e32 v25, v51, v7, vcc
	v_ldexp_f32 v7, v70, v71
	v_cmp_ngt_f32_e32 vcc, s43, v24
	v_cndmask_b32_e32 v7, 0, v7, vcc
	v_cmp_nlt_f32_e32 vcc, s46, v24
	v_mul_f32_e32 v24, 0x3fb8aa3b, v53
	v_fma_f32 v70, v53, s42, -v24
	v_rndne_f32_e32 v71, v24
	v_fmac_f32_e32 v70, 0x32a5705f, v53
	v_sub_f32_e32 v24, v24, v71
	v_add_f32_e32 v24, v24, v70
	v_exp_f32_e32 v24, v24
	v_cvt_i32_f32_e32 v70, v71
	v_cndmask_b32_e32 v7, v51, v7, vcc
	v_cvt_f16_f32_e32 v71, v7
	v_add_f32_e32 v7, v7, v25
	v_cvt_f16_f32_e32 v25, v25
	v_ldexp_f32 v24, v24, v70
	v_cmp_ngt_f32_e32 vcc, s43, v53
	v_cndmask_b32_e32 v24, 0, v24, vcc
	v_cmp_nlt_f32_e32 vcc, s46, v53
	v_cndmask_b32_e32 v24, v51, v24, vcc
	v_fmac_f32_e32 v7, v52, v24
	ds_write_b16 v41, v71
	ds_write_b16 v41, v25 offset:64
	s_waitcnt vmcnt(3)
	ds_write_b128 v42, v[54:57]
	s_waitcnt vmcnt(2)
	ds_write_b128 v43, v[58:61]
	;; [unrolled: 2-line block ×4, first 2 shown]
	s_waitcnt lgkmcnt(0)
	s_barrier
	ds_read2_b64 v[52:55], v27 offset1:32
	ds_read_b128 v[56:59], v3
	v_cvt_f16_f32_e32 v24, v24
	ds_read_b128 v[60:63], v3 offset:16
	ds_read_b128 v[64:67], v3 offset:32
	;; [unrolled: 1-line block ×3, first 2 shown]
	ds_read2_b64 v[72:75], v27 offset0:64 offset1:96
	s_waitcnt lgkmcnt(4)
	v_pk_mul_f16 v25, v52, v56 op_sel_hi:[1,0]
	v_pk_fma_f16 v25, v28, v24, v25 op_sel_hi:[1,0,1]
	v_pk_mul_f16 v28, v53, v56 op_sel_hi:[1,0]
	v_pk_fma_f16 v24, v29, v24, v28 op_sel_hi:[1,0,1]
	v_pk_fma_f16 v25, v54, v56, v25 op_sel:[0,1,0]
	v_pk_fma_f16 v24, v55, v56, v24 op_sel:[0,1,0]
	ds_read2_b64 v[52:55], v27 offset0:128 offset1:160
	s_waitcnt lgkmcnt(1)
	v_pk_fma_f16 v25, v72, v57, v25 op_sel_hi:[1,0,1]
	v_pk_fma_f16 v24, v73, v57, v24 op_sel_hi:[1,0,1]
	v_pk_fma_f16 v25, v74, v57, v25 op_sel:[0,1,0]
	v_pk_fma_f16 v24, v75, v57, v24 op_sel:[0,1,0]
	ds_read2_b64 v[72:75], v27 offset0:192 offset1:224
	s_waitcnt lgkmcnt(1)
	v_pk_fma_f16 v25, v52, v58, v25 op_sel_hi:[1,0,1]
	v_pk_fma_f16 v24, v53, v58, v24 op_sel_hi:[1,0,1]
	v_add_u32_e32 v28, 0x800, v27
	v_pk_fma_f16 v25, v54, v58, v25 op_sel:[0,1,0]
	v_pk_fma_f16 v24, v55, v58, v24 op_sel:[0,1,0]
	ds_read2_b64 v[52:55], v28 offset1:32
	s_waitcnt lgkmcnt(1)
	v_pk_fma_f16 v25, v72, v59, v25 op_sel_hi:[1,0,1]
	v_pk_fma_f16 v24, v73, v59, v24 op_sel_hi:[1,0,1]
	v_pk_fma_f16 v25, v74, v59, v25 op_sel:[0,1,0]
	v_pk_fma_f16 v24, v75, v59, v24 op_sel:[0,1,0]
	ds_read2_b64 v[56:59], v28 offset0:64 offset1:96
	s_waitcnt lgkmcnt(1)
	v_pk_fma_f16 v25, v52, v60, v25 op_sel_hi:[1,0,1]
	v_pk_fma_f16 v24, v53, v60, v24 op_sel_hi:[1,0,1]
	v_pk_fma_f16 v25, v54, v60, v25 op_sel:[0,1,0]
	v_pk_fma_f16 v24, v55, v60, v24 op_sel:[0,1,0]
	ds_read2_b64 v[52:55], v28 offset0:128 offset1:160
	s_waitcnt lgkmcnt(1)
	v_pk_fma_f16 v25, v56, v61, v25 op_sel_hi:[1,0,1]
	v_pk_fma_f16 v24, v57, v61, v24 op_sel_hi:[1,0,1]
	v_pk_fma_f16 v25, v58, v61, v25 op_sel:[0,1,0]
	v_pk_fma_f16 v24, v59, v61, v24 op_sel:[0,1,0]
	ds_read2_b64 v[56:59], v28 offset0:192 offset1:224
	s_waitcnt lgkmcnt(1)
	v_pk_fma_f16 v25, v52, v62, v25 op_sel_hi:[1,0,1]
	v_pk_fma_f16 v24, v53, v62, v24 op_sel_hi:[1,0,1]
	v_add_u32_e32 v28, 0x1000, v27
	v_pk_fma_f16 v25, v54, v62, v25 op_sel:[0,1,0]
	v_pk_fma_f16 v24, v55, v62, v24 op_sel:[0,1,0]
	ds_read2_b64 v[52:55], v28 offset1:32
	s_waitcnt lgkmcnt(1)
	v_pk_fma_f16 v25, v56, v63, v25 op_sel_hi:[1,0,1]
	v_pk_fma_f16 v24, v57, v63, v24 op_sel_hi:[1,0,1]
	v_pk_fma_f16 v25, v58, v63, v25 op_sel:[0,1,0]
	v_pk_fma_f16 v24, v59, v63, v24 op_sel:[0,1,0]
	ds_read2_b64 v[56:59], v28 offset0:64 offset1:96
	s_waitcnt lgkmcnt(1)
	v_pk_fma_f16 v25, v52, v64, v25 op_sel_hi:[1,0,1]
	;; [unrolled: 25-line block ×3, first 2 shown]
	v_pk_fma_f16 v24, v53, v68, v24 op_sel_hi:[1,0,1]
	v_pk_fma_f16 v25, v54, v68, v25 op_sel:[0,1,0]
	v_pk_fma_f16 v24, v55, v68, v24 op_sel:[0,1,0]
	ds_read2_b64 v[52:55], v28 offset0:128 offset1:160
	s_waitcnt lgkmcnt(1)
	v_pk_fma_f16 v25, v56, v69, v25 op_sel_hi:[1,0,1]
	v_pk_fma_f16 v24, v57, v69, v24 op_sel_hi:[1,0,1]
	v_pk_fma_f16 v25, v58, v69, v25 op_sel:[0,1,0]
	v_pk_fma_f16 v24, v59, v69, v24 op_sel:[0,1,0]
	ds_read2_b64 v[56:59], v28 offset0:192 offset1:224
	s_waitcnt lgkmcnt(1)
	v_pk_fma_f16 v25, v52, v70, v25 op_sel_hi:[1,0,1]
	v_pk_fma_f16 v24, v53, v70, v24 op_sel_hi:[1,0,1]
	v_add_u32_e32 v28, 0x2000, v27
	v_pk_fma_f16 v25, v54, v70, v25 op_sel:[0,1,0]
	v_pk_fma_f16 v24, v55, v70, v24 op_sel:[0,1,0]
	ds_read2_b64 v[52:55], v28 offset1:32
	ds_read_b128 v[60:63], v3 offset:64
	s_waitcnt lgkmcnt(2)
	v_pk_fma_f16 v25, v56, v71, v25 op_sel_hi:[1,0,1]
	v_pk_fma_f16 v24, v57, v71, v24 op_sel_hi:[1,0,1]
	v_pk_fma_f16 v25, v58, v71, v25 op_sel:[0,1,0]
	v_pk_fma_f16 v24, v59, v71, v24 op_sel:[0,1,0]
	ds_read2_b64 v[56:59], v28 offset0:64 offset1:96
	ds_read_b128 v[64:67], v3 offset:80
	s_waitcnt lgkmcnt(2)
	v_pk_fma_f16 v25, v52, v60, v25 op_sel_hi:[1,0,1]
	v_pk_fma_f16 v24, v53, v60, v24 op_sel_hi:[1,0,1]
	v_pk_fma_f16 v25, v54, v60, v25 op_sel:[0,1,0]
	v_pk_fma_f16 v24, v55, v60, v24 op_sel:[0,1,0]
	ds_read2_b64 v[52:55], v28 offset0:128 offset1:160
	s_waitcnt lgkmcnt(2)
	v_pk_fma_f16 v25, v56, v61, v25 op_sel_hi:[1,0,1]
	v_pk_fma_f16 v24, v57, v61, v24 op_sel_hi:[1,0,1]
	v_pk_fma_f16 v25, v58, v61, v25 op_sel:[0,1,0]
	v_pk_fma_f16 v24, v59, v61, v24 op_sel:[0,1,0]
	ds_read2_b64 v[56:59], v28 offset0:192 offset1:224
	s_waitcnt lgkmcnt(1)
	v_pk_fma_f16 v25, v52, v62, v25 op_sel_hi:[1,0,1]
	v_pk_fma_f16 v24, v53, v62, v24 op_sel_hi:[1,0,1]
	v_add_u32_e32 v28, 0x2800, v27
	v_pk_fma_f16 v25, v54, v62, v25 op_sel:[0,1,0]
	v_pk_fma_f16 v24, v55, v62, v24 op_sel:[0,1,0]
	ds_read2_b64 v[52:55], v28 offset1:32
	s_waitcnt lgkmcnt(1)
	v_pk_fma_f16 v25, v56, v63, v25 op_sel_hi:[1,0,1]
	v_pk_fma_f16 v24, v57, v63, v24 op_sel_hi:[1,0,1]
	v_pk_fma_f16 v25, v58, v63, v25 op_sel:[0,1,0]
	v_pk_fma_f16 v24, v59, v63, v24 op_sel:[0,1,0]
	ds_read2_b64 v[56:59], v28 offset0:64 offset1:96
	s_waitcnt lgkmcnt(1)
	v_pk_fma_f16 v25, v52, v64, v25 op_sel_hi:[1,0,1]
	v_pk_fma_f16 v24, v53, v64, v24 op_sel_hi:[1,0,1]
	v_pk_fma_f16 v25, v54, v64, v25 op_sel:[0,1,0]
	v_pk_fma_f16 v24, v55, v64, v24 op_sel:[0,1,0]
	ds_read2_b64 v[52:55], v28 offset0:128 offset1:160
	;; [unrolled: 6-line block ×3, first 2 shown]
	s_waitcnt lgkmcnt(1)
	v_pk_fma_f16 v25, v52, v66, v25 op_sel_hi:[1,0,1]
	v_pk_fma_f16 v24, v53, v66, v24 op_sel_hi:[1,0,1]
	v_add_u32_e32 v28, 0x3000, v27
	v_pk_fma_f16 v25, v54, v66, v25 op_sel:[0,1,0]
	v_pk_fma_f16 v24, v55, v66, v24 op_sel:[0,1,0]
	ds_read2_b64 v[52:55], v28 offset1:32
	ds_read_b128 v[60:63], v3 offset:96
	s_waitcnt lgkmcnt(2)
	v_pk_fma_f16 v25, v56, v67, v25 op_sel_hi:[1,0,1]
	v_pk_fma_f16 v24, v57, v67, v24 op_sel_hi:[1,0,1]
	v_pk_fma_f16 v25, v58, v67, v25 op_sel:[0,1,0]
	v_pk_fma_f16 v24, v59, v67, v24 op_sel:[0,1,0]
	ds_read2_b64 v[64:67], v28 offset0:64 offset1:96
	s_waitcnt lgkmcnt(1)
	v_pk_fma_f16 v25, v52, v60, v25 op_sel_hi:[1,0,1]
	v_pk_fma_f16 v24, v53, v60, v24 op_sel_hi:[1,0,1]
	v_pk_fma_f16 v25, v54, v60, v25 op_sel:[0,1,0]
	v_pk_fma_f16 v24, v55, v60, v24 op_sel:[0,1,0]
	ds_read2_b64 v[52:55], v28 offset0:128 offset1:160
	;; [unrolled: 6-line block ×3, first 2 shown]
	s_waitcnt lgkmcnt(1)
	v_pk_fma_f16 v25, v52, v62, v25 op_sel_hi:[1,0,1]
	v_pk_fma_f16 v24, v53, v62, v24 op_sel_hi:[1,0,1]
	v_add_u32_e32 v28, 0x3800, v27
	ds_read_b128 v[56:59], v3 offset:112
	v_pk_fma_f16 v25, v54, v62, v25 op_sel:[0,1,0]
	v_pk_fma_f16 v24, v55, v62, v24 op_sel:[0,1,0]
	ds_read2_b64 v[52:55], v28 offset1:32
	s_waitcnt lgkmcnt(2)
	v_pk_fma_f16 v25, v64, v63, v25 op_sel_hi:[1,0,1]
	v_pk_fma_f16 v24, v65, v63, v24 op_sel_hi:[1,0,1]
	v_pk_fma_f16 v25, v66, v63, v25 op_sel:[0,1,0]
	v_pk_fma_f16 v24, v67, v63, v24 op_sel:[0,1,0]
	ds_read2_b64 v[60:63], v28 offset0:64 offset1:96
	s_waitcnt lgkmcnt(1)
	v_pk_fma_f16 v25, v52, v56, v25 op_sel_hi:[1,0,1]
	v_pk_fma_f16 v24, v53, v56, v24 op_sel_hi:[1,0,1]
	v_pk_fma_f16 v25, v54, v56, v25 op_sel:[0,1,0]
	v_pk_fma_f16 v24, v55, v56, v24 op_sel:[0,1,0]
	ds_read2_b64 v[52:55], v28 offset0:128 offset1:160
	;; [unrolled: 6-line block ×3, first 2 shown]
	s_waitcnt lgkmcnt(0)
	s_barrier
	s_load_dword s6, s[12:13], 0x4
	v_pk_fma_f16 v25, v52, v58, v25 op_sel_hi:[1,0,1]
	v_pk_fma_f16 v24, v53, v58, v24 op_sel_hi:[1,0,1]
	v_pk_fma_f16 v25, v54, v58, v25 op_sel:[0,1,0]
	v_pk_fma_f16 v24, v55, v58, v24 op_sel:[0,1,0]
	s_waitcnt lgkmcnt(0)
	s_lshl_b32 s6, s6, 6
	v_pk_fma_f16 v25, v60, v59, v25 op_sel_hi:[1,0,1]
	v_pk_fma_f16 v24, v61, v59, v24 op_sel_hi:[1,0,1]
	s_add_i32 s26, s6, s26
	v_pk_fma_f16 v28, v62, v59, v25 op_sel:[0,1,0]
	s_cmp_lt_i32 s26, s36
	v_pk_fma_f16 v29, v63, v59, v24 op_sel:[0,1,0]
	s_cbranch_scc0 .LBB89_24
; %bb.21:                               ;   in Loop: Header=BB89_8 Depth=1
	v_mov_b32_e32 v53, v6
	v_mov_b32_e32 v52, v7
	s_branch .LBB89_8
.LBB89_22:                              ;   in Loop: Header=BB89_8 Depth=1
	v_mov_b32_e32 v6, 0
	v_cmp_nlt_f32_e64 s[16:17], |v55|, s41
                                        ; implicit-def: $vgpr57
	s_and_saveexec_b64 s[48:49], s[16:17]
	s_xor_b64 s[16:17], exec, s[48:49]
	s_cbranch_execz .LBB89_15
	s_branch .LBB89_14
.LBB89_23:
	v_mov_b32_e32 v28, 0
.LBB89_24:
	s_cmp_gt_i32 s14, s26
	s_cbranch_scc1 .LBB89_26
; %bb.25:
	v_mbcnt_hi_u32_b32 v12, -1, v33
	v_and_b32_e32 v2, 0x60, v12
	v_add_u32_e32 v13, 32, v2
	v_xor_b32_e32 v14, 16, v12
	v_xor_b32_e32 v15, 8, v12
	;; [unrolled: 1-line block ×5, first 2 shown]
	v_pk_mov_b32 v[8:9], v[6:7], v[6:7] op_sel:[0,1]
	s_cbranch_execz .LBB89_27
	s_branch .LBB89_46
.LBB89_26:
                                        ; implicit-def: $vgpr12
                                        ; implicit-def: $vgpr13
                                        ; implicit-def: $vgpr14
                                        ; implicit-def: $vgpr15
                                        ; implicit-def: $vgpr16
                                        ; implicit-def: $vgpr17
                                        ; implicit-def: $vgpr18
                                        ; implicit-def: $vgpr8_vgpr9
.LBB89_27:
	s_mul_hi_i32 s7, s26, s15
	s_mul_i32 s6, s26, s15
	v_lshl_add_u32 v2, v30, 1, v1
	s_sub_i32 s22, s14, s26
	s_lshl_b64 s[6:7], s[6:7], 2
	v_mul_lo_u32 v14, s15, v2
	s_add_u32 s12, s18, s6
	v_ashrrev_i32_e32 v15, 31, v14
	s_addc_u32 s13, s19, s7
	v_lshlrev_b64 v[10:11], 2, v[14:15]
	v_lshlrev_b32_e32 v9, 2, v0
	v_mov_b32_e32 v0, s13
	v_add_co_u32_e32 v3, vcc, s12, v10
	v_addc_co_u32_e32 v0, vcc, v0, v11, vcc
	s_mov_b64 s[6:7], src_private_base
	v_add_co_u32_e32 v3, vcc, v3, v9
	v_addc_co_u32_e32 v0, vcc, 0, v0, vcc
	v_mov_b32_e32 v8, s7
	v_cmp_gt_i32_e64 s[6:7], s22, v2
	v_mov_b32_e32 v1, 0
	v_cndmask_b32_e64 v11, v8, v0, s[6:7]
	v_mov_b32_e32 v0, 0
	buffer_store_dword v1, off, s[0:3], 0
	buffer_store_dword v1, off, s[0:3], 0 offset:8
	buffer_store_dword v1, off, s[0:3], 0 offset:4
	;; [unrolled: 1-line block ×3, first 2 shown]
	v_cndmask_b32_e64 v10, v0, v3, s[6:7]
	flat_load_dwordx4 v[10:13], v[10:11]
	s_lshl_b32 s14, s15, 4
	v_add_u32_e32 v16, s14, v14
	v_ashrrev_i32_e32 v17, 31, v16
	v_lshlrev_b64 v[14:15], 2, v[16:17]
	v_mov_b32_e32 v18, s13
	v_add_co_u32_e32 v14, vcc, s12, v14
	v_addc_co_u32_e32 v15, vcc, v18, v15, vcc
	s_movk_i32 s10, 0x110
	v_add_u32_e32 v3, 16, v2
	v_add_co_u32_e32 v14, vcc, v14, v9
	v_mad_u32_u24 v20, v2, s10, v9
	v_addc_co_u32_e32 v15, vcc, 0, v15, vcc
	v_cmp_gt_i32_e64 s[10:11], s22, v3
	buffer_store_dword v1, off, s[0:3], 0
	buffer_store_dword v1, off, s[0:3], 0 offset:8
	buffer_store_dword v1, off, s[0:3], 0 offset:4
	;; [unrolled: 1-line block ×3, first 2 shown]
	v_cndmask_b32_e64 v15, v8, v15, s[10:11]
	v_cndmask_b32_e64 v14, v0, v14, s[10:11]
	v_add_u32_e32 v16, s14, v16
	v_ashrrev_i32_e32 v17, 31, v16
	v_lshlrev_b64 v[18:19], 2, v[16:17]
	v_add_co_u32_e32 v17, vcc, s12, v18
	v_add_u32_e32 v16, s14, v16
	s_mov_b32 s14, 0x3f200000
	s_waitcnt vmcnt(0) lgkmcnt(0)
	ds_write_b128 v20, v[10:13]
	flat_load_dwordx4 v[12:15], v[14:15]
	v_mov_b32_e32 v11, s13
	v_addc_co_u32_e32 v11, vcc, v11, v19, vcc
	v_add_u32_e32 v10, 32, v2
	v_add_co_u32_e32 v17, vcc, v17, v9
	v_addc_co_u32_e32 v11, vcc, 0, v11, vcc
	v_cmp_gt_i32_e64 s[16:17], s22, v10
	v_cndmask_b32_e64 v19, v8, v11, s[16:17]
	v_cndmask_b32_e64 v18, v0, v17, s[16:17]
	buffer_store_dword v1, off, s[0:3], 0
	buffer_store_dword v1, off, s[0:3], 0 offset:8
	buffer_store_dword v1, off, s[0:3], 0 offset:4
	;; [unrolled: 1-line block ×3, first 2 shown]
	v_ashrrev_i32_e32 v17, 31, v16
	v_lshlrev_b64 v[16:17], 2, v[16:17]
	v_add_co_u32_e32 v16, vcc, s12, v16
	v_add_u32_e32 v11, 48, v2
	s_waitcnt vmcnt(0) lgkmcnt(0)
	ds_write_b128 v20, v[12:15] offset:4352
	flat_load_dwordx4 v[12:15], v[18:19]
	v_mov_b32_e32 v18, s13
	v_addc_co_u32_e32 v17, vcc, v18, v17, vcc
	v_add_co_u32_e32 v16, vcc, v16, v9
	v_addc_co_u32_e32 v17, vcc, 0, v17, vcc
	v_cmp_gt_i32_e64 s[12:13], s22, v11
	v_cndmask_b32_e64 v17, v8, v17, s[12:13]
	v_cndmask_b32_e64 v16, v0, v16, s[12:13]
	buffer_store_dword v1, off, s[0:3], 0
	buffer_store_dword v1, off, s[0:3], 0 offset:8
	buffer_store_dword v1, off, s[0:3], 0 offset:4
	;; [unrolled: 1-line block ×3, first 2 shown]
	v_mul_u32_u24_e32 v8, 0x110, v4
	v_mov_b32_e32 v0, 0
	s_waitcnt vmcnt(0) lgkmcnt(0)
	ds_write_b128 v20, v[12:15] offset:8704
	flat_load_dwordx4 v[14:17], v[16:17]
	v_lshlrev_b32_e32 v12, 8, v30
	s_waitcnt vmcnt(0) lgkmcnt(0)
	ds_write_b128 v20, v[14:17] offset:13056
	s_waitcnt lgkmcnt(0)
	s_barrier
	ds_read_b128 v[14:17], v8
	ds_read_b128 v[18:21], v12 offset:17408
	ds_read_b128 v[22:25], v8 offset:8704
	s_waitcnt lgkmcnt(1)
	;;#ASMSTART
	v_dot2_f32_f16 v0, v14, v18, v0
	;;#ASMEND
	;;#ASMSTART
	v_dot2_f32_f16 v0, v15, v19, v0
	;;#ASMEND
	;;#ASMSTART
	v_dot2_f32_f16 v0, v16, v20, v0
	;;#ASMEND
	;;#ASMSTART
	v_dot2_f32_f16 v0, v17, v21, v0
	;;#ASMEND
	s_waitcnt lgkmcnt(0)
	;;#ASMSTART
	v_dot2_f32_f16 v1, v22, v18, v1
	;;#ASMEND
	;;#ASMSTART
	v_dot2_f32_f16 v1, v23, v19, v1
	;;#ASMEND
	;;#ASMSTART
	v_dot2_f32_f16 v1, v24, v20, v1
	;;#ASMEND
	;;#ASMSTART
	v_dot2_f32_f16 v1, v25, v21, v1
	;;#ASMEND
	ds_read_b128 v[14:17], v8 offset:16
	ds_read_b128 v[18:21], v12 offset:17424
	ds_read_b128 v[22:25], v8 offset:8720
	s_waitcnt lgkmcnt(1)
	;;#ASMSTART
	v_dot2_f32_f16 v0, v14, v18, v0
	;;#ASMEND
	;;#ASMSTART
	v_dot2_f32_f16 v0, v15, v19, v0
	;;#ASMEND
	;;#ASMSTART
	v_dot2_f32_f16 v0, v16, v20, v0
	;;#ASMEND
	;;#ASMSTART
	v_dot2_f32_f16 v0, v17, v21, v0
	;;#ASMEND
	s_waitcnt lgkmcnt(0)
	;;#ASMSTART
	v_dot2_f32_f16 v1, v22, v18, v1
	;;#ASMEND
	;;#ASMSTART
	v_dot2_f32_f16 v1, v23, v19, v1
	;;#ASMEND
	;;#ASMSTART
	v_dot2_f32_f16 v1, v24, v20, v1
	;;#ASMEND
	;;#ASMSTART
	v_dot2_f32_f16 v1, v25, v21, v1
	;;#ASMEND
	ds_read_b128 v[14:17], v8 offset:32
	ds_read_b128 v[18:21], v12 offset:17440
	ds_read_b128 v[22:25], v8 offset:8736
	s_waitcnt lgkmcnt(1)
	;;#ASMSTART
	v_dot2_f32_f16 v0, v14, v18, v0
	;;#ASMEND
	;;#ASMSTART
	v_dot2_f32_f16 v0, v15, v19, v0
	;;#ASMEND
	;;#ASMSTART
	v_dot2_f32_f16 v0, v16, v20, v0
	;;#ASMEND
	;;#ASMSTART
	v_dot2_f32_f16 v0, v17, v21, v0
	;;#ASMEND
	s_waitcnt lgkmcnt(0)
	;;#ASMSTART
	v_dot2_f32_f16 v1, v22, v18, v1
	;;#ASMEND
	;;#ASMSTART
	v_dot2_f32_f16 v1, v23, v19, v1
	;;#ASMEND
	;;#ASMSTART
	v_dot2_f32_f16 v1, v24, v20, v1
	;;#ASMEND
	;;#ASMSTART
	v_dot2_f32_f16 v1, v25, v21, v1
	;;#ASMEND
	ds_read_b128 v[14:17], v8 offset:48
	ds_read_b128 v[18:21], v12 offset:17456
	ds_read_b128 v[22:25], v8 offset:8752
	s_waitcnt lgkmcnt(1)
	;;#ASMSTART
	v_dot2_f32_f16 v0, v14, v18, v0
	;;#ASMEND
	;;#ASMSTART
	v_dot2_f32_f16 v0, v15, v19, v0
	;;#ASMEND
	;;#ASMSTART
	v_dot2_f32_f16 v0, v16, v20, v0
	;;#ASMEND
	;;#ASMSTART
	v_dot2_f32_f16 v0, v17, v21, v0
	;;#ASMEND
	s_waitcnt lgkmcnt(0)
	;;#ASMSTART
	v_dot2_f32_f16 v1, v22, v18, v1
	;;#ASMEND
	;;#ASMSTART
	v_dot2_f32_f16 v1, v23, v19, v1
	;;#ASMEND
	;;#ASMSTART
	v_dot2_f32_f16 v1, v24, v20, v1
	;;#ASMEND
	;;#ASMSTART
	v_dot2_f32_f16 v1, v25, v21, v1
	;;#ASMEND
	ds_read_b128 v[14:17], v8 offset:64
	ds_read_b128 v[18:21], v12 offset:17472
	ds_read_b128 v[22:25], v8 offset:8768
	s_waitcnt lgkmcnt(1)
	;;#ASMSTART
	v_dot2_f32_f16 v0, v14, v18, v0
	;;#ASMEND
	;;#ASMSTART
	v_dot2_f32_f16 v0, v15, v19, v0
	;;#ASMEND
	;;#ASMSTART
	v_dot2_f32_f16 v0, v16, v20, v0
	;;#ASMEND
	;;#ASMSTART
	v_dot2_f32_f16 v0, v17, v21, v0
	;;#ASMEND
	s_waitcnt lgkmcnt(0)
	;;#ASMSTART
	v_dot2_f32_f16 v1, v22, v18, v1
	;;#ASMEND
	;;#ASMSTART
	v_dot2_f32_f16 v1, v23, v19, v1
	;;#ASMEND
	;;#ASMSTART
	v_dot2_f32_f16 v1, v24, v20, v1
	;;#ASMEND
	;;#ASMSTART
	v_dot2_f32_f16 v1, v25, v21, v1
	;;#ASMEND
	ds_read_b128 v[14:17], v8 offset:80
	ds_read_b128 v[18:21], v12 offset:17488
	ds_read_b128 v[22:25], v8 offset:8784
	s_waitcnt lgkmcnt(1)
	;;#ASMSTART
	v_dot2_f32_f16 v0, v14, v18, v0
	;;#ASMEND
	;;#ASMSTART
	v_dot2_f32_f16 v0, v15, v19, v0
	;;#ASMEND
	;;#ASMSTART
	v_dot2_f32_f16 v0, v16, v20, v0
	;;#ASMEND
	;;#ASMSTART
	v_dot2_f32_f16 v0, v17, v21, v0
	;;#ASMEND
	s_waitcnt lgkmcnt(0)
	;;#ASMSTART
	v_dot2_f32_f16 v1, v22, v18, v1
	;;#ASMEND
	;;#ASMSTART
	v_dot2_f32_f16 v1, v23, v19, v1
	;;#ASMEND
	;;#ASMSTART
	v_dot2_f32_f16 v1, v24, v20, v1
	;;#ASMEND
	;;#ASMSTART
	v_dot2_f32_f16 v1, v25, v21, v1
	;;#ASMEND
	ds_read_b128 v[14:17], v8 offset:96
	ds_read_b128 v[18:21], v12 offset:17504
	ds_read_b128 v[22:25], v8 offset:8800
	s_waitcnt lgkmcnt(1)
	;;#ASMSTART
	v_dot2_f32_f16 v0, v14, v18, v0
	;;#ASMEND
	;;#ASMSTART
	v_dot2_f32_f16 v0, v15, v19, v0
	;;#ASMEND
	;;#ASMSTART
	v_dot2_f32_f16 v0, v16, v20, v0
	;;#ASMEND
	;;#ASMSTART
	v_dot2_f32_f16 v0, v17, v21, v0
	;;#ASMEND
	s_waitcnt lgkmcnt(0)
	;;#ASMSTART
	v_dot2_f32_f16 v1, v22, v18, v1
	;;#ASMEND
	;;#ASMSTART
	v_dot2_f32_f16 v1, v23, v19, v1
	;;#ASMEND
	;;#ASMSTART
	v_dot2_f32_f16 v1, v24, v20, v1
	;;#ASMEND
	;;#ASMSTART
	v_dot2_f32_f16 v1, v25, v21, v1
	;;#ASMEND
	ds_read_b128 v[14:17], v8 offset:112
	ds_read_b128 v[18:21], v12 offset:17520
	ds_read_b128 v[22:25], v8 offset:8816
	s_waitcnt lgkmcnt(1)
	;;#ASMSTART
	v_dot2_f32_f16 v0, v14, v18, v0
	;;#ASMEND
	;;#ASMSTART
	v_dot2_f32_f16 v0, v15, v19, v0
	;;#ASMEND
	;;#ASMSTART
	v_dot2_f32_f16 v0, v16, v20, v0
	;;#ASMEND
	;;#ASMSTART
	v_dot2_f32_f16 v0, v17, v21, v0
	;;#ASMEND
	s_waitcnt lgkmcnt(0)
	;;#ASMSTART
	v_dot2_f32_f16 v1, v22, v18, v1
	;;#ASMEND
	;;#ASMSTART
	v_dot2_f32_f16 v1, v23, v19, v1
	;;#ASMEND
	;;#ASMSTART
	v_dot2_f32_f16 v1, v24, v20, v1
	;;#ASMEND
	;;#ASMSTART
	v_dot2_f32_f16 v1, v25, v21, v1
	;;#ASMEND
	ds_read_b128 v[14:17], v8 offset:128
	ds_read_b128 v[18:21], v12 offset:17536
	ds_read_b128 v[22:25], v8 offset:8832
	s_waitcnt lgkmcnt(1)
	;;#ASMSTART
	v_dot2_f32_f16 v0, v14, v18, v0
	;;#ASMEND
	;;#ASMSTART
	v_dot2_f32_f16 v0, v15, v19, v0
	;;#ASMEND
	;;#ASMSTART
	v_dot2_f32_f16 v0, v16, v20, v0
	;;#ASMEND
	;;#ASMSTART
	v_dot2_f32_f16 v0, v17, v21, v0
	;;#ASMEND
	s_waitcnt lgkmcnt(0)
	;;#ASMSTART
	v_dot2_f32_f16 v1, v22, v18, v1
	;;#ASMEND
	;;#ASMSTART
	v_dot2_f32_f16 v1, v23, v19, v1
	;;#ASMEND
	;;#ASMSTART
	v_dot2_f32_f16 v1, v24, v20, v1
	;;#ASMEND
	;;#ASMSTART
	v_dot2_f32_f16 v1, v25, v21, v1
	;;#ASMEND
	ds_read_b128 v[14:17], v8 offset:144
	ds_read_b128 v[18:21], v12 offset:17552
	ds_read_b128 v[22:25], v8 offset:8848
	s_waitcnt lgkmcnt(1)
	;;#ASMSTART
	v_dot2_f32_f16 v0, v14, v18, v0
	;;#ASMEND
	;;#ASMSTART
	v_dot2_f32_f16 v0, v15, v19, v0
	;;#ASMEND
	;;#ASMSTART
	v_dot2_f32_f16 v0, v16, v20, v0
	;;#ASMEND
	;;#ASMSTART
	v_dot2_f32_f16 v0, v17, v21, v0
	;;#ASMEND
	s_waitcnt lgkmcnt(0)
	;;#ASMSTART
	v_dot2_f32_f16 v1, v22, v18, v1
	;;#ASMEND
	;;#ASMSTART
	v_dot2_f32_f16 v1, v23, v19, v1
	;;#ASMEND
	;;#ASMSTART
	v_dot2_f32_f16 v1, v24, v20, v1
	;;#ASMEND
	;;#ASMSTART
	v_dot2_f32_f16 v1, v25, v21, v1
	;;#ASMEND
	ds_read_b128 v[14:17], v8 offset:160
	ds_read_b128 v[18:21], v12 offset:17568
	ds_read_b128 v[22:25], v8 offset:8864
	s_waitcnt lgkmcnt(1)
	;;#ASMSTART
	v_dot2_f32_f16 v0, v14, v18, v0
	;;#ASMEND
	;;#ASMSTART
	v_dot2_f32_f16 v0, v15, v19, v0
	;;#ASMEND
	;;#ASMSTART
	v_dot2_f32_f16 v0, v16, v20, v0
	;;#ASMEND
	;;#ASMSTART
	v_dot2_f32_f16 v0, v17, v21, v0
	;;#ASMEND
	s_waitcnt lgkmcnt(0)
	;;#ASMSTART
	v_dot2_f32_f16 v1, v22, v18, v1
	;;#ASMEND
	;;#ASMSTART
	v_dot2_f32_f16 v1, v23, v19, v1
	;;#ASMEND
	;;#ASMSTART
	v_dot2_f32_f16 v1, v24, v20, v1
	;;#ASMEND
	;;#ASMSTART
	v_dot2_f32_f16 v1, v25, v21, v1
	;;#ASMEND
	ds_read_b128 v[14:17], v8 offset:176
	ds_read_b128 v[18:21], v12 offset:17584
	ds_read_b128 v[22:25], v8 offset:8880
	s_waitcnt lgkmcnt(1)
	;;#ASMSTART
	v_dot2_f32_f16 v0, v14, v18, v0
	;;#ASMEND
	;;#ASMSTART
	v_dot2_f32_f16 v0, v15, v19, v0
	;;#ASMEND
	;;#ASMSTART
	v_dot2_f32_f16 v0, v16, v20, v0
	;;#ASMEND
	;;#ASMSTART
	v_dot2_f32_f16 v0, v17, v21, v0
	;;#ASMEND
	s_waitcnt lgkmcnt(0)
	;;#ASMSTART
	v_dot2_f32_f16 v1, v22, v18, v1
	;;#ASMEND
	;;#ASMSTART
	v_dot2_f32_f16 v1, v23, v19, v1
	;;#ASMEND
	;;#ASMSTART
	v_dot2_f32_f16 v1, v24, v20, v1
	;;#ASMEND
	;;#ASMSTART
	v_dot2_f32_f16 v1, v25, v21, v1
	;;#ASMEND
	ds_read_b128 v[14:17], v8 offset:192
	ds_read_b128 v[18:21], v12 offset:17600
	ds_read_b128 v[22:25], v8 offset:8896
	s_waitcnt lgkmcnt(1)
	;;#ASMSTART
	v_dot2_f32_f16 v0, v14, v18, v0
	;;#ASMEND
	;;#ASMSTART
	v_dot2_f32_f16 v0, v15, v19, v0
	;;#ASMEND
	;;#ASMSTART
	v_dot2_f32_f16 v0, v16, v20, v0
	;;#ASMEND
	;;#ASMSTART
	v_dot2_f32_f16 v0, v17, v21, v0
	;;#ASMEND
	s_waitcnt lgkmcnt(0)
	;;#ASMSTART
	v_dot2_f32_f16 v1, v22, v18, v1
	;;#ASMEND
	;;#ASMSTART
	v_dot2_f32_f16 v1, v23, v19, v1
	;;#ASMEND
	;;#ASMSTART
	v_dot2_f32_f16 v1, v24, v20, v1
	;;#ASMEND
	;;#ASMSTART
	v_dot2_f32_f16 v1, v25, v21, v1
	;;#ASMEND
	ds_read_b128 v[14:17], v8 offset:208
	ds_read_b128 v[18:21], v12 offset:17616
	ds_read_b128 v[22:25], v8 offset:8912
	s_waitcnt lgkmcnt(1)
	;;#ASMSTART
	v_dot2_f32_f16 v0, v14, v18, v0
	;;#ASMEND
	;;#ASMSTART
	v_dot2_f32_f16 v0, v15, v19, v0
	;;#ASMEND
	;;#ASMSTART
	v_dot2_f32_f16 v0, v16, v20, v0
	;;#ASMEND
	;;#ASMSTART
	v_dot2_f32_f16 v0, v17, v21, v0
	;;#ASMEND
	s_waitcnt lgkmcnt(0)
	;;#ASMSTART
	v_dot2_f32_f16 v1, v22, v18, v1
	;;#ASMEND
	;;#ASMSTART
	v_dot2_f32_f16 v1, v23, v19, v1
	;;#ASMEND
	;;#ASMSTART
	v_dot2_f32_f16 v1, v24, v20, v1
	;;#ASMEND
	;;#ASMSTART
	v_dot2_f32_f16 v1, v25, v21, v1
	;;#ASMEND
	ds_read_b128 v[14:17], v8 offset:224
	ds_read_b128 v[18:21], v12 offset:17632
	ds_read_b128 v[22:25], v8 offset:8928
	s_waitcnt lgkmcnt(1)
	;;#ASMSTART
	v_dot2_f32_f16 v0, v14, v18, v0
	;;#ASMEND
	;;#ASMSTART
	v_dot2_f32_f16 v0, v15, v19, v0
	;;#ASMEND
	;;#ASMSTART
	v_dot2_f32_f16 v0, v16, v20, v0
	;;#ASMEND
	;;#ASMSTART
	v_dot2_f32_f16 v0, v17, v21, v0
	;;#ASMEND
	s_waitcnt lgkmcnt(0)
	;;#ASMSTART
	v_dot2_f32_f16 v1, v22, v18, v1
	;;#ASMEND
	;;#ASMSTART
	v_dot2_f32_f16 v1, v23, v19, v1
	;;#ASMEND
	;;#ASMSTART
	v_dot2_f32_f16 v1, v24, v20, v1
	;;#ASMEND
	;;#ASMSTART
	v_dot2_f32_f16 v1, v25, v21, v1
	;;#ASMEND
	ds_read_b128 v[14:17], v8 offset:240
	ds_read_b128 v[18:21], v12 offset:17648
	ds_read_b128 v[22:25], v8 offset:8944
	s_waitcnt lgkmcnt(1)
	;;#ASMSTART
	v_dot2_f32_f16 v0, v14, v18, v0
	;;#ASMEND
	;;#ASMSTART
	v_dot2_f32_f16 v0, v15, v19, v0
	;;#ASMEND
	;; [unrolled: 3-line block ×4, first 2 shown]
	s_waitcnt lgkmcnt(0)
	;;#ASMSTART
	v_dot2_f32_f16 v1, v22, v18, v1
	;;#ASMEND
	;;#ASMSTART
	v_dot2_f32_f16 v1, v23, v19, v1
	;;#ASMEND
	;; [unrolled: 3-line block ×3, first 2 shown]
	v_cmp_nlt_f32_e64 s[14:15], |v0|, s14
	;;#ASMSTART
	v_dot2_f32_f16 v1, v25, v21, v1
	;;#ASMEND
                                        ; implicit-def: $vgpr8
	s_and_saveexec_b64 s[18:19], s[14:15]
	s_xor_b64 s[14:15], exec, s[18:19]
	s_cbranch_execz .LBB89_29
; %bb.28:
	v_add_f32_e64 v8, |v0|, |v0|
	v_mul_f32_e32 v12, 0x3fb8aa3b, v8
	s_mov_b32 s18, 0x3fb8aa3b
	v_rndne_f32_e32 v13, v12
	v_sub_f32_e32 v14, v12, v13
	v_fma_f32 v12, v8, s18, -v12
	v_fmac_f32_e32 v12, 0x32a5705f, v8
	v_add_f32_e32 v12, v14, v12
	v_exp_f32_e32 v12, v12
	v_cvt_i32_f32_e32 v13, v13
	s_mov_b32 s18, 0xc2ce8ed0
	v_cmp_ngt_f32_e32 vcc, s18, v8
	s_mov_b32 s18, 0x42b17218
	v_ldexp_f32 v12, v12, v13
	v_cndmask_b32_e32 v12, 0, v12, vcc
	v_mov_b32_e32 v13, 0x7f800000
	v_cmp_nlt_f32_e32 vcc, s18, v8
	v_cndmask_b32_e32 v8, v13, v12, vcc
	v_add_f32_e32 v8, 1.0, v8
	v_rcp_f32_e32 v8, v8
	v_fma_f32 v8, v8, -2.0, 1.0
.LBB89_29:
	s_andn2_saveexec_b64 s[14:15], s[14:15]
; %bb.30:
	v_mul_f32_e32 v8, v0, v0
	v_mov_b32_e32 v12, 0x3ca908c9
	v_fmac_f32_e32 v12, 0xbbbac73d, v8
	v_mov_b32_e32 v13, 0xbd5c1c4e
	v_fmac_f32_e32 v13, v8, v12
	;; [unrolled: 2-line block ×4, first 2 shown]
	v_mul_f32_e64 v12, |v0|, v13
	v_fma_f32 v8, v8, v12, |v0|
; %bb.31:
	s_or_b64 exec, exec, s[14:15]
	s_cmp_lg_u64 s[44:45], 0
	s_brev_b32 s14, -2
	v_bfi_b32 v0, s14, v8, v0
	s_cselect_b64 s[14:15], -1, 0
	v_mul_lo_u32 v12, v34, s27
	v_cndmask_b32_e64 v8, 0, 1, s[14:15]
	v_add_u32_e32 v12, s26, v12
	v_mul_f32_e32 v0, s23, v0
	v_cmp_gt_i32_e32 vcc, s22, v4
	v_cmp_ne_u32_e64 s[14:15], 1, v8
	v_mov_b32_e32 v8, v6
	s_and_saveexec_b64 s[18:19], vcc
	s_cbranch_execz .LBB89_36
; %bb.32:
	s_and_b64 vcc, exec, s[14:15]
	s_cbranch_vccnz .LBB89_34
; %bb.33:
	v_add_u32_e32 v14, v12, v4
	v_ashrrev_i32_e32 v15, 31, v14
	v_lshlrev_b64 v[14:15], 1, v[14:15]
	v_mov_b32_e32 v8, s45
	v_add_co_u32_e32 v14, vcc, s44, v14
	v_addc_co_u32_e32 v15, vcc, v8, v15, vcc
	flat_load_ushort v8, v[14:15]
	s_waitcnt vmcnt(0) lgkmcnt(0)
	v_cvt_f32_f16_e32 v8, v8
	v_mul_f32_e32 v8, v32, v8
	s_branch .LBB89_35
.LBB89_34:
	v_mov_b32_e32 v8, 0
.LBB89_35:
	v_add_f32_e32 v0, v0, v8
	v_add_f32_e32 v8, 0x40051340, v0
	v_max_f32_e32 v13, v6, v6
	v_max_f32_e32 v8, v13, v8
.LBB89_36:
	s_or_b64 exec, exec, s[18:19]
	s_mov_b32 s18, 0x3f200000
	v_cmp_nlt_f32_e64 s[18:19], |v1|, s18
                                        ; implicit-def: $vgpr13
	s_and_saveexec_b64 s[36:37], s[18:19]
	s_xor_b64 s[18:19], exec, s[36:37]
	s_cbranch_execz .LBB89_38
; %bb.37:
	v_add_f32_e64 v13, |v1|, |v1|
	v_mul_f32_e32 v14, 0x3fb8aa3b, v13
	s_mov_b32 s27, 0x3fb8aa3b
	v_rndne_f32_e32 v15, v14
	v_sub_f32_e32 v16, v14, v15
	v_fma_f32 v14, v13, s27, -v14
	v_fmac_f32_e32 v14, 0x32a5705f, v13
	v_add_f32_e32 v14, v16, v14
	v_exp_f32_e32 v14, v14
	v_cvt_i32_f32_e32 v15, v15
	s_mov_b32 s27, 0xc2ce8ed0
	v_cmp_ngt_f32_e32 vcc, s27, v13
	s_mov_b32 s27, 0x42b17218
	v_ldexp_f32 v14, v14, v15
	v_cndmask_b32_e32 v14, 0, v14, vcc
	v_mov_b32_e32 v15, 0x7f800000
	v_cmp_nlt_f32_e32 vcc, s27, v13
	v_cndmask_b32_e32 v13, v15, v14, vcc
	v_add_f32_e32 v13, 1.0, v13
	v_rcp_f32_e32 v13, v13
	v_fma_f32 v13, v13, -2.0, 1.0
.LBB89_38:
	s_andn2_saveexec_b64 s[18:19], s[18:19]
; %bb.39:
	v_mul_f32_e32 v13, v1, v1
	v_mov_b32_e32 v14, 0x3ca908c9
	v_fmac_f32_e32 v14, 0xbbbac73d, v13
	v_mov_b32_e32 v15, 0xbd5c1c4e
	v_fmac_f32_e32 v15, v13, v14
	;; [unrolled: 2-line block ×4, first 2 shown]
	v_mul_f32_e64 v14, |v1|, v15
	v_fma_f32 v13, v13, v14, |v1|
; %bb.40:
	s_or_b64 exec, exec, s[18:19]
	s_brev_b32 s18, -2
	v_add_u32_e32 v19, 32, v4
	v_bfi_b32 v1, s18, v13, v1
	v_mul_f32_e32 v1, s23, v1
	v_cmp_gt_i32_e32 vcc, s22, v19
	s_and_saveexec_b64 s[18:19], vcc
	s_cbranch_execz .LBB89_45
; %bb.41:
	s_and_b64 vcc, exec, s[14:15]
	s_cbranch_vccnz .LBB89_43
; %bb.42:
	v_ashrrev_i32_e32 v13, 31, v12
	v_add_co_u32_e32 v12, vcc, v12, v4
	v_addc_co_u32_e32 v13, vcc, 0, v13, vcc
	v_lshlrev_b64 v[12:13], 1, v[12:13]
	v_mov_b32_e32 v14, s45
	v_add_co_u32_e32 v12, vcc, s44, v12
	v_addc_co_u32_e32 v13, vcc, v14, v13, vcc
	flat_load_ushort v12, v[12:13] offset:64
	s_waitcnt vmcnt(0) lgkmcnt(0)
	v_cvt_f32_f16_e32 v12, v12
	v_mul_f32_e32 v12, v32, v12
	s_branch .LBB89_44
.LBB89_43:
	v_mov_b32_e32 v12, 0
.LBB89_44:
	v_add_f32_e32 v1, v1, v12
	v_add_f32_e32 v12, 0x40051340, v1
	v_max_f32_e32 v8, v8, v8
	v_max_f32_e32 v8, v8, v12
.LBB89_45:
	s_or_b64 exec, exec, s[18:19]
	v_mbcnt_hi_u32_b32 v12, -1, v33
	v_and_b32_e32 v13, 0x60, v12
	v_add_u32_e32 v13, 32, v13
	v_xor_b32_e32 v14, 16, v12
	v_cmp_lt_i32_e32 vcc, v14, v13
	v_cndmask_b32_e32 v15, v12, v14, vcc
	v_lshlrev_b32_e32 v15, 2, v15
	ds_bpermute_b32 v16, v15, v8
	v_xor_b32_e32 v15, 8, v12
	v_max_f32_e32 v8, v8, v8
	v_cmp_lt_i32_e32 vcc, v15, v13
	s_mov_b32 s18, 0x3fb8aa3b
	s_waitcnt lgkmcnt(0)
	v_max_f32_e32 v16, v16, v16
	v_max_f32_e32 v8, v8, v16
	v_cndmask_b32_e32 v16, v12, v15, vcc
	v_lshlrev_b32_e32 v16, 2, v16
	ds_bpermute_b32 v17, v16, v8
	v_xor_b32_e32 v16, 4, v12
	v_cmp_lt_i32_e32 vcc, v16, v13
	s_mov_b32 s14, 0xc2ce8ed0
	s_mov_b32 s15, 0x42b17218
	s_waitcnt lgkmcnt(0)
	v_max_f32_e32 v17, v17, v17
	v_max_f32_e32 v8, v8, v17
	v_cndmask_b32_e32 v17, v12, v16, vcc
	v_lshlrev_b32_e32 v17, 2, v17
	ds_bpermute_b32 v18, v17, v8
	v_xor_b32_e32 v17, 2, v12
	v_cmp_lt_i32_e32 vcc, v17, v13
	v_mov_b32_e32 v33, 0x7f800000
	v_lshlrev_b32_e32 v158, 7, v30
	s_waitcnt lgkmcnt(0)
	v_max_f32_e32 v18, v18, v18
	v_max_f32_e32 v8, v8, v18
	v_cndmask_b32_e32 v18, v12, v17, vcc
	v_lshlrev_b32_e32 v18, 2, v18
	ds_bpermute_b32 v20, v18, v8
	v_xor_b32_e32 v18, 1, v12
	v_cmp_lt_i32_e32 vcc, v18, v13
	s_movk_i32 s19, 0x4c00
	s_mul_hi_i32 s23, s26, s8
	s_waitcnt lgkmcnt(0)
	v_max_f32_e32 v20, v20, v20
	v_max_f32_e32 v8, v8, v20
	v_cndmask_b32_e32 v20, v12, v18, vcc
	v_lshlrev_b32_e32 v20, 2, v20
	ds_bpermute_b32 v20, v20, v8
	s_waitcnt lgkmcnt(0)
	s_barrier
	v_mov_b32_e32 v32, 0
	v_max_f32_e32 v20, v20, v20
	v_max_f32_e32 v8, v8, v20
	v_pk_add_f32 v[0:1], v[0:1], v[8:9] op_sel_hi:[1,0] neg_lo:[0,1] neg_hi:[0,1]
	v_mul_f32_e32 v20, 0x3fb8aa3b, v0
	v_fma_f32 v21, v0, s18, -v20
	v_rndne_f32_e32 v22, v20
	v_fmac_f32_e32 v21, 0x32a5705f, v0
	v_sub_f32_e32 v20, v20, v22
	v_add_f32_e32 v20, v20, v21
	v_exp_f32_e32 v20, v20
	v_cvt_i32_f32_e32 v21, v22
	v_cmp_ngt_f32_e32 vcc, s14, v0
	v_lshl_or_b32 v10, v10, 8, v9
	v_add_u32_e32 v138, 0x2800, v27
	v_ldexp_f32 v20, v20, v21
	v_mul_f32_e32 v21, 0x3fb8aa3b, v1
	v_fma_f32 v22, v1, s18, -v21
	v_rndne_f32_e32 v23, v21
	v_fmac_f32_e32 v22, 0x32a5705f, v1
	v_sub_f32_e32 v21, v21, v23
	v_add_f32_e32 v21, v21, v22
	v_exp_f32_e32 v21, v21
	v_cvt_i32_f32_e32 v22, v23
	v_cndmask_b32_e32 v20, 0, v20, vcc
	v_cmp_nlt_f32_e32 vcc, s15, v0
	v_cndmask_b32_e32 v0, v33, v20, vcc
	v_ldexp_f32 v20, v21, v22
	v_cmp_ngt_f32_e32 vcc, s14, v1
	v_cndmask_b32_e32 v20, 0, v20, vcc
	v_cmp_nlt_f32_e32 vcc, s15, v1
	v_cndmask_b32_e32 v1, v33, v20, vcc
	v_cmp_gt_u32_e32 vcc, s22, v19
	v_cndmask_b32_e32 v19, 0, v1, vcc
	v_cmp_gt_u32_e32 vcc, s22, v4
	v_cndmask_b32_e32 v34, 0, v0, vcc
	v_cvt_f16_f32_e32 v0, v34
	v_cvt_f16_f32_e32 v1, v19
	v_add3_u32 v20, v158, s19, v31
	s_mul_i32 s22, s26, s8
	ds_write_b16 v20, v0
	ds_write_b16 v20, v1 offset:64
	s_lshl_b64 s[22:23], s[22:23], 2
	v_mul_lo_u32 v0, s8, v2
	s_add_u32 s19, s20, s22
	v_ashrrev_i32_e32 v1, 31, v0
	s_addc_u32 s22, s21, s23
	v_lshlrev_b64 v[20:21], 2, v[0:1]
	v_mov_b32_e32 v1, s22
	v_add_co_u32_e32 v20, vcc, s19, v20
	v_addc_co_u32_e32 v1, vcc, v1, v21, vcc
	s_mov_b64 s[20:21], src_private_base
	v_add_co_u32_e32 v20, vcc, v20, v9
	v_addc_co_u32_e32 v1, vcc, 0, v1, vcc
	v_mov_b32_e32 v30, s21
	v_mov_b32_e32 v31, 0
	buffer_store_dword v32, off, s[0:3], 0
	buffer_store_dword v32, off, s[0:3], 0 offset:8
	buffer_store_dword v32, off, s[0:3], 0 offset:4
	;; [unrolled: 1-line block ×3, first 2 shown]
	v_cndmask_b32_e64 v21, v30, v1, s[6:7]
	v_cndmask_b32_e64 v20, v31, v20, s[6:7]
	flat_load_dwordx4 v[20:23], v[20:21]
	s_lshl_b32 s6, s8, 4
	v_add_u32_e32 v0, s6, v0
	v_ashrrev_i32_e32 v1, 31, v0
	v_lshlrev_b64 v[24:25], 2, v[0:1]
	v_mov_b32_e32 v35, s22
	v_add_co_u32_e32 v1, vcc, s19, v24
	v_addc_co_u32_e32 v24, vcc, v35, v25, vcc
	v_add_co_u32_e32 v1, vcc, v1, v9
	v_lshl_or_b32 v2, v2, 8, v9
	v_addc_co_u32_e32 v25, vcc, 0, v24, vcc
	v_cndmask_b32_e64 v24, v31, v1, s[10:11]
	v_cndmask_b32_e64 v25, v30, v25, s[10:11]
	buffer_store_dword v32, off, s[0:3], 0
	buffer_store_dword v32, off, s[0:3], 0 offset:8
	buffer_store_dword v32, off, s[0:3], 0 offset:4
	;; [unrolled: 1-line block ×3, first 2 shown]
	v_add_u32_e32 v154, 0x3000, v27
	v_add_f32_e32 v19, v34, v19
	v_add_u32_e32 v162, 0x3800, v27
	s_waitcnt vmcnt(0) lgkmcnt(0)
	ds_write_b128 v2, v[20:23]
	flat_load_dwordx4 v[20:23], v[24:25]
	v_add_u32_e32 v24, s6, v0
	v_ashrrev_i32_e32 v25, 31, v24
	v_lshlrev_b64 v[0:1], 2, v[24:25]
	v_lshl_or_b32 v2, v3, 8, v9
	v_mov_b32_e32 v3, s22
	v_add_co_u32_e32 v0, vcc, s19, v0
	v_addc_co_u32_e32 v1, vcc, v3, v1, vcc
	v_add_co_u32_e32 v0, vcc, v0, v9
	v_addc_co_u32_e32 v1, vcc, 0, v1, vcc
	v_cndmask_b32_e64 v0, v31, v0, s[16:17]
	v_cndmask_b32_e64 v1, v30, v1, s[16:17]
	buffer_store_dword v32, off, s[0:3], 0
	buffer_store_dword v32, off, s[0:3], 0 offset:8
	buffer_store_dword v32, off, s[0:3], 0 offset:4
	buffer_store_dword v32, off, s[0:3], 0 offset:12
	v_add_u32_e32 v25, 0x2000, v27
	s_waitcnt vmcnt(0) lgkmcnt(0)
	ds_write_b128 v2, v[20:23]
	flat_load_dwordx4 v[0:3], v[0:1]
	v_add_u32_e32 v20, s6, v24
	v_ashrrev_i32_e32 v21, 31, v20
	v_lshlrev_b64 v[20:21], 2, v[20:21]
	v_mov_b32_e32 v22, s22
	v_add_co_u32_e32 v20, vcc, s19, v20
	v_addc_co_u32_e32 v21, vcc, v22, v21, vcc
	v_add_co_u32_e32 v20, vcc, v20, v9
	v_addc_co_u32_e32 v21, vcc, 0, v21, vcc
	v_cndmask_b32_e64 v20, v31, v20, s[12:13]
	v_cndmask_b32_e64 v21, v30, v21, s[12:13]
	buffer_store_dword v32, off, s[0:3], 0
	buffer_store_dword v32, off, s[0:3], 0 offset:8
	buffer_store_dword v32, off, s[0:3], 0 offset:4
	;; [unrolled: 1-line block ×3, first 2 shown]
	v_lshl_or_b32 v9, v11, 8, v9
	v_add_u32_e32 v11, 0x1000, v27
	v_add_u32_e32 v24, 0x1800, v27
	s_waitcnt vmcnt(0) lgkmcnt(0)
	ds_write_b128 v10, v[0:3]
	flat_load_dwordx4 v[0:3], v[20:21]
	v_sub_f32_e32 v20, v6, v8
	v_mul_f32_e32 v6, 0x3fb8aa3b, v20
	v_fma_f32 v21, v20, s18, -v6
	v_rndne_f32_e32 v22, v6
	v_fmac_f32_e32 v21, 0x32a5705f, v20
	v_sub_f32_e32 v6, v6, v22
	v_add_f32_e32 v6, v6, v21
	v_cvt_i32_f32_e32 v22, v22
	v_exp_f32_e32 v21, v6
	v_cmp_ngt_f32_e32 vcc, s14, v20
	v_cmp_nlt_f32_e64 s[6:7], s15, v20
	v_add_u32_e32 v10, 0x800, v27
	v_ldexp_f32 v20, v21, v22
	v_cndmask_b32_e32 v20, 0, v20, vcc
	v_cndmask_b32_e64 v20, v33, v20, s[6:7]
	v_cvt_f16_f32_e32 v159, v20
	v_fmac_f32_e32 v19, v7, v20
	v_mov_b32_e32 v6, v8
	s_waitcnt vmcnt(0) lgkmcnt(0)
	ds_write_b128 v9, v[0:3]
	s_waitcnt lgkmcnt(0)
	s_barrier
	ds_read2_b64 v[0:3], v27 offset1:32
	ds_read_b128 v[20:23], v158 offset:19456
	ds_read_b128 v[30:33], v158 offset:19472
	;; [unrolled: 1-line block ×4, first 2 shown]
	ds_read2_b64 v[42:45], v27 offset0:64 offset1:96
	ds_read2_b64 v[46:49], v27 offset0:128 offset1:160
	ds_read2_b64 v[50:53], v27 offset0:192 offset1:224
	ds_read2_b64 v[54:57], v10 offset1:32
	ds_read2_b64 v[58:61], v10 offset0:64 offset1:96
	ds_read2_b64 v[62:65], v10 offset0:128 offset1:160
	ds_read2_b64 v[66:69], v10 offset0:192 offset1:224
	ds_read2_b64 v[70:73], v11 offset1:32
	;; [unrolled: 4-line block ×5, first 2 shown]
	ds_read_b128 v[122:125], v158 offset:19520
	ds_read_b128 v[126:129], v158 offset:19536
	ds_read2_b64 v[130:133], v138 offset0:64 offset1:96
	ds_read2_b64 v[134:137], v138 offset0:128 offset1:160
	;; [unrolled: 1-line block ×3, first 2 shown]
	ds_read2_b64 v[142:145], v154 offset1:32
	ds_read2_b64 v[146:149], v154 offset0:64 offset1:96
	ds_read2_b64 v[150:153], v154 offset0:128 offset1:160
	;; [unrolled: 1-line block ×3, first 2 shown]
	s_waitcnt lgkmcnt(14)
	v_pk_mul_f16 v0, v0, v20 op_sel_hi:[1,0]
	v_pk_mul_f16 v1, v1, v20 op_sel_hi:[1,0]
	v_pk_fma_f16 v0, v28, v159, v0 op_sel_hi:[1,0,1]
	v_pk_fma_f16 v1, v29, v159, v1 op_sel_hi:[1,0,1]
	v_pk_fma_f16 v7, v2, v20, v0 op_sel:[0,1,0]
	v_pk_fma_f16 v9, v3, v20, v1 op_sel:[0,1,0]
	v_pk_fma_f16 v7, v42, v21, v7 op_sel_hi:[1,0,1]
	v_pk_fma_f16 v9, v43, v21, v9 op_sel_hi:[1,0,1]
	v_pk_fma_f16 v7, v44, v21, v7 op_sel:[0,1,0]
	v_pk_fma_f16 v9, v45, v21, v9 op_sel:[0,1,0]
	;; [unrolled: 4-line block ×16, first 2 shown]
	s_waitcnt lgkmcnt(8)
	v_pk_fma_f16 v7, v102, v122, v7 op_sel_hi:[1,0,1]
	v_pk_fma_f16 v9, v103, v122, v9 op_sel_hi:[1,0,1]
	v_pk_fma_f16 v7, v104, v122, v7 op_sel:[0,1,0]
	v_pk_fma_f16 v9, v105, v122, v9 op_sel:[0,1,0]
	v_pk_fma_f16 v7, v106, v123, v7 op_sel_hi:[1,0,1]
	v_pk_fma_f16 v9, v107, v123, v9 op_sel_hi:[1,0,1]
	v_pk_fma_f16 v7, v108, v123, v7 op_sel:[0,1,0]
	v_pk_fma_f16 v9, v109, v123, v9 op_sel:[0,1,0]
	;; [unrolled: 4-line block ×4, first 2 shown]
	s_waitcnt lgkmcnt(7)
	v_pk_fma_f16 v7, v118, v126, v7 op_sel_hi:[1,0,1]
	v_pk_fma_f16 v9, v119, v126, v9 op_sel_hi:[1,0,1]
	v_pk_fma_f16 v7, v120, v126, v7 op_sel:[0,1,0]
	v_pk_fma_f16 v9, v121, v126, v9 op_sel:[0,1,0]
	s_waitcnt lgkmcnt(6)
	v_pk_fma_f16 v7, v130, v127, v7 op_sel_hi:[1,0,1]
	v_pk_fma_f16 v9, v131, v127, v9 op_sel_hi:[1,0,1]
	v_pk_fma_f16 v7, v132, v127, v7 op_sel:[0,1,0]
	v_pk_fma_f16 v9, v133, v127, v9 op_sel:[0,1,0]
	ds_read2_b64 v[0:3], v162 offset1:32
	ds_read_b128 v[42:45], v158 offset:19552
	ds_read_b128 v[158:161], v158 offset:19568
	s_waitcnt lgkmcnt(8)
	v_pk_fma_f16 v7, v134, v128, v7 op_sel_hi:[1,0,1]
	v_pk_fma_f16 v9, v135, v128, v9 op_sel_hi:[1,0,1]
	v_pk_fma_f16 v7, v136, v128, v7 op_sel:[0,1,0]
	v_pk_fma_f16 v9, v137, v128, v9 op_sel:[0,1,0]
	s_waitcnt lgkmcnt(7)
	v_pk_fma_f16 v7, v138, v129, v7 op_sel_hi:[1,0,1]
	v_pk_fma_f16 v9, v139, v129, v9 op_sel_hi:[1,0,1]
	v_pk_fma_f16 v7, v140, v129, v7 op_sel:[0,1,0]
	v_pk_fma_f16 v9, v141, v129, v9 op_sel:[0,1,0]
	;; [unrolled: 5-line block ×3, first 2 shown]
	v_pk_fma_f16 v7, v146, v43, v7 op_sel_hi:[1,0,1]
	v_pk_fma_f16 v9, v147, v43, v9 op_sel_hi:[1,0,1]
	v_pk_fma_f16 v7, v148, v43, v7 op_sel:[0,1,0]
	v_pk_fma_f16 v9, v149, v43, v9 op_sel:[0,1,0]
	v_pk_fma_f16 v7, v150, v44, v7 op_sel_hi:[1,0,1]
	v_pk_fma_f16 v9, v151, v44, v9 op_sel_hi:[1,0,1]
	ds_read2_b64 v[46:49], v162 offset0:64 offset1:96
	v_pk_fma_f16 v7, v152, v44, v7 op_sel:[0,1,0]
	v_pk_fma_f16 v9, v153, v44, v9 op_sel:[0,1,0]
	v_pk_fma_f16 v7, v154, v45, v7 op_sel_hi:[1,0,1]
	v_pk_fma_f16 v9, v155, v45, v9 op_sel_hi:[1,0,1]
	v_pk_fma_f16 v7, v156, v45, v7 op_sel:[0,1,0]
	v_pk_fma_f16 v9, v157, v45, v9 op_sel:[0,1,0]
	ds_read2_b64 v[20:23], v162 offset0:128 offset1:160
	ds_read2_b64 v[50:53], v162 offset0:192 offset1:224
	s_waitcnt lgkmcnt(3)
	v_pk_fma_f16 v0, v0, v158, v7 op_sel_hi:[1,0,1]
	v_pk_fma_f16 v1, v1, v158, v9 op_sel_hi:[1,0,1]
	v_pk_fma_f16 v0, v2, v158, v0 op_sel:[0,1,0]
	v_pk_fma_f16 v1, v3, v158, v1 op_sel:[0,1,0]
	s_waitcnt lgkmcnt(2)
	v_pk_fma_f16 v0, v46, v159, v0 op_sel_hi:[1,0,1]
	v_pk_fma_f16 v1, v47, v159, v1 op_sel_hi:[1,0,1]
	v_pk_fma_f16 v0, v48, v159, v0 op_sel:[0,1,0]
	v_pk_fma_f16 v1, v49, v159, v1 op_sel:[0,1,0]
	;; [unrolled: 5-line block ×4, first 2 shown]
	v_mov_b32_e32 v7, v19
	s_barrier
.LBB89_46:
	v_cmp_lt_i32_e32 vcc, v14, v13
	v_cndmask_b32_e32 v0, v12, v14, vcc
	v_lshlrev_b32_e32 v0, 2, v0
	ds_bpermute_b32 v0, v0, v7
	v_cmp_lt_i32_e32 vcc, v15, v13
	v_cndmask_b32_e32 v1, v12, v15, vcc
	v_lshlrev_b32_e32 v1, 2, v1
	v_cmp_lt_i32_e32 vcc, v16, v13
	s_waitcnt lgkmcnt(0)
	v_add_f32_e32 v0, v7, v0
	ds_bpermute_b32 v1, v1, v0
	v_cndmask_b32_e32 v2, v12, v16, vcc
	v_lshlrev_b32_e32 v2, 2, v2
	v_cmp_lt_i32_e32 vcc, v17, v13
	s_cmp_eq_u64 s[24:25], 0
	s_waitcnt lgkmcnt(0)
	v_add_f32_e32 v0, v0, v1
	ds_bpermute_b32 v1, v2, v0
	v_cndmask_b32_e32 v2, v12, v17, vcc
	v_lshlrev_b32_e32 v2, 2, v2
	v_cmp_lt_i32_e32 vcc, v18, v13
	s_cselect_b64 s[6:7], -1, 0
	s_waitcnt lgkmcnt(0)
	v_add_f32_e32 v0, v0, v1
	ds_bpermute_b32 v1, v2, v0
	v_cndmask_b32_e32 v2, v12, v18, vcc
	v_lshlrev_b32_e32 v2, 2, v2
	s_cmp_lg_u32 s9, 0
	s_cselect_b64 s[10:11], -1, 0
	s_waitcnt lgkmcnt(0)
	v_add_f32_e32 v0, v0, v1
	ds_bpermute_b32 v1, v2, v0
	s_or_b64 s[6:7], s[10:11], s[6:7]
	s_and_b64 vcc, exec, s[6:7]
	s_waitcnt lgkmcnt(0)
	v_add_f32_e32 v9, v0, v1
	s_cbranch_vccnz .LBB89_48
; %bb.47:
	s_lshl_b64 s[6:7], s[34:35], 2
	s_add_u32 s6, s24, s6
	s_addc_u32 s7, s25, s7
	v_mov_b32_e32 v0, 0
	global_load_dword v1, v0, s[6:7]
	v_max_f32_e32 v0, v6, v6
	s_mov_b32 s6, 0x3fb8aa3b
	s_mov_b32 s7, 0xc2ce8ed0
	s_waitcnt vmcnt(0)
	v_max_f32_e32 v2, v1, v1
	v_max_f32_e32 v0, v0, v2
	v_sub_f32_e32 v2, v6, v0
	v_sub_f32_e32 v1, v1, v0
	v_mul_f32_e32 v3, 0x3fb8aa3b, v2
	v_mul_f32_e32 v6, 0x3fb8aa3b, v1
	v_fma_f32 v7, v2, s6, -v3
	v_rndne_f32_e32 v8, v3
	v_fma_f32 v10, v1, s6, -v6
	v_rndne_f32_e32 v11, v6
	v_fmac_f32_e32 v7, 0x32a5705f, v2
	v_sub_f32_e32 v3, v3, v8
	v_fmac_f32_e32 v10, 0x32a5705f, v1
	v_sub_f32_e32 v6, v6, v11
	v_add_f32_e32 v3, v3, v7
	v_cvt_i32_f32_e32 v8, v8
	v_add_f32_e32 v6, v6, v10
	v_exp_f32_e32 v3, v3
	v_cvt_i32_f32_e32 v11, v11
	v_exp_f32_e32 v6, v6
	v_cmp_ngt_f32_e32 vcc, s7, v2
	v_ldexp_f32 v3, v3, v8
	s_mov_b32 s6, 0x42b17218
	v_ldexp_f32 v6, v6, v11
	v_cndmask_b32_e32 v3, 0, v3, vcc
	v_cmp_ngt_f32_e32 vcc, s7, v1
	v_mov_b32_e32 v7, 0x7f800000
	v_cndmask_b32_e32 v6, 0, v6, vcc
	v_cmp_nlt_f32_e32 vcc, s6, v2
	v_cndmask_b32_e32 v2, v7, v3, vcc
	v_cvt_f16_f32_e32 v3, v2
	v_cmp_nlt_f32_e32 vcc, s6, v1
	v_cndmask_b32_e32 v1, v7, v6, vcc
	v_fmac_f32_e32 v1, v9, v2
	v_pk_mul_f16 v28, v3, v28 op_sel_hi:[0,1]
	v_pk_mul_f16 v29, v3, v29 op_sel_hi:[0,1]
	v_mov_b32_e32 v9, v1
	v_cmp_gt_i32_e32 vcc, s38, v5
	s_and_saveexec_b64 s[6:7], vcc
	s_cbranch_execnz .LBB89_49
	s_branch .LBB89_51
.LBB89_48:
	v_pk_mov_b32 v[0:1], v[8:9], v[8:9] op_sel:[0,1]
	v_cmp_gt_i32_e32 vcc, s38, v5
	s_and_saveexec_b64 s[6:7], vcc
	s_cbranch_execz .LBB89_51
.LBB89_49:
	s_load_dword s6, s[4:5], 0xd4
	v_div_scale_f32 v2, s[4:5], v9, v9, 1.0
	v_rcp_f32_e32 v3, v2
	s_mul_i32 s33, s33, s38
	s_waitcnt lgkmcnt(0)
	s_cmp_lg_u32 s6, 1
	s_cselect_b64 s[4:5], -1, 0
	v_fma_f32 v6, -v2, v3, 1.0
	v_fmac_f32_e32 v3, v6, v3
	v_div_scale_f32 v6, vcc, 1.0, v9, 1.0
	v_mul_f32_e32 v7, v6, v3
	v_fma_f32 v8, -v2, v7, v6
	v_fmac_f32_e32 v7, v8, v3
	v_fma_f32 v2, -v2, v7, v6
	v_div_fmas_f32 v2, v2, v3, v7
	v_div_fixup_f32 v2, v2, v9, 1.0
	v_cndmask_b32_e64 v8, v2, 1.0, s[4:5]
	v_add_u32_e32 v2, s33, v5
	v_mul_lo_u32 v2, v2, s39
	v_add_u32_e32 v2, s34, v2
	v_mul_lo_u32 v2, s6, v2
	v_add_u32_e32 v2, s9, v2
	v_lshl_add_u32 v6, v2, 7, v26
	v_mov_b32_e32 v7, 0
	v_lshlrev_b64 v[6:7], 2, v[6:7]
	v_cvt_f32_f16_sdwa v11, v28 dst_sel:DWORD dst_unused:UNUSED_PAD src0_sel:WORD_1
	v_cvt_f32_f16_e32 v10, v28
	v_cvt_f32_f16_sdwa v13, v29 dst_sel:DWORD dst_unused:UNUSED_PAD src0_sel:WORD_1
	v_cvt_f32_f16_e32 v12, v29
	v_mov_b32_e32 v3, s29
	v_add_co_u32_e32 v14, vcc, s28, v6
	v_addc_co_u32_e32 v15, vcc, v3, v7, vcc
	v_cmp_eq_u32_e32 vcc, 0, v4
	v_pk_mul_f32 v[6:7], v[8:9], v[10:11] op_sel_hi:[0,1]
	v_pk_mul_f32 v[8:9], v[8:9], v[12:13] op_sel_hi:[0,1]
	s_and_b64 s[4:5], vcc, s[4:5]
	global_store_dwordx4 v[14:15], v[6:9], off
	s_and_b64 exec, exec, s[4:5]
	s_cbranch_execz .LBB89_51
; %bb.50:
	v_ashrrev_i32_e32 v3, 31, v2
	v_lshlrev_b64 v[2:3], 3, v[2:3]
	v_mov_b32_e32 v4, s31
	v_add_co_u32_e32 v2, vcc, s30, v2
	v_addc_co_u32_e32 v3, vcc, v4, v3, vcc
	global_store_dwordx2 v[2:3], v[0:1], off
	s_endpgm
.LBB89_51:
	s_endpgm
	.section	.rodata,"a",@progbits
	.p2align	6, 0x0
	.amdhsa_kernel _ZL15flash_attn_tileILi128ELi128ELi8ELi1ELb1EEvPKcS1_S1_S1_S1_PKiPfP15HIP_vector_typeIfLj2EEffffjfiS5_IjLj3EEiiiiiiiiiiiliiliiiiil
		.amdhsa_group_segment_fixed_size 20480
		.amdhsa_private_segment_fixed_size 32
		.amdhsa_kernarg_size 464
		.amdhsa_user_sgpr_count 8
		.amdhsa_user_sgpr_private_segment_buffer 1
		.amdhsa_user_sgpr_dispatch_ptr 0
		.amdhsa_user_sgpr_queue_ptr 0
		.amdhsa_user_sgpr_kernarg_segment_ptr 1
		.amdhsa_user_sgpr_dispatch_id 0
		.amdhsa_user_sgpr_flat_scratch_init 1
		.amdhsa_user_sgpr_kernarg_preload_length 0
		.amdhsa_user_sgpr_kernarg_preload_offset 0
		.amdhsa_user_sgpr_private_segment_size 0
		.amdhsa_uses_dynamic_stack 0
		.amdhsa_system_sgpr_private_segment_wavefront_offset 1
		.amdhsa_system_sgpr_workgroup_id_x 1
		.amdhsa_system_sgpr_workgroup_id_y 1
		.amdhsa_system_sgpr_workgroup_id_z 1
		.amdhsa_system_sgpr_workgroup_info 0
		.amdhsa_system_vgpr_workitem_id 1
		.amdhsa_next_free_vgpr 163
		.amdhsa_next_free_sgpr 56
		.amdhsa_accum_offset 164
		.amdhsa_reserve_vcc 1
		.amdhsa_reserve_flat_scratch 1
		.amdhsa_float_round_mode_32 0
		.amdhsa_float_round_mode_16_64 0
		.amdhsa_float_denorm_mode_32 3
		.amdhsa_float_denorm_mode_16_64 3
		.amdhsa_dx10_clamp 1
		.amdhsa_ieee_mode 1
		.amdhsa_fp16_overflow 0
		.amdhsa_tg_split 0
		.amdhsa_exception_fp_ieee_invalid_op 0
		.amdhsa_exception_fp_denorm_src 0
		.amdhsa_exception_fp_ieee_div_zero 0
		.amdhsa_exception_fp_ieee_overflow 0
		.amdhsa_exception_fp_ieee_underflow 0
		.amdhsa_exception_fp_ieee_inexact 0
		.amdhsa_exception_int_div_zero 0
	.end_amdhsa_kernel
	.section	.text._ZL15flash_attn_tileILi128ELi128ELi8ELi1ELb1EEvPKcS1_S1_S1_S1_PKiPfP15HIP_vector_typeIfLj2EEffffjfiS5_IjLj3EEiiiiiiiiiiiliiliiiiil,"axG",@progbits,_ZL15flash_attn_tileILi128ELi128ELi8ELi1ELb1EEvPKcS1_S1_S1_S1_PKiPfP15HIP_vector_typeIfLj2EEffffjfiS5_IjLj3EEiiiiiiiiiiiliiliiiiil,comdat
.Lfunc_end89:
	.size	_ZL15flash_attn_tileILi128ELi128ELi8ELi1ELb1EEvPKcS1_S1_S1_S1_PKiPfP15HIP_vector_typeIfLj2EEffffjfiS5_IjLj3EEiiiiiiiiiiiliiliiiiil, .Lfunc_end89-_ZL15flash_attn_tileILi128ELi128ELi8ELi1ELb1EEvPKcS1_S1_S1_S1_PKiPfP15HIP_vector_typeIfLj2EEffffjfiS5_IjLj3EEiiiiiiiiiiiliiliiiiil
                                        ; -- End function
	.section	.AMDGPU.csdata,"",@progbits
; Kernel info:
; codeLenInByte = 13240
; NumSgprs: 62
; NumVgprs: 163
; NumAgprs: 0
; TotalNumVgprs: 163
; ScratchSize: 32
; MemoryBound: 0
; FloatMode: 240
; IeeeMode: 1
; LDSByteSize: 20480 bytes/workgroup (compile time only)
; SGPRBlocks: 7
; VGPRBlocks: 20
; NumSGPRsForWavesPerEU: 62
; NumVGPRsForWavesPerEU: 163
; AccumOffset: 164
; Occupancy: 3
; WaveLimiterHint : 1
; COMPUTE_PGM_RSRC2:SCRATCH_EN: 1
; COMPUTE_PGM_RSRC2:USER_SGPR: 8
; COMPUTE_PGM_RSRC2:TRAP_HANDLER: 0
; COMPUTE_PGM_RSRC2:TGID_X_EN: 1
; COMPUTE_PGM_RSRC2:TGID_Y_EN: 1
; COMPUTE_PGM_RSRC2:TGID_Z_EN: 1
; COMPUTE_PGM_RSRC2:TIDIG_COMP_CNT: 1
; COMPUTE_PGM_RSRC3_GFX90A:ACCUM_OFFSET: 40
; COMPUTE_PGM_RSRC3_GFX90A:TG_SPLIT: 0
	.section	.text._ZL15flash_attn_tileILi128ELi128ELi4ELi1ELb1EEvPKcS1_S1_S1_S1_PKiPfP15HIP_vector_typeIfLj2EEffffjfiS5_IjLj3EEiiiiiiiiiiiliiliiiiil,"axG",@progbits,_ZL15flash_attn_tileILi128ELi128ELi4ELi1ELb1EEvPKcS1_S1_S1_S1_PKiPfP15HIP_vector_typeIfLj2EEffffjfiS5_IjLj3EEiiiiiiiiiiiliiliiiiil,comdat
	.globl	_ZL15flash_attn_tileILi128ELi128ELi4ELi1ELb1EEvPKcS1_S1_S1_S1_PKiPfP15HIP_vector_typeIfLj2EEffffjfiS5_IjLj3EEiiiiiiiiiiiliiliiiiil ; -- Begin function _ZL15flash_attn_tileILi128ELi128ELi4ELi1ELb1EEvPKcS1_S1_S1_S1_PKiPfP15HIP_vector_typeIfLj2EEffffjfiS5_IjLj3EEiiiiiiiiiiiliiliiiiil
	.p2align	8
	.type	_ZL15flash_attn_tileILi128ELi128ELi4ELi1ELb1EEvPKcS1_S1_S1_S1_PKiPfP15HIP_vector_typeIfLj2EEffffjfiS5_IjLj3EEiiiiiiiiiiiliiliiiiil,@function
_ZL15flash_attn_tileILi128ELi128ELi4ELi1ELb1EEvPKcS1_S1_S1_S1_PKiPfP15HIP_vector_typeIfLj2EEffffjfiS5_IjLj3EEiiiiiiiiiiiliiliiiiil: ; @_ZL15flash_attn_tileILi128ELi128ELi4ELi1ELb1EEvPKcS1_S1_S1_S1_PKiPfP15HIP_vector_typeIfLj2EEffffjfiS5_IjLj3EEiiiiiiiiiiiliiliiiiil
; %bb.0:
	s_load_dwordx4 s[24:27], s[4:5], 0x5c
	s_load_dwordx2 s[14:15], s[4:5], 0x80
	s_add_u32 flat_scratch_lo, s6, s11
	s_addc_u32 flat_scratch_hi, s7, 0
	s_add_u32 s0, s0, s11
	s_waitcnt lgkmcnt(0)
	v_cvt_f32_u32_e32 v1, s27
	s_addc_u32 s1, s1, 0
	s_sub_i32 s6, 0, s27
	s_load_dwordx16 s[36:51], s[4:5], 0x0
	v_rcp_iflag_f32_e32 v1, v1
	s_load_dwordx2 s[20:21], s[4:5], 0xb8
	s_mov_b64 s[30:31], 0
	v_mul_f32_e32 v1, 0x4f7ffffe, v1
	v_cvt_u32_f32_e32 v1, v1
	v_readfirstlane_b32 s7, v1
	s_mul_i32 s6, s6, s7
	s_mul_hi_u32 s6, s7, s6
	s_add_i32 s7, s7, s6
	s_mul_hi_u32 s6, s10, s7
	s_mul_i32 s7, s6, s27
	s_sub_i32 s7, s10, s7
	s_add_i32 s11, s6, 1
	s_sub_i32 s12, s7, s27
	s_cmp_ge_u32 s7, s27
	s_cselect_b32 s6, s11, s6
	s_cselect_b32 s7, s12, s7
	s_add_i32 s11, s6, 1
	s_cmp_ge_u32 s7, s27
	s_cselect_b32 s33, s11, s6
	s_abs_i32 s6, s15
	v_cvt_f32_u32_e32 v1, s6
	s_mul_i32 s12, s33, s27
	s_sub_i32 s13, 0, s6
	s_sub_i32 s28, s10, s12
	v_rcp_iflag_f32_e32 v1, v1
	s_abs_i32 s11, s27
	s_xor_b32 s7, s27, s15
	s_ashr_i32 s7, s7, 31
	v_mul_f32_e32 v1, 0x4f7ffffe, v1
	v_cvt_u32_f32_e32 v1, v1
	v_readfirstlane_b32 s10, v1
	s_mul_i32 s13, s13, s10
	s_mul_hi_u32 s12, s10, s13
	s_add_i32 s10, s10, s12
	s_mul_hi_u32 s10, s11, s10
	s_mul_i32 s12, s10, s6
	s_sub_i32 s11, s11, s12
	s_add_i32 s13, s10, 1
	s_sub_i32 s12, s11, s6
	s_cmp_ge_u32 s11, s6
	s_cselect_b32 s10, s13, s10
	s_cselect_b32 s11, s12, s11
	s_add_i32 s12, s10, 1
	s_cmp_ge_u32 s11, s6
	s_cselect_b32 s6, s12, s10
	s_xor_b32 s6, s6, s7
	s_sub_i32 s15, s6, s7
	s_abs_i32 s22, s15
	v_cvt_f32_u32_e32 v1, s22
	s_sub_i32 s6, 0, s22
	s_abs_i32 s23, s28
	v_rcp_iflag_f32_e32 v1, v1
	v_mul_f32_e32 v1, 0x4f7ffffe, v1
	v_cvt_u32_f32_e32 v1, v1
	v_readfirstlane_b32 s7, v1
	s_mul_i32 s6, s6, s7
	s_mul_hi_u32 s6, s7, s6
	s_add_i32 s6, s7, s6
	s_waitcnt lgkmcnt(0)
	s_cmp_eq_u64 s[42:43], 0
	s_cbranch_scc1 .LBB90_2
; %bb.1:
	s_abs_i32 s7, s20
	v_cvt_f32_u32_e32 v1, s7
	s_sub_i32 s16, 0, s7
	s_abs_i32 s13, s33
	s_ashr_i32 s12, s33, 31
	v_rcp_iflag_f32_e32 v1, v1
	s_load_dwordx2 s[10:11], s[4:5], 0xc8
	v_mul_f32_e32 v1, 0x4f7ffffe, v1
	v_cvt_u32_f32_e32 v1, v1
	v_readfirstlane_b32 s17, v1
	s_mul_i32 s16, s16, s17
	s_mul_hi_u32 s16, s17, s16
	s_add_i32 s17, s17, s16
	s_mul_hi_u32 s16, s13, s17
	s_mul_i32 s16, s16, s7
	s_sub_i32 s13, s13, s16
	s_sub_i32 s16, s13, s7
	s_cmp_ge_u32 s13, s7
	s_cselect_b32 s13, s16, s13
	s_sub_i32 s16, s13, s7
	s_cmp_ge_u32 s13, s7
	s_cselect_b32 s7, s16, s13
	s_xor_b32 s7, s7, s12
	s_sub_i32 s7, s7, s12
	s_ashr_i32 s12, s7, 31
	s_waitcnt lgkmcnt(0)
	s_mul_i32 s11, s7, s11
	s_mul_hi_u32 s13, s7, s10
	s_add_i32 s11, s13, s11
	s_mul_i32 s12, s12, s10
	s_add_i32 s11, s11, s12
	s_mul_i32 s7, s7, s10
	s_add_u32 s30, s42, s7
	s_addc_u32 s31, s43, s11
.LBB90_2:
	s_load_dwordx4 s[16:19], s[4:5], 0x40
	s_load_dwordx2 s[34:35], s[4:5], 0x50
	s_mul_hi_u32 s20, s23, s6
	v_mov_b32_e32 v48, 1.0
	s_waitcnt lgkmcnt(0)
	v_cmp_le_f32_e64 s[6:7], s17, 0
	s_and_b64 vcc, exec, s[6:7]
	s_cbranch_vccnz .LBB90_4
; %bb.3:
	s_sub_i32 s6, s28, s34
	s_lshl_b32 s6, s6, 1
	s_add_i32 s10, s28, 1
	s_or_b32 s11, s6, 1
	s_cmp_lt_u32 s28, s34
	s_cselect_b64 vcc, -1, 0
	s_and_b64 s[6:7], vcc, exec
	v_mov_b32_e32 v1, s19
	v_mov_b32_e32 v2, s18
	s_cselect_b32 s6, s10, s11
	v_cndmask_b32_e32 v18, v1, v2, vcc
	v_cvt_f32_i32_e32 v1, s6
	v_cmp_neq_f32_e32 vcc, 1.0, v18
	s_mov_b32 s6, 0x3f2aaaab
	s_movk_i32 s10, 0x204
	v_cndmask_b32_e32 v19, 1.0, v1, vcc
	v_cmp_eq_f32_e32 vcc, 0, v19
	v_cndmask_b32_e64 v20, |v18|, 1.0, vcc
	v_frexp_mant_f32_e32 v1, v20
	v_cmp_gt_f32_e64 s[6:7], s6, v1
	v_cndmask_b32_e64 v2, 1.0, 2.0, s[6:7]
	v_mul_f32_e32 v1, v1, v2
	v_add_f32_e32 v2, 1.0, v1
	v_rcp_f32_e32 v10, v2
	v_add_f32_e32 v3, -1.0, v2
	v_sub_f32_e32 v5, v1, v3
	v_add_f32_e32 v3, -1.0, v1
	v_mul_f32_e32 v1, v3, v10
	v_mul_f32_e32 v4, v2, v1
	v_fma_f32 v6, v1, v2, -v4
	v_fmac_f32_e32 v6, v1, v5
	v_add_f32_e32 v2, v4, v6
	v_sub_f32_e32 v5, v3, v2
	v_pk_add_f32 v[8:9], v[2:3], v[4:5] neg_lo:[0,1] neg_hi:[0,1]
	v_mov_b32_e32 v7, v2
	v_pk_add_f32 v[2:3], v[8:9], v[6:7] neg_lo:[0,1] neg_hi:[0,1]
	v_add_f32_e32 v2, v2, v3
	v_add_f32_e32 v2, v5, v2
	v_mul_f32_e32 v3, v10, v2
	v_add_f32_e32 v2, v1, v3
	v_sub_f32_e32 v1, v2, v1
	v_sub_f32_e32 v1, v3, v1
	v_mul_f32_e32 v3, v2, v2
	v_fma_f32 v5, v2, v2, -v3
	v_add_f32_e32 v4, v1, v1
	v_fmac_f32_e32 v5, v2, v4
	v_add_f32_e32 v4, v3, v5
	v_mov_b32_e32 v6, 0x3e91f4c4
	v_fmac_f32_e32 v6, 0x3e76c4e1, v4
	v_mov_b32_e32 v7, 0x3ecccdef
	v_fmac_f32_e32 v7, v4, v6
	v_sub_f32_e32 v3, v4, v3
	v_sub_f32_e32 v12, v5, v3
	v_mul_f32_e32 v3, v4, v7
	v_fma_f32 v5, v4, v7, -v3
	v_fmac_f32_e32 v5, v12, v7
	v_add_f32_e32 v6, v3, v5
	v_add_f32_e32 v7, 0x3f2aaaaa, v6
	v_sub_f32_e32 v3, v6, v3
	v_sub_f32_e32 v3, v5, v3
	v_add_f32_e32 v5, 0xbf2aaaaa, v7
	v_add_f32_e32 v3, 0x31739010, v3
	v_sub_f32_e32 v5, v6, v5
	v_pk_mul_f32 v[8:9], v[2:3], v[4:5]
	v_fma_f32 v6, v4, v2, -v8
	v_pk_add_f32 v[10:11], v[2:3], v[4:5]
	v_fmac_f32_e32 v6, v4, v1
	v_mov_b32_e32 v9, v11
	v_fmac_f32_e32 v6, v12, v2
	v_pk_add_f32 v[4:5], v[8:9], v[6:7]
	v_sub_f32_e32 v3, v4, v8
	v_sub_f32_e32 v3, v6, v3
	;; [unrolled: 1-line block ×3, first 2 shown]
	v_add_f32_e32 v9, v11, v6
	v_mov_b32_e32 v6, v5
	v_pk_mul_f32 v[6:7], v[4:5], v[6:7]
	v_cvt_f64_f32_e32 v[10:11], v20
	v_frexp_exp_i32_f64_e32 v7, v[10:11]
	v_subbrev_co_u32_e64 v7, s[6:7], 0, v7, s[6:7]
	v_cvt_f32_i32_e32 v7, v7
	v_fma_f32 v8, v4, v5, -v6
	v_fmac_f32_e32 v8, v4, v9
	s_mov_b32 s6, 0x3f317218
	v_mul_f32_e32 v4, 0x3f317218, v7
	v_fmac_f32_e32 v8, v3, v5
	v_fma_f32 v10, v7, s6, -v4
	v_fmac_f32_e32 v10, 0xb102e308, v7
	v_ldexp_f32 v11, v2, 1
	v_add_f32_e32 v5, v6, v8
	v_pk_add_f32 v[2:3], v[4:5], v[10:11]
	v_mov_b32_e32 v12, v5
	v_mov_b32_e32 v13, v3
	;; [unrolled: 1-line block ×3, first 2 shown]
	v_pk_add_f32 v[6:7], v[12:13], v[6:7] neg_lo:[0,1] neg_hi:[0,1]
	v_mov_b32_e32 v9, v5
	v_ldexp_f32 v1, v1, 1
	v_pk_add_f32 v[6:7], v[8:9], v[6:7] neg_lo:[0,1] neg_hi:[0,1]
	v_add_f32_e32 v1, v1, v6
	v_add_f32_e32 v5, v1, v7
	v_pk_add_f32 v[6:7], v[2:3], v[4:5] neg_lo:[0,1] neg_hi:[0,1]
	v_pk_add_f32 v[8:9], v[2:3], v[4:5]
	v_mov_b32_e32 v12, v6
	v_mov_b32_e32 v13, v9
	;; [unrolled: 1-line block ×3, first 2 shown]
	v_pk_add_f32 v[12:13], v[10:11], v[12:13]
	v_mov_b32_e32 v4, v13
	v_pk_add_f32 v[14:15], v[4:5], v[2:3] neg_lo:[0,1] neg_hi:[0,1]
	v_mov_b32_e32 v1, v14
	v_mov_b32_e32 v12, v9
	;; [unrolled: 1-line block ×4, first 2 shown]
	v_pk_add_f32 v[6:7], v[10:11], v[6:7] neg_lo:[0,1] neg_hi:[0,1]
	v_pk_add_f32 v[16:17], v[8:9], v[0:1] neg_lo:[0,1] neg_hi:[0,1]
	;; [unrolled: 1-line block ×3, first 2 shown]
	v_mov_b32_e32 v10, v5
	v_pk_add_f32 v[2:3], v[10:11], v[2:3] neg_lo:[0,1] neg_hi:[0,1]
	v_mov_b32_e32 v16, v6
	v_pk_add_f32 v[8:9], v[16:17], v[2:3]
	v_mov_b32_e32 v10, v9
	v_pk_add_f32 v[10:11], v[8:9], v[10:11]
	v_pk_add_f32 v[4:5], v[4:5], v[10:11]
	v_mov_b32_e32 v7, v13
	v_mov_b32_e32 v9, v4
	v_pk_add_f32 v[12:13], v[8:9], v[6:7] neg_lo:[0,1] neg_hi:[0,1]
	v_mov_b32_e32 v3, v10
	v_sub_f32_e32 v1, v8, v12
	v_pk_add_f32 v[2:3], v[2:3], v[12:13] neg_lo:[0,1] neg_hi:[0,1]
	v_sub_f32_e32 v1, v6, v1
	v_add_f32_e32 v1, v2, v1
	v_add_f32_e32 v1, v1, v3
	;; [unrolled: 1-line block ×3, first 2 shown]
	v_sub_f32_e32 v3, v2, v4
	v_sub_f32_e32 v1, v1, v3
	v_mul_f32_e32 v3, v19, v2
	v_fma_f32 v2, v19, v2, -v3
	v_fmac_f32_e32 v2, v19, v1
	v_add_f32_e32 v1, v3, v2
	v_cmp_class_f32_e64 s[6:7], v3, s10
	v_sub_f32_e32 v4, v1, v3
	v_cndmask_b32_e64 v1, v1, v3, s[6:7]
	s_mov_b32 s12, 0x42b17218
	v_mov_b32_e32 v3, 0x37000000
	v_cmp_eq_f32_e64 s[6:7], s12, v1
	v_cndmask_b32_e64 v3, 0, v3, s[6:7]
	v_sub_f32_e32 v2, v2, v4
	v_sub_f32_e32 v4, v1, v3
	s_mov_b32 s6, 0x3fb8aa3b
	v_mul_f32_e32 v5, 0x3fb8aa3b, v4
	v_fma_f32 v6, v4, s6, -v5
	v_rndne_f32_e32 v7, v5
	v_fmac_f32_e32 v6, 0x32a5705f, v4
	v_sub_f32_e32 v5, v5, v7
	v_add_f32_e32 v5, v5, v6
	v_exp_f32_e32 v5, v5
	v_cvt_i32_f32_e32 v6, v7
	s_mov_b32 s11, 0x7f800000
	v_cmp_neq_f32_e64 s[6:7], |v1|, s11
	v_cndmask_b32_e64 v1, 0, v2, s[6:7]
	s_mov_b32 s6, 0xc2ce8ed0
	v_ldexp_f32 v2, v5, v6
	v_cmp_ngt_f32_e64 s[6:7], s6, v4
	v_add_f32_e32 v1, v3, v1
	v_cndmask_b32_e64 v2, 0, v2, s[6:7]
	v_mov_b32_e32 v3, 0x7f800000
	v_cmp_nlt_f32_e64 s[6:7], s12, v4
	v_cndmask_b32_e64 v2, v3, v2, s[6:7]
	v_fma_f32 v1, v2, v1, v2
	v_cmp_class_f32_e64 s[6:7], v2, s10
	v_trunc_f32_e32 v4, v19
	v_cndmask_b32_e64 v1, v1, v2, s[6:7]
	v_cndmask_b32_e64 v2, v18, 1.0, vcc
	v_cmp_eq_f32_e32 vcc, v4, v19
	v_mul_f32_e32 v4, 0.5, v19
	v_trunc_f32_e32 v6, v4
	v_cmp_neq_f32_e64 s[6:7], v6, v4
	s_and_b64 s[6:7], vcc, s[6:7]
	v_cndmask_b32_e64 v4, 1.0, v2, s[6:7]
	s_brev_b32 s18, -2
	v_mov_b32_e32 v5, 0x7fc00000
	v_bfi_b32 v1, s18, v1, v4
	v_cndmask_b32_e32 v4, v5, v1, vcc
	v_cmp_gt_f32_e32 vcc, 0, v2
	v_cndmask_b32_e32 v1, v1, v4, vcc
	v_cmp_eq_f32_e32 vcc, s11, v20
	v_cmp_eq_f32_e64 s[10:11], 0, v2
	v_cmp_gt_f32_e64 s[12:13], 0, v19
	s_xor_b64 s[12:13], s[12:13], s[10:11]
	v_cndmask_b32_e64 v3, v3, 0, s[12:13]
	v_cndmask_b32_e64 v4, 0, v2, s[6:7]
	v_bfi_b32 v3, s18, v3, v4
	s_or_b64 vcc, vcc, s[10:11]
	v_cndmask_b32_e32 v1, v1, v3, vcc
	v_cmp_o_f32_e32 vcc, v2, v2
	v_cndmask_b32_e32 v48, v5, v1, vcc
.LBB90_4:
	s_load_dwordx4 s[52:55], s[4:5], 0x70
	v_bfe_u32 v46, v0, 10, 10
	v_lshl_add_u32 v5, s8, 2, v46
	s_ashr_i32 s29, s28, 31
	s_ashr_i32 s6, s15, 31
	s_waitcnt lgkmcnt(0)
	s_mul_i32 s7, s33, s54
	s_ashr_i32 s11, s7, 31
	v_mul_hi_u32 v1, s24, v5
	s_mul_i32 s10, s28, s53
	s_add_u32 s7, s36, s7
	v_add_u32_e32 v1, v5, v1
	s_addc_u32 s11, s37, s11
	s_ashr_i32 s12, s10, 31
	v_lshrrev_b32_e32 v1, s25, v1
	s_add_u32 s7, s7, s10
	v_mul_lo_u32 v1, v1, s26
	s_addc_u32 s12, s11, s12
	v_sub_u32_e32 v50, v5, v1
	s_ashr_i32 s13, s52, 31
	v_mov_b32_e32 v1, s52
	v_alignbit_b32 v1, s13, v1, 2
	v_mad_u64_u32 v[2:3], s[10:11], v1, v50, 0
	v_mov_b32_e32 v4, v3
	s_lshr_b32 s10, s13, 2
	v_mad_u64_u32 v[6:7], s[10:11], s10, v50, v[4:5]
	v_mov_b32_e32 v3, v6
	v_and_b32_e32 v4, 0x3ff, v0
	v_lshlrev_b64 v[0:1], 2, v[2:3]
	v_mov_b32_e32 v2, s12
	v_add_co_u32_e32 v0, vcc, s7, v0
	v_addc_co_u32_e32 v1, vcc, v2, v1, vcc
	v_lshlrev_b32_e32 v2, 4, v4
	v_add_co_u32_e32 v0, vcc, v0, v2
	v_addc_co_u32_e32 v1, vcc, 0, v1, vcc
	global_load_dwordx4 v[0:3], v[0:1], off
	v_lshlrev_b32_e32 v6, 6, v46
	v_lshlrev_b32_e32 v47, 1, v4
	v_mov_b32_e32 v7, 0
	s_cmp_eq_u64 s[46:47], 0
	s_waitcnt vmcnt(0)
	v_pk_mul_f32 v[0:1], v[0:1], s[16:17] op_sel_hi:[1,0]
	v_pk_mul_f32 v[2:3], v[2:3], s[16:17] op_sel_hi:[1,0]
	v_cvt_f16_f32_e32 v8, v1
	v_cvt_f16_f32_e32 v1, v3
	;; [unrolled: 1-line block ×4, first 2 shown]
	v_add_lshl_u32 v3, v6, v47, 2
	v_pack_b32_f16 v1, v2, v1
	v_pack_b32_f16 v0, v0, v8
	ds_write_b64 v3, v[0:1] offset:17408
	s_waitcnt lgkmcnt(0)
	s_barrier
	s_cbranch_scc1 .LBB90_6
; %bb.5:
	s_load_dword s7, s[4:5], 0xd0
	s_mov_b32 s11, 0
	s_waitcnt lgkmcnt(0)
	s_mul_i32 s7, s7, s33
	s_add_i32 s10, s7, s8
	s_lshl_b64 s[10:11], s[10:11], 2
	s_add_u32 s10, s46, s10
	s_addc_u32 s11, s47, s11
	s_load_dword s14, s[10:11], 0x0
.LBB90_6:
	s_nop 0
	s_load_dwordx2 s[10:11], s[4:5], 0x8c
	s_load_dwordx4 s[52:55], s[4:5], 0x98
	s_ashr_i32 s7, s33, 31
	s_ashr_i32 s36, s21, 1
	s_mul_i32 s17, s20, s22
	s_waitcnt lgkmcnt(0)
	s_ashr_i32 s15, s10, 2
	s_mul_i32 s10, s33, s53
	s_mul_hi_u32 s16, s33, s52
	s_add_i32 s10, s16, s10
	s_mul_i32 s16, s7, s52
	s_ashr_i32 s8, s54, 2
	s_add_i32 s10, s10, s16
	s_mul_i32 s16, s33, s52
	s_add_u32 s16, s38, s16
	s_addc_u32 s10, s39, s10
	s_sub_i32 s17, s23, s17
	s_xor_b32 s6, s29, s6
	s_add_i32 s18, s20, 1
	s_sub_i32 s19, s17, s22
	s_cmp_ge_u32 s17, s22
	s_cselect_b32 s18, s18, s20
	s_cselect_b32 s17, s19, s17
	s_add_i32 s19, s18, 1
	s_cmp_ge_u32 s17, s22
	s_cselect_b32 s17, s19, s18
	s_load_dwordx2 s[12:13], s[4:5], 0xa8
	s_xor_b32 s17, s17, s6
	s_sub_i32 s6, s17, s6
	s_mul_i32 s11, s6, s11
	s_ashr_i32 s17, s11, 31
	s_add_u32 s18, s16, s11
	s_addc_u32 s19, s10, s17
	s_waitcnt lgkmcnt(0)
	s_mul_i32 s10, s33, s13
	s_mul_hi_u32 s11, s33, s12
	s_add_i32 s10, s11, s10
	s_mul_i32 s7, s7, s12
	s_add_i32 s10, s10, s7
	s_mul_i32 s7, s33, s12
	s_add_u32 s7, s40, s7
	s_mul_i32 s6, s6, s55
	s_addc_u32 s10, s41, s10
	s_ashr_i32 s11, s6, 31
	s_add_u32 s38, s7, s6
	v_lshlrev_b32_e32 v42, 2, v4
	s_addc_u32 s39, s10, s11
	s_lshl_b32 s40, s9, 6
	s_sub_i32 s20, s14, 64
	s_cmp_ge_i32 s40, s20
	v_mov_b32_e32 v6, 0xfeffffff
	v_mov_b32_e32 v45, 0
	v_lshrrev_b32_e32 v1, 4, v4
	v_and_b32_e32 v0, 60, v42
	v_lshlrev_b32_e32 v43, 3, v4
	v_mbcnt_lo_u32_b32 v49, -1, 0
	s_cbranch_scc1 .LBB90_23
; %bb.7:
	v_lshl_add_u32 v8, v46, 1, v1
	v_lshlrev_b32_e32 v9, 2, v0
	s_movk_i32 s6, 0x110
	v_mad_u32_u24 v51, v8, s6, v9
	v_mul_lo_u32 v6, s15, v8
	s_lshl_b32 s6, s15, 3
	v_add_u32_e32 v10, s6, v6
	v_add_u32_e32 v12, s6, v10
	;; [unrolled: 1-line block ×6, first 2 shown]
	v_mov_b32_e32 v2, 0x4400
	v_add_u32_e32 v22, s6, v20
	v_lshl_add_u32 v59, v46, 8, v2
	s_cmp_lg_u64 s[30:31], 0
	v_mad_u64_u32 v[2:3], s[6:7], v50, s36, v[4:5]
	s_cselect_b64 s[10:11], -1, 0
	v_mul_lo_u32 v24, s8, v8
	s_lshl_b32 s6, s8, 3
	v_add_u32_e32 v26, s6, v24
	v_add_u32_e32 v28, s6, v26
	v_add_u32_e32 v30, s6, v28
	v_add_u32_e32 v32, s6, v30
	v_add_u32_e32 v34, s6, v32
	v_add_u32_e32 v36, s6, v34
	s_add_u32 s12, s4, 0xd0
	v_mov_b32_e32 v3, 0x4800
	v_add_u32_e32 v38, s6, v36
	s_addc_u32 s13, s5, 0
	v_ashrrev_i32_e32 v7, 31, v6
	v_ashrrev_i32_e32 v11, 31, v10
	;; [unrolled: 1-line block ×8, first 2 shown]
	v_lshl_add_u32 v3, v46, 7, v3
	v_lshl_or_b32 v62, v8, 8, v9
	v_ashrrev_i32_e32 v25, 31, v24
	v_ashrrev_i32_e32 v27, 31, v26
	;; [unrolled: 1-line block ×8, first 2 shown]
	s_add_u32 s21, s30, 64
	v_mov_b32_e32 v44, 0
	v_add_u32_e32 v52, 0x880, v51
	v_add_u32_e32 v53, 0x1100, v51
	;; [unrolled: 1-line block ×7, first 2 shown]
	v_mul_u32_u24_e32 v60, 0x110, v4
	v_lshl_add_u32 v61, v4, 1, v3
	v_add_u32_e32 v63, 0x800, v62
	v_add_u32_e32 v64, 0x1000, v62
	;; [unrolled: 1-line block ×7, first 2 shown]
	s_mov_b32 s34, s35
	s_addc_u32 s22, s31, 0
	v_mov_b32_e32 v77, 0xfeffffff
	v_lshlrev_b64 v[8:9], 2, v[6:7]
	v_lshlrev_b32_e32 v70, 2, v0
	v_lshlrev_b64 v[10:11], 2, v[10:11]
	v_lshlrev_b64 v[12:13], 2, v[12:13]
	;; [unrolled: 1-line block ×7, first 2 shown]
	s_mov_b32 s23, 0x3f200000
	s_mov_b32 s24, 0x3fb8aa3b
	;; [unrolled: 1-line block ×4, first 2 shown]
	v_mov_b32_e32 v71, 0xbd5c1c4e
	v_mov_b32_e32 v72, 0x3e088382
	v_mov_b32_e32 v73, 0xbeaaaa99
	s_brev_b32 s41, -2
	v_mbcnt_hi_u32_b32 v74, -1, v49
	v_lshlrev_b64 v[24:25], 2, v[24:25]
	v_lshlrev_b64 v[26:27], 2, v[26:27]
	;; [unrolled: 1-line block ×8, first 2 shown]
	v_mov_b32_e32 v75, 0x7f800000
	v_mov_b32_e32 v45, 0
	;; [unrolled: 1-line block ×3, first 2 shown]
.LBB90_8:                               ; =>This Inner Loop Header: Depth=1
	s_mul_hi_i32 s7, s40, s15
	s_mul_i32 s6, s40, s15
	s_lshl_b64 s[6:7], s[6:7], 2
	s_add_u32 s6, s18, s6
	s_addc_u32 s7, s19, s7
	v_mov_b32_e32 v6, s7
	v_add_co_u32_e32 v7, vcc, s6, v8
	v_addc_co_u32_e32 v40, vcc, v6, v9, vcc
	v_add_co_u32_e32 v6, vcc, v7, v70
	v_addc_co_u32_e32 v7, vcc, 0, v40, vcc
	v_mov_b32_e32 v40, s7
	v_add_co_u32_e32 v41, vcc, s6, v10
	v_addc_co_u32_e32 v78, vcc, v40, v11, vcc
	v_add_co_u32_e32 v40, vcc, v41, v70
	v_addc_co_u32_e32 v41, vcc, 0, v78, vcc
	global_load_dwordx4 v[78:81], v[6:7], off
	global_load_dwordx4 v[82:85], v[40:41], off
	v_mov_b32_e32 v6, s7
	v_add_co_u32_e32 v7, vcc, s6, v12
	v_addc_co_u32_e32 v40, vcc, v6, v13, vcc
	v_add_co_u32_e32 v6, vcc, v7, v70
	v_addc_co_u32_e32 v7, vcc, 0, v40, vcc
	v_mov_b32_e32 v40, s7
	v_add_co_u32_e32 v41, vcc, s6, v14
	v_addc_co_u32_e32 v86, vcc, v40, v15, vcc
	v_add_co_u32_e32 v40, vcc, v41, v70
	v_addc_co_u32_e32 v41, vcc, 0, v86, vcc
	global_load_dwordx4 v[86:89], v[6:7], off
	global_load_dwordx4 v[90:93], v[40:41], off
	;; [unrolled: 12-line block ×4, first 2 shown]
	s_waitcnt vmcnt(7)
	ds_write_b128 v51, v[78:81]
	s_waitcnt vmcnt(6)
	ds_write_b128 v52, v[82:85]
	;; [unrolled: 2-line block ×8, first 2 shown]
	s_waitcnt lgkmcnt(0)
	s_barrier
	ds_read_b128 v[80:83], v60
	ds_read_b128 v[84:87], v59
	ds_read_b128 v[88:91], v60 offset:8704
	v_mov_b32_e32 v78, 0
	s_waitcnt lgkmcnt(1)
	;;#ASMSTART
	v_dot2_f32_f16 v78, v80, v84, v78
	;;#ASMEND
	;;#ASMSTART
	v_dot2_f32_f16 v78, v81, v85, v78
	;;#ASMEND
	;; [unrolled: 3-line block ×3, first 2 shown]
	v_mov_b32_e32 v79, 0
	;;#ASMSTART
	v_dot2_f32_f16 v78, v83, v87, v78
	;;#ASMEND
	s_waitcnt lgkmcnt(0)
	;;#ASMSTART
	v_dot2_f32_f16 v79, v88, v84, v79
	;;#ASMEND
	;;#ASMSTART
	v_dot2_f32_f16 v79, v89, v85, v79
	;;#ASMEND
	;;#ASMSTART
	v_dot2_f32_f16 v79, v90, v86, v79
	;;#ASMEND
	;;#ASMSTART
	v_dot2_f32_f16 v79, v91, v87, v79
	;;#ASMEND
	ds_read_b128 v[80:83], v60 offset:16
	ds_read_b128 v[84:87], v59 offset:16
	ds_read_b128 v[88:91], v60 offset:8720
	s_waitcnt lgkmcnt(1)
	;;#ASMSTART
	v_dot2_f32_f16 v78, v80, v84, v78
	;;#ASMEND
	;;#ASMSTART
	v_dot2_f32_f16 v78, v81, v85, v78
	;;#ASMEND
	;;#ASMSTART
	v_dot2_f32_f16 v78, v82, v86, v78
	;;#ASMEND
	;;#ASMSTART
	v_dot2_f32_f16 v78, v83, v87, v78
	;;#ASMEND
	s_waitcnt lgkmcnt(0)
	;;#ASMSTART
	v_dot2_f32_f16 v79, v88, v84, v79
	;;#ASMEND
	;;#ASMSTART
	v_dot2_f32_f16 v79, v89, v85, v79
	;;#ASMEND
	;;#ASMSTART
	v_dot2_f32_f16 v79, v90, v86, v79
	;;#ASMEND
	;;#ASMSTART
	v_dot2_f32_f16 v79, v91, v87, v79
	;;#ASMEND
	ds_read_b128 v[80:83], v60 offset:32
	ds_read_b128 v[84:87], v59 offset:32
	ds_read_b128 v[88:91], v60 offset:8736
	s_waitcnt lgkmcnt(1)
	;;#ASMSTART
	v_dot2_f32_f16 v78, v80, v84, v78
	;;#ASMEND
	;;#ASMSTART
	v_dot2_f32_f16 v78, v81, v85, v78
	;;#ASMEND
	;;#ASMSTART
	v_dot2_f32_f16 v78, v82, v86, v78
	;;#ASMEND
	;; [unrolled: 29-line block ×15, first 2 shown]
	;;#ASMSTART
	v_dot2_f32_f16 v78, v83, v87, v78
	;;#ASMEND
	s_waitcnt lgkmcnt(0)
	;;#ASMSTART
	v_dot2_f32_f16 v79, v88, v84, v79
	;;#ASMEND
	;;#ASMSTART
	v_dot2_f32_f16 v79, v89, v85, v79
	;;#ASMEND
	;; [unrolled: 3-line block ×3, first 2 shown]
	v_cmp_nlt_f32_e64 s[6:7], |v78|, s23
	;;#ASMSTART
	v_dot2_f32_f16 v79, v91, v87, v79
	;;#ASMEND
                                        ; implicit-def: $vgpr80
	s_and_saveexec_b64 s[16:17], s[6:7]
	s_xor_b64 s[6:7], exec, s[16:17]
	s_cbranch_execz .LBB90_10
; %bb.9:                                ;   in Loop: Header=BB90_8 Depth=1
	v_add_f32_e64 v6, |v78|, |v78|
	v_mul_f32_e32 v7, 0x3fb8aa3b, v6
	v_rndne_f32_e32 v40, v7
	v_sub_f32_e32 v41, v7, v40
	v_fma_f32 v7, v6, s24, -v7
	v_fmac_f32_e32 v7, 0x32a5705f, v6
	v_add_f32_e32 v7, v41, v7
	v_cvt_i32_f32_e32 v40, v40
	v_exp_f32_e32 v7, v7
	v_cmp_ngt_f32_e32 vcc, s25, v6
	v_ldexp_f32 v7, v7, v40
	v_cndmask_b32_e32 v7, 0, v7, vcc
	v_cmp_nlt_f32_e32 vcc, s37, v6
	v_cndmask_b32_e32 v6, v75, v7, vcc
	v_add_f32_e32 v6, 1.0, v6
	v_rcp_f32_e32 v6, v6
	v_fma_f32 v80, v6, -2.0, 1.0
.LBB90_10:                              ;   in Loop: Header=BB90_8 Depth=1
	s_andn2_saveexec_b64 s[6:7], s[6:7]
; %bb.11:                               ;   in Loop: Header=BB90_8 Depth=1
	v_mul_f32_e32 v6, v78, v78
	v_mov_b32_e32 v7, 0x3ca908c9
	v_fmac_f32_e32 v7, 0xbbbac73d, v6
	v_fma_f32 v7, v6, v7, v71
	v_fma_f32 v7, v6, v7, v72
	;; [unrolled: 1-line block ×3, first 2 shown]
	v_mul_f32_e64 v7, |v78|, v7
	v_fma_f32 v80, v6, v7, |v78|
; %bb.12:                               ;   in Loop: Header=BB90_8 Depth=1
	s_or_b64 exec, exec, s[6:7]
	v_add_u32_e32 v40, s40, v2
	v_cndmask_b32_e64 v6, 0, 1, s[10:11]
	v_cmp_ne_u32_e64 s[6:7], 1, v6
	s_andn2_b64 vcc, exec, s[10:11]
	v_ashrrev_i32_e32 v41, 31, v40
	s_cbranch_vccnz .LBB90_22
; %bb.13:                               ;   in Loop: Header=BB90_8 Depth=1
	v_lshlrev_b64 v[6:7], 1, v[40:41]
	v_mov_b32_e32 v81, s31
	v_add_co_u32_e32 v6, vcc, s30, v6
	v_addc_co_u32_e32 v7, vcc, v81, v7, vcc
	flat_load_ushort v6, v[6:7]
	s_waitcnt vmcnt(0) lgkmcnt(0)
	v_cvt_f32_f16_e32 v6, v6
	v_mul_f32_e32 v6, v48, v6
	v_cmp_nlt_f32_e64 s[16:17], |v79|, s23
                                        ; implicit-def: $vgpr81
	s_and_saveexec_b64 s[42:43], s[16:17]
	s_xor_b64 s[16:17], exec, s[42:43]
	s_cbranch_execz .LBB90_15
.LBB90_14:                              ;   in Loop: Header=BB90_8 Depth=1
	v_add_f32_e64 v7, |v79|, |v79|
	v_mul_f32_e32 v81, 0x3fb8aa3b, v7
	v_rndne_f32_e32 v82, v81
	v_sub_f32_e32 v83, v81, v82
	v_fma_f32 v81, v7, s24, -v81
	v_fmac_f32_e32 v81, 0x32a5705f, v7
	v_add_f32_e32 v81, v83, v81
	v_cvt_i32_f32_e32 v82, v82
	v_exp_f32_e32 v81, v81
	v_cmp_ngt_f32_e32 vcc, s25, v7
	v_ldexp_f32 v81, v81, v82
	v_cndmask_b32_e32 v81, 0, v81, vcc
	v_cmp_nlt_f32_e32 vcc, s37, v7
	v_cndmask_b32_e32 v7, v75, v81, vcc
	v_add_f32_e32 v7, 1.0, v7
	v_rcp_f32_e32 v7, v7
	v_fma_f32 v81, v7, -2.0, 1.0
.LBB90_15:                              ;   in Loop: Header=BB90_8 Depth=1
	s_andn2_saveexec_b64 s[16:17], s[16:17]
	s_cbranch_execz .LBB90_18
; %bb.16:                               ;   in Loop: Header=BB90_8 Depth=1
	v_mul_f32_e32 v7, v79, v79
	v_mov_b32_e32 v81, 0x3ca908c9
	v_fmac_f32_e32 v81, 0xbbbac73d, v7
	v_fma_f32 v81, v7, v81, v71
	v_fma_f32 v81, v7, v81, v72
	;; [unrolled: 1-line block ×3, first 2 shown]
	v_mul_f32_e64 v81, |v79|, v81
	v_fma_f32 v81, v7, v81, |v79|
	s_or_b64 exec, exec, s[16:17]
	s_and_b64 vcc, exec, s[6:7]
	s_cbranch_vccz .LBB90_19
.LBB90_17:                              ;   in Loop: Header=BB90_8 Depth=1
	v_mov_b32_e32 v7, 0
	s_branch .LBB90_20
.LBB90_18:                              ;   in Loop: Header=BB90_8 Depth=1
	s_or_b64 exec, exec, s[16:17]
	s_and_b64 vcc, exec, s[6:7]
	s_cbranch_vccnz .LBB90_17
.LBB90_19:                              ;   in Loop: Header=BB90_8 Depth=1
	v_lshlrev_b64 v[40:41], 1, v[40:41]
	v_mov_b32_e32 v7, s22
	v_add_co_u32_e32 v40, vcc, s21, v40
	v_addc_co_u32_e32 v41, vcc, v7, v41, vcc
	flat_load_ushort v7, v[40:41]
	s_waitcnt vmcnt(0) lgkmcnt(0)
	v_cvt_f32_f16_e32 v7, v7
	v_mul_f32_e32 v7, v48, v7
.LBB90_20:                              ;   in Loop: Header=BB90_8 Depth=1
	v_bfi_b32 v40, s41, v80, v78
	v_and_b32_e32 v78, 0x60, v74
	v_bfi_b32 v41, s41, v81, v79
	v_add_u32_e32 v112, 32, v78
	v_xor_b32_e32 v78, 16, v74
	v_cmp_lt_i32_e32 vcc, v78, v112
	v_pk_fma_f32 v[40:41], v[40:41], s[34:35], v[6:7]
	v_cndmask_b32_e32 v78, v74, v78, vcc
	v_add_f32_e32 v6, 0x40051340, v40
	v_add_f32_e32 v7, 0x40051340, v41
	v_lshlrev_b32_e32 v78, 2, v78
	v_max3_f32 v6, v77, v6, v7
	ds_bpermute_b32 v7, v78, v6
	s_mul_hi_i32 s7, s40, s8
	s_mul_i32 s6, s40, s8
	v_xor_b32_e32 v79, 8, v74
	s_lshl_b64 s[6:7], s[6:7], 2
	v_cmp_lt_i32_e32 vcc, v79, v112
	v_xor_b32_e32 v80, 4, v74
	s_add_u32 s6, s38, s6
	v_cndmask_b32_e32 v79, v74, v79, vcc
	v_cmp_lt_i32_e32 vcc, v80, v112
	s_waitcnt lgkmcnt(0)
	v_max_f32_e32 v7, v7, v7
	s_addc_u32 s7, s39, s7
	v_cndmask_b32_e32 v80, v74, v80, vcc
	v_max_f32_e32 v114, v6, v7
	v_mov_b32_e32 v6, s7
	v_add_co_u32_e32 v7, vcc, s6, v24
	v_addc_co_u32_e32 v78, vcc, v6, v25, vcc
	v_add_co_u32_e32 v6, vcc, v7, v70
	v_lshlrev_b32_e32 v79, 2, v79
	v_addc_co_u32_e32 v7, vcc, 0, v78, vcc
	ds_bpermute_b32 v115, v79, v114
	v_mov_b32_e32 v78, s7
	v_add_co_u32_e32 v79, vcc, s6, v26
	v_addc_co_u32_e32 v78, vcc, v78, v27, vcc
	v_add_co_u32_e32 v86, vcc, v79, v70
	v_addc_co_u32_e32 v87, vcc, 0, v78, vcc
	v_lshlrev_b32_e32 v113, 2, v80
	s_waitcnt lgkmcnt(0)
	s_barrier
	global_load_dwordx4 v[78:81], v[6:7], off
	global_load_dwordx4 v[82:85], v[86:87], off
	v_mov_b32_e32 v6, s7
	v_add_co_u32_e32 v7, vcc, s6, v28
	v_addc_co_u32_e32 v86, vcc, v6, v29, vcc
	v_add_co_u32_e32 v6, vcc, v7, v70
	v_addc_co_u32_e32 v7, vcc, 0, v86, vcc
	v_mov_b32_e32 v86, s7
	v_add_co_u32_e32 v87, vcc, s6, v30
	v_addc_co_u32_e32 v86, vcc, v86, v31, vcc
	v_add_co_u32_e32 v94, vcc, v87, v70
	v_addc_co_u32_e32 v95, vcc, 0, v86, vcc
	global_load_dwordx4 v[86:89], v[6:7], off
	global_load_dwordx4 v[90:93], v[94:95], off
	v_mov_b32_e32 v6, s7
	v_add_co_u32_e32 v7, vcc, s6, v32
	v_addc_co_u32_e32 v94, vcc, v6, v33, vcc
	v_add_co_u32_e32 v6, vcc, v7, v70
	v_addc_co_u32_e32 v7, vcc, 0, v94, vcc
	v_mov_b32_e32 v94, s7
	v_add_co_u32_e32 v95, vcc, s6, v34
	v_addc_co_u32_e32 v94, vcc, v94, v35, vcc
	v_add_co_u32_e32 v102, vcc, v95, v70
	v_addc_co_u32_e32 v103, vcc, 0, v94, vcc
	;; [unrolled: 12-line block ×3, first 2 shown]
	global_load_dwordx4 v[102:105], v[6:7], off
	global_load_dwordx4 v[106:109], v[110:111], off
	v_max_f32_e32 v6, v115, v115
	v_max_f32_e32 v6, v114, v6
	ds_bpermute_b32 v7, v113, v6
	v_xor_b32_e32 v110, 2, v74
	v_cmp_lt_i32_e32 vcc, v110, v112
	v_cndmask_b32_e32 v110, v74, v110, vcc
	v_lshlrev_b32_e32 v110, 2, v110
	s_waitcnt lgkmcnt(0)
	v_max_f32_e32 v7, v7, v7
	v_max_f32_e32 v6, v6, v7
	ds_bpermute_b32 v7, v110, v6
	v_xor_b32_e32 v110, 1, v74
	v_cmp_lt_i32_e32 vcc, v110, v112
	v_cndmask_b32_e32 v110, v74, v110, vcc
	v_lshlrev_b32_e32 v110, 2, v110
	s_waitcnt lgkmcnt(0)
	v_max_f32_e32 v7, v7, v7
	v_max_f32_e32 v6, v6, v7
	ds_bpermute_b32 v7, v110, v6
	s_waitcnt lgkmcnt(0)
	v_max_f32_e32 v7, v7, v7
	v_max_f32_e32 v6, v6, v7
	v_pk_add_f32 v[40:41], v[40:41], v[6:7] op_sel_hi:[1,0] neg_lo:[0,1] neg_hi:[0,1]
	v_mul_f32_e32 v7, 0x3fb8aa3b, v41
	v_fma_f32 v110, v41, s24, -v7
	v_rndne_f32_e32 v111, v7
	v_fmac_f32_e32 v110, 0x32a5705f, v41
	v_sub_f32_e32 v7, v7, v111
	v_add_f32_e32 v7, v7, v110
	v_exp_f32_e32 v7, v7
	v_cvt_i32_f32_e32 v110, v111
	v_cmp_ngt_f32_e32 vcc, s25, v41
	v_sub_f32_e32 v77, v77, v6
	v_ldexp_f32 v7, v7, v110
	v_mul_f32_e32 v110, 0x3fb8aa3b, v40
	v_fma_f32 v111, v40, s24, -v110
	v_rndne_f32_e32 v112, v110
	v_fmac_f32_e32 v111, 0x32a5705f, v40
	v_sub_f32_e32 v110, v110, v112
	v_add_f32_e32 v110, v110, v111
	v_exp_f32_e32 v110, v110
	v_cvt_i32_f32_e32 v111, v112
	v_cndmask_b32_e32 v7, 0, v7, vcc
	v_cmp_nlt_f32_e32 vcc, s37, v41
	v_cndmask_b32_e32 v41, v75, v7, vcc
	v_ldexp_f32 v7, v110, v111
	v_cmp_ngt_f32_e32 vcc, s25, v40
	v_cndmask_b32_e32 v7, 0, v7, vcc
	v_cmp_nlt_f32_e32 vcc, s37, v40
	v_mul_f32_e32 v40, 0x3fb8aa3b, v77
	v_fma_f32 v110, v77, s24, -v40
	v_rndne_f32_e32 v111, v40
	v_fmac_f32_e32 v110, 0x32a5705f, v77
	v_sub_f32_e32 v40, v40, v111
	v_add_f32_e32 v40, v40, v110
	v_exp_f32_e32 v40, v40
	v_cvt_i32_f32_e32 v110, v111
	v_cndmask_b32_e32 v7, v75, v7, vcc
	v_cvt_f16_f32_e32 v111, v7
	v_add_f32_e32 v7, v7, v41
	v_cvt_f16_f32_e32 v41, v41
	v_ldexp_f32 v40, v40, v110
	v_cmp_ngt_f32_e32 vcc, s25, v77
	v_cndmask_b32_e32 v40, 0, v40, vcc
	v_cmp_nlt_f32_e32 vcc, s37, v77
	v_cndmask_b32_e32 v40, v75, v40, vcc
	v_fmac_f32_e32 v7, v76, v40
	ds_write_b16 v61, v111
	ds_write_b16 v61, v41 offset:64
	s_waitcnt vmcnt(7)
	ds_write_b128 v62, v[78:81]
	s_waitcnt vmcnt(6)
	ds_write_b128 v63, v[82:85]
	;; [unrolled: 2-line block ×8, first 2 shown]
	s_waitcnt lgkmcnt(0)
	s_barrier
	ds_read2_b64 v[76:79], v43 offset1:32
	ds_read_b128 v[80:83], v3
	v_cvt_f16_f32_e32 v40, v40
	ds_read_b128 v[84:87], v3 offset:16
	ds_read_b128 v[88:91], v3 offset:32
	;; [unrolled: 1-line block ×3, first 2 shown]
	ds_read2_b64 v[96:99], v43 offset0:64 offset1:96
	s_waitcnt lgkmcnt(4)
	v_pk_mul_f16 v41, v76, v80 op_sel_hi:[1,0]
	v_pk_fma_f16 v41, v44, v40, v41 op_sel_hi:[1,0,1]
	v_pk_mul_f16 v44, v77, v80 op_sel_hi:[1,0]
	v_pk_fma_f16 v40, v45, v40, v44 op_sel_hi:[1,0,1]
	v_pk_fma_f16 v41, v78, v80, v41 op_sel:[0,1,0]
	v_pk_fma_f16 v40, v79, v80, v40 op_sel:[0,1,0]
	ds_read2_b64 v[76:79], v43 offset0:128 offset1:160
	s_waitcnt lgkmcnt(1)
	v_pk_fma_f16 v41, v96, v81, v41 op_sel_hi:[1,0,1]
	v_pk_fma_f16 v40, v97, v81, v40 op_sel_hi:[1,0,1]
	v_pk_fma_f16 v41, v98, v81, v41 op_sel:[0,1,0]
	v_pk_fma_f16 v40, v99, v81, v40 op_sel:[0,1,0]
	ds_read2_b64 v[96:99], v43 offset0:192 offset1:224
	s_waitcnt lgkmcnt(1)
	v_pk_fma_f16 v41, v76, v82, v41 op_sel_hi:[1,0,1]
	v_pk_fma_f16 v40, v77, v82, v40 op_sel_hi:[1,0,1]
	v_add_u32_e32 v44, 0x800, v43
	v_pk_fma_f16 v41, v78, v82, v41 op_sel:[0,1,0]
	v_pk_fma_f16 v40, v79, v82, v40 op_sel:[0,1,0]
	ds_read2_b64 v[76:79], v44 offset1:32
	s_waitcnt lgkmcnt(1)
	v_pk_fma_f16 v41, v96, v83, v41 op_sel_hi:[1,0,1]
	v_pk_fma_f16 v40, v97, v83, v40 op_sel_hi:[1,0,1]
	v_pk_fma_f16 v41, v98, v83, v41 op_sel:[0,1,0]
	v_pk_fma_f16 v40, v99, v83, v40 op_sel:[0,1,0]
	ds_read2_b64 v[80:83], v44 offset0:64 offset1:96
	s_waitcnt lgkmcnt(1)
	v_pk_fma_f16 v41, v76, v84, v41 op_sel_hi:[1,0,1]
	v_pk_fma_f16 v40, v77, v84, v40 op_sel_hi:[1,0,1]
	v_pk_fma_f16 v41, v78, v84, v41 op_sel:[0,1,0]
	v_pk_fma_f16 v40, v79, v84, v40 op_sel:[0,1,0]
	ds_read2_b64 v[76:79], v44 offset0:128 offset1:160
	s_waitcnt lgkmcnt(1)
	v_pk_fma_f16 v41, v80, v85, v41 op_sel_hi:[1,0,1]
	v_pk_fma_f16 v40, v81, v85, v40 op_sel_hi:[1,0,1]
	v_pk_fma_f16 v41, v82, v85, v41 op_sel:[0,1,0]
	v_pk_fma_f16 v40, v83, v85, v40 op_sel:[0,1,0]
	ds_read2_b64 v[80:83], v44 offset0:192 offset1:224
	s_waitcnt lgkmcnt(1)
	v_pk_fma_f16 v41, v76, v86, v41 op_sel_hi:[1,0,1]
	v_pk_fma_f16 v40, v77, v86, v40 op_sel_hi:[1,0,1]
	v_add_u32_e32 v44, 0x1000, v43
	v_pk_fma_f16 v41, v78, v86, v41 op_sel:[0,1,0]
	v_pk_fma_f16 v40, v79, v86, v40 op_sel:[0,1,0]
	ds_read2_b64 v[76:79], v44 offset1:32
	s_waitcnt lgkmcnt(1)
	v_pk_fma_f16 v41, v80, v87, v41 op_sel_hi:[1,0,1]
	v_pk_fma_f16 v40, v81, v87, v40 op_sel_hi:[1,0,1]
	v_pk_fma_f16 v41, v82, v87, v41 op_sel:[0,1,0]
	v_pk_fma_f16 v40, v83, v87, v40 op_sel:[0,1,0]
	ds_read2_b64 v[80:83], v44 offset0:64 offset1:96
	s_waitcnt lgkmcnt(1)
	v_pk_fma_f16 v41, v76, v88, v41 op_sel_hi:[1,0,1]
	;; [unrolled: 25-line block ×3, first 2 shown]
	v_pk_fma_f16 v40, v77, v92, v40 op_sel_hi:[1,0,1]
	v_pk_fma_f16 v41, v78, v92, v41 op_sel:[0,1,0]
	v_pk_fma_f16 v40, v79, v92, v40 op_sel:[0,1,0]
	ds_read2_b64 v[76:79], v44 offset0:128 offset1:160
	s_waitcnt lgkmcnt(1)
	v_pk_fma_f16 v41, v80, v93, v41 op_sel_hi:[1,0,1]
	v_pk_fma_f16 v40, v81, v93, v40 op_sel_hi:[1,0,1]
	v_pk_fma_f16 v41, v82, v93, v41 op_sel:[0,1,0]
	v_pk_fma_f16 v40, v83, v93, v40 op_sel:[0,1,0]
	ds_read2_b64 v[80:83], v44 offset0:192 offset1:224
	s_waitcnt lgkmcnt(1)
	v_pk_fma_f16 v41, v76, v94, v41 op_sel_hi:[1,0,1]
	v_pk_fma_f16 v40, v77, v94, v40 op_sel_hi:[1,0,1]
	v_add_u32_e32 v44, 0x2000, v43
	v_pk_fma_f16 v41, v78, v94, v41 op_sel:[0,1,0]
	v_pk_fma_f16 v40, v79, v94, v40 op_sel:[0,1,0]
	ds_read2_b64 v[76:79], v44 offset1:32
	ds_read_b128 v[84:87], v3 offset:64
	s_waitcnt lgkmcnt(2)
	v_pk_fma_f16 v41, v80, v95, v41 op_sel_hi:[1,0,1]
	v_pk_fma_f16 v40, v81, v95, v40 op_sel_hi:[1,0,1]
	v_pk_fma_f16 v41, v82, v95, v41 op_sel:[0,1,0]
	v_pk_fma_f16 v40, v83, v95, v40 op_sel:[0,1,0]
	ds_read2_b64 v[80:83], v44 offset0:64 offset1:96
	ds_read_b128 v[88:91], v3 offset:80
	s_waitcnt lgkmcnt(2)
	v_pk_fma_f16 v41, v76, v84, v41 op_sel_hi:[1,0,1]
	v_pk_fma_f16 v40, v77, v84, v40 op_sel_hi:[1,0,1]
	v_pk_fma_f16 v41, v78, v84, v41 op_sel:[0,1,0]
	v_pk_fma_f16 v40, v79, v84, v40 op_sel:[0,1,0]
	ds_read2_b64 v[76:79], v44 offset0:128 offset1:160
	s_waitcnt lgkmcnt(2)
	v_pk_fma_f16 v41, v80, v85, v41 op_sel_hi:[1,0,1]
	v_pk_fma_f16 v40, v81, v85, v40 op_sel_hi:[1,0,1]
	v_pk_fma_f16 v41, v82, v85, v41 op_sel:[0,1,0]
	v_pk_fma_f16 v40, v83, v85, v40 op_sel:[0,1,0]
	ds_read2_b64 v[80:83], v44 offset0:192 offset1:224
	s_waitcnt lgkmcnt(1)
	v_pk_fma_f16 v41, v76, v86, v41 op_sel_hi:[1,0,1]
	v_pk_fma_f16 v40, v77, v86, v40 op_sel_hi:[1,0,1]
	v_add_u32_e32 v44, 0x2800, v43
	v_pk_fma_f16 v41, v78, v86, v41 op_sel:[0,1,0]
	v_pk_fma_f16 v40, v79, v86, v40 op_sel:[0,1,0]
	ds_read2_b64 v[76:79], v44 offset1:32
	s_waitcnt lgkmcnt(1)
	v_pk_fma_f16 v41, v80, v87, v41 op_sel_hi:[1,0,1]
	v_pk_fma_f16 v40, v81, v87, v40 op_sel_hi:[1,0,1]
	v_pk_fma_f16 v41, v82, v87, v41 op_sel:[0,1,0]
	v_pk_fma_f16 v40, v83, v87, v40 op_sel:[0,1,0]
	ds_read2_b64 v[80:83], v44 offset0:64 offset1:96
	s_waitcnt lgkmcnt(1)
	v_pk_fma_f16 v41, v76, v88, v41 op_sel_hi:[1,0,1]
	v_pk_fma_f16 v40, v77, v88, v40 op_sel_hi:[1,0,1]
	v_pk_fma_f16 v41, v78, v88, v41 op_sel:[0,1,0]
	v_pk_fma_f16 v40, v79, v88, v40 op_sel:[0,1,0]
	ds_read2_b64 v[76:79], v44 offset0:128 offset1:160
	;; [unrolled: 6-line block ×3, first 2 shown]
	s_waitcnt lgkmcnt(1)
	v_pk_fma_f16 v41, v76, v90, v41 op_sel_hi:[1,0,1]
	v_pk_fma_f16 v40, v77, v90, v40 op_sel_hi:[1,0,1]
	v_add_u32_e32 v44, 0x3000, v43
	v_pk_fma_f16 v41, v78, v90, v41 op_sel:[0,1,0]
	v_pk_fma_f16 v40, v79, v90, v40 op_sel:[0,1,0]
	ds_read2_b64 v[76:79], v44 offset1:32
	ds_read_b128 v[84:87], v3 offset:96
	s_waitcnt lgkmcnt(2)
	v_pk_fma_f16 v41, v80, v91, v41 op_sel_hi:[1,0,1]
	v_pk_fma_f16 v40, v81, v91, v40 op_sel_hi:[1,0,1]
	v_pk_fma_f16 v41, v82, v91, v41 op_sel:[0,1,0]
	v_pk_fma_f16 v40, v83, v91, v40 op_sel:[0,1,0]
	ds_read2_b64 v[88:91], v44 offset0:64 offset1:96
	s_waitcnt lgkmcnt(1)
	v_pk_fma_f16 v41, v76, v84, v41 op_sel_hi:[1,0,1]
	v_pk_fma_f16 v40, v77, v84, v40 op_sel_hi:[1,0,1]
	v_pk_fma_f16 v41, v78, v84, v41 op_sel:[0,1,0]
	v_pk_fma_f16 v40, v79, v84, v40 op_sel:[0,1,0]
	ds_read2_b64 v[76:79], v44 offset0:128 offset1:160
	;; [unrolled: 6-line block ×3, first 2 shown]
	s_waitcnt lgkmcnt(1)
	v_pk_fma_f16 v41, v76, v86, v41 op_sel_hi:[1,0,1]
	v_pk_fma_f16 v40, v77, v86, v40 op_sel_hi:[1,0,1]
	v_add_u32_e32 v44, 0x3800, v43
	ds_read_b128 v[80:83], v3 offset:112
	v_pk_fma_f16 v41, v78, v86, v41 op_sel:[0,1,0]
	v_pk_fma_f16 v40, v79, v86, v40 op_sel:[0,1,0]
	ds_read2_b64 v[76:79], v44 offset1:32
	s_waitcnt lgkmcnt(2)
	v_pk_fma_f16 v41, v88, v87, v41 op_sel_hi:[1,0,1]
	v_pk_fma_f16 v40, v89, v87, v40 op_sel_hi:[1,0,1]
	v_pk_fma_f16 v41, v90, v87, v41 op_sel:[0,1,0]
	v_pk_fma_f16 v40, v91, v87, v40 op_sel:[0,1,0]
	ds_read2_b64 v[84:87], v44 offset0:64 offset1:96
	s_waitcnt lgkmcnt(1)
	v_pk_fma_f16 v41, v76, v80, v41 op_sel_hi:[1,0,1]
	v_pk_fma_f16 v40, v77, v80, v40 op_sel_hi:[1,0,1]
	v_pk_fma_f16 v41, v78, v80, v41 op_sel:[0,1,0]
	v_pk_fma_f16 v40, v79, v80, v40 op_sel:[0,1,0]
	ds_read2_b64 v[76:79], v44 offset0:128 offset1:160
	;; [unrolled: 6-line block ×3, first 2 shown]
	s_waitcnt lgkmcnt(0)
	s_barrier
	s_load_dword s6, s[12:13], 0x4
	v_pk_fma_f16 v41, v76, v82, v41 op_sel_hi:[1,0,1]
	v_pk_fma_f16 v40, v77, v82, v40 op_sel_hi:[1,0,1]
	v_pk_fma_f16 v41, v78, v82, v41 op_sel:[0,1,0]
	v_pk_fma_f16 v40, v79, v82, v40 op_sel:[0,1,0]
	s_waitcnt lgkmcnt(0)
	s_lshl_b32 s6, s6, 6
	v_pk_fma_f16 v41, v84, v83, v41 op_sel_hi:[1,0,1]
	v_pk_fma_f16 v40, v85, v83, v40 op_sel_hi:[1,0,1]
	s_add_i32 s40, s6, s40
	v_pk_fma_f16 v44, v86, v83, v41 op_sel:[0,1,0]
	s_cmp_lt_i32 s40, s20
	v_pk_fma_f16 v45, v87, v83, v40 op_sel:[0,1,0]
	s_cbranch_scc0 .LBB90_24
; %bb.21:                               ;   in Loop: Header=BB90_8 Depth=1
	v_mov_b32_e32 v77, v6
	v_mov_b32_e32 v76, v7
	s_branch .LBB90_8
.LBB90_22:                              ;   in Loop: Header=BB90_8 Depth=1
	v_mov_b32_e32 v6, 0
	v_cmp_nlt_f32_e64 s[16:17], |v79|, s23
                                        ; implicit-def: $vgpr81
	s_and_saveexec_b64 s[42:43], s[16:17]
	s_xor_b64 s[16:17], exec, s[42:43]
	s_cbranch_execz .LBB90_15
	s_branch .LBB90_14
.LBB90_23:
	v_mov_b32_e32 v44, 0
.LBB90_24:
	s_cmp_gt_i32 s14, s40
	s_cbranch_scc1 .LBB90_26
; %bb.25:
	v_mbcnt_hi_u32_b32 v16, -1, v49
	v_and_b32_e32 v2, 0x60, v16
	v_add_u32_e32 v17, 32, v2
	v_xor_b32_e32 v18, 16, v16
	v_xor_b32_e32 v19, 8, v16
	;; [unrolled: 1-line block ×5, first 2 shown]
	v_pk_mov_b32 v[8:9], v[6:7], v[6:7] op_sel:[0,1]
	s_cbranch_execz .LBB90_27
	s_branch .LBB90_46
.LBB90_26:
                                        ; implicit-def: $vgpr16
                                        ; implicit-def: $vgpr17
                                        ; implicit-def: $vgpr18
                                        ; implicit-def: $vgpr19
                                        ; implicit-def: $vgpr20
                                        ; implicit-def: $vgpr21
                                        ; implicit-def: $vgpr22
                                        ; implicit-def: $vgpr8_vgpr9
.LBB90_27:
	s_mul_hi_i32 s7, s40, s15
	s_mul_i32 s6, s40, s15
	v_lshl_add_u32 v2, v46, 1, v1
	s_sub_i32 s41, s14, s40
	s_lshl_b64 s[6:7], s[6:7], 2
	v_mul_lo_u32 v14, s15, v2
	s_add_u32 s20, s18, s6
	v_ashrrev_i32_e32 v15, 31, v14
	s_addc_u32 s21, s19, s7
	v_lshlrev_b64 v[10:11], 2, v[14:15]
	v_lshlrev_b32_e32 v9, 2, v0
	v_mov_b32_e32 v0, s21
	v_add_co_u32_e32 v3, vcc, s20, v10
	v_addc_co_u32_e32 v0, vcc, v0, v11, vcc
	s_mov_b64 s[6:7], src_private_base
	v_add_co_u32_e32 v3, vcc, v3, v9
	v_addc_co_u32_e32 v0, vcc, 0, v0, vcc
	v_mov_b32_e32 v8, s7
	v_cmp_gt_i32_e64 s[6:7], s41, v2
	v_mov_b32_e32 v1, 0
	v_cndmask_b32_e64 v11, v8, v0, s[6:7]
	v_mov_b32_e32 v0, 0
	buffer_store_dword v1, off, s[0:3], 0
	buffer_store_dword v1, off, s[0:3], 0 offset:8
	buffer_store_dword v1, off, s[0:3], 0 offset:4
	;; [unrolled: 1-line block ×3, first 2 shown]
	v_cndmask_b32_e64 v10, v0, v3, s[6:7]
	flat_load_dwordx4 v[10:13], v[10:11]
	s_lshl_b32 s22, s15, 3
	v_add_u32_e32 v16, s22, v14
	v_ashrrev_i32_e32 v17, 31, v16
	v_lshlrev_b64 v[14:15], 2, v[16:17]
	v_mov_b32_e32 v18, s21
	v_add_co_u32_e32 v14, vcc, s20, v14
	v_addc_co_u32_e32 v15, vcc, v18, v15, vcc
	s_movk_i32 s10, 0x110
	v_add_u32_e32 v3, 8, v2
	v_add_co_u32_e32 v14, vcc, v14, v9
	v_mad_u32_u24 v24, v2, s10, v9
	v_addc_co_u32_e32 v15, vcc, 0, v15, vcc
	v_cmp_gt_i32_e64 s[10:11], s41, v3
	buffer_store_dword v1, off, s[0:3], 0
	buffer_store_dword v1, off, s[0:3], 0 offset:8
	buffer_store_dword v1, off, s[0:3], 0 offset:4
	;; [unrolled: 1-line block ×3, first 2 shown]
	v_cndmask_b32_e64 v15, v8, v15, s[10:11]
	v_cndmask_b32_e64 v14, v0, v14, s[10:11]
	v_add_u32_e32 v16, s22, v16
	v_ashrrev_i32_e32 v17, 31, v16
	v_lshlrev_b64 v[18:19], 2, v[16:17]
	v_add_co_u32_e32 v17, vcc, s20, v18
	v_mov_b32_e32 v20, s21
	v_mov_b32_e32 v22, s21
	s_waitcnt vmcnt(0) lgkmcnt(0)
	ds_write_b128 v24, v[10:13]
	flat_load_dwordx4 v[12:15], v[14:15]
	v_mov_b32_e32 v11, s21
	v_addc_co_u32_e32 v11, vcc, v11, v19, vcc
	v_add_u32_e32 v10, 16, v2
	v_add_co_u32_e32 v17, vcc, v17, v9
	v_addc_co_u32_e32 v11, vcc, 0, v11, vcc
	v_cmp_gt_i32_e64 s[24:25], s41, v10
	v_cndmask_b32_e64 v19, v8, v11, s[24:25]
	v_cndmask_b32_e64 v18, v0, v17, s[24:25]
	buffer_store_dword v1, off, s[0:3], 0
	buffer_store_dword v1, off, s[0:3], 0 offset:8
	buffer_store_dword v1, off, s[0:3], 0 offset:4
	buffer_store_dword v1, off, s[0:3], 0 offset:12
	v_add_u32_e32 v11, 24, v2
	v_cmp_gt_i32_e64 s[12:13], s41, v11
	s_waitcnt vmcnt(0) lgkmcnt(0)
	ds_write_b128 v24, v[12:15] offset:2176
	flat_load_dwordx4 v[12:15], v[18:19]
	v_add_u32_e32 v18, s22, v16
	v_ashrrev_i32_e32 v19, 31, v18
	v_lshlrev_b64 v[16:17], 2, v[18:19]
	v_add_co_u32_e32 v16, vcc, s20, v16
	v_addc_co_u32_e32 v17, vcc, v20, v17, vcc
	v_add_co_u32_e32 v16, vcc, v16, v9
	v_addc_co_u32_e32 v17, vcc, 0, v17, vcc
	v_cndmask_b32_e64 v17, v8, v17, s[12:13]
	v_cndmask_b32_e64 v16, v0, v16, s[12:13]
	buffer_store_dword v1, off, s[0:3], 0
	buffer_store_dword v1, off, s[0:3], 0 offset:8
	buffer_store_dword v1, off, s[0:3], 0 offset:4
	;; [unrolled: 1-line block ×3, first 2 shown]
	v_add_u32_e32 v18, s22, v18
	v_ashrrev_i32_e32 v19, 31, v18
	v_lshlrev_b64 v[20:21], 2, v[18:19]
	v_add_co_u32_e32 v19, vcc, s20, v20
	s_waitcnt vmcnt(0) lgkmcnt(0)
	ds_write_b128 v24, v[12:15] offset:4352
	flat_load_dwordx4 v[14:17], v[16:17]
	v_mov_b32_e32 v13, s21
	v_addc_co_u32_e32 v13, vcc, v13, v21, vcc
	v_add_u32_e32 v12, 32, v2
	v_add_co_u32_e32 v19, vcc, v19, v9
	v_addc_co_u32_e32 v13, vcc, 0, v13, vcc
	v_cmp_gt_i32_e64 s[14:15], s41, v12
	v_cndmask_b32_e64 v21, v8, v13, s[14:15]
	v_cndmask_b32_e64 v20, v0, v19, s[14:15]
	buffer_store_dword v1, off, s[0:3], 0
	buffer_store_dword v1, off, s[0:3], 0 offset:8
	buffer_store_dword v1, off, s[0:3], 0 offset:4
	;; [unrolled: 1-line block ×3, first 2 shown]
	v_add_u32_e32 v13, 40, v2
	v_cmp_gt_i32_e64 s[16:17], s41, v13
	s_waitcnt vmcnt(0) lgkmcnt(0)
	ds_write_b128 v24, v[14:17] offset:6528
	flat_load_dwordx4 v[14:17], v[20:21]
	v_add_u32_e32 v20, s22, v18
	v_ashrrev_i32_e32 v21, 31, v20
	v_lshlrev_b64 v[18:19], 2, v[20:21]
	v_add_co_u32_e32 v18, vcc, s20, v18
	v_addc_co_u32_e32 v19, vcc, v22, v19, vcc
	v_add_co_u32_e32 v18, vcc, v18, v9
	v_addc_co_u32_e32 v19, vcc, 0, v19, vcc
	v_cndmask_b32_e64 v19, v8, v19, s[16:17]
	v_cndmask_b32_e64 v18, v0, v18, s[16:17]
	buffer_store_dword v1, off, s[0:3], 0
	buffer_store_dword v1, off, s[0:3], 0 offset:8
	buffer_store_dword v1, off, s[0:3], 0 offset:4
	;; [unrolled: 1-line block ×3, first 2 shown]
	v_add_u32_e32 v20, s22, v20
	v_ashrrev_i32_e32 v21, 31, v20
	v_lshlrev_b64 v[22:23], 2, v[20:21]
	v_add_co_u32_e32 v21, vcc, s20, v22
	v_add_u32_e32 v20, s22, v20
	s_mov_b32 s22, 0x3f200000
	s_waitcnt vmcnt(0) lgkmcnt(0)
	ds_write_b128 v24, v[14:17] offset:8704
	flat_load_dwordx4 v[16:19], v[18:19]
	v_mov_b32_e32 v15, s21
	v_addc_co_u32_e32 v15, vcc, v15, v23, vcc
	v_add_u32_e32 v14, 48, v2
	v_add_co_u32_e32 v21, vcc, v21, v9
	v_addc_co_u32_e32 v15, vcc, 0, v15, vcc
	v_cmp_gt_i32_e64 s[18:19], s41, v14
	v_cndmask_b32_e64 v23, v8, v15, s[18:19]
	v_cndmask_b32_e64 v22, v0, v21, s[18:19]
	buffer_store_dword v1, off, s[0:3], 0
	buffer_store_dword v1, off, s[0:3], 0 offset:8
	buffer_store_dword v1, off, s[0:3], 0 offset:4
	;; [unrolled: 1-line block ×3, first 2 shown]
	v_ashrrev_i32_e32 v21, 31, v20
	v_lshlrev_b64 v[20:21], 2, v[20:21]
	v_add_co_u32_e32 v20, vcc, s20, v20
	v_add_u32_e32 v15, 56, v2
	s_waitcnt vmcnt(0) lgkmcnt(0)
	ds_write_b128 v24, v[16:19] offset:10880
	flat_load_dwordx4 v[16:19], v[22:23]
	v_mov_b32_e32 v22, s21
	v_addc_co_u32_e32 v21, vcc, v22, v21, vcc
	v_add_co_u32_e32 v20, vcc, v20, v9
	v_addc_co_u32_e32 v21, vcc, 0, v21, vcc
	v_cmp_gt_i32_e64 s[20:21], s41, v15
	v_cndmask_b32_e64 v21, v8, v21, s[20:21]
	v_cndmask_b32_e64 v20, v0, v20, s[20:21]
	buffer_store_dword v1, off, s[0:3], 0
	buffer_store_dword v1, off, s[0:3], 0 offset:8
	buffer_store_dword v1, off, s[0:3], 0 offset:4
	;; [unrolled: 1-line block ×3, first 2 shown]
	v_mul_u32_u24_e32 v8, 0x110, v4
	v_mov_b32_e32 v0, 0
	s_waitcnt vmcnt(0) lgkmcnt(0)
	ds_write_b128 v24, v[16:19] offset:13056
	flat_load_dwordx4 v[18:21], v[20:21]
	v_lshlrev_b32_e32 v16, 8, v46
	s_waitcnt vmcnt(0) lgkmcnt(0)
	ds_write_b128 v24, v[18:21] offset:15232
	s_waitcnt lgkmcnt(0)
	s_barrier
	ds_read_b128 v[18:21], v8
	ds_read_b128 v[22:25], v16 offset:17408
	ds_read_b128 v[26:29], v8 offset:8704
	s_waitcnt lgkmcnt(1)
	;;#ASMSTART
	v_dot2_f32_f16 v0, v18, v22, v0
	;;#ASMEND
	;;#ASMSTART
	v_dot2_f32_f16 v0, v19, v23, v0
	;;#ASMEND
	;;#ASMSTART
	v_dot2_f32_f16 v0, v20, v24, v0
	;;#ASMEND
	;;#ASMSTART
	v_dot2_f32_f16 v0, v21, v25, v0
	;;#ASMEND
	s_waitcnt lgkmcnt(0)
	;;#ASMSTART
	v_dot2_f32_f16 v1, v26, v22, v1
	;;#ASMEND
	;;#ASMSTART
	v_dot2_f32_f16 v1, v27, v23, v1
	;;#ASMEND
	;;#ASMSTART
	v_dot2_f32_f16 v1, v28, v24, v1
	;;#ASMEND
	;;#ASMSTART
	v_dot2_f32_f16 v1, v29, v25, v1
	;;#ASMEND
	ds_read_b128 v[18:21], v8 offset:16
	ds_read_b128 v[22:25], v16 offset:17424
	ds_read_b128 v[26:29], v8 offset:8720
	s_waitcnt lgkmcnt(1)
	;;#ASMSTART
	v_dot2_f32_f16 v0, v18, v22, v0
	;;#ASMEND
	;;#ASMSTART
	v_dot2_f32_f16 v0, v19, v23, v0
	;;#ASMEND
	;;#ASMSTART
	v_dot2_f32_f16 v0, v20, v24, v0
	;;#ASMEND
	;;#ASMSTART
	v_dot2_f32_f16 v0, v21, v25, v0
	;;#ASMEND
	s_waitcnt lgkmcnt(0)
	;;#ASMSTART
	v_dot2_f32_f16 v1, v26, v22, v1
	;;#ASMEND
	;;#ASMSTART
	v_dot2_f32_f16 v1, v27, v23, v1
	;;#ASMEND
	;;#ASMSTART
	v_dot2_f32_f16 v1, v28, v24, v1
	;;#ASMEND
	;;#ASMSTART
	v_dot2_f32_f16 v1, v29, v25, v1
	;;#ASMEND
	ds_read_b128 v[18:21], v8 offset:32
	;; [unrolled: 29-line block ×15, first 2 shown]
	ds_read_b128 v[22:25], v16 offset:17648
	ds_read_b128 v[26:29], v8 offset:8944
	s_waitcnt lgkmcnt(1)
	;;#ASMSTART
	v_dot2_f32_f16 v0, v18, v22, v0
	;;#ASMEND
	;;#ASMSTART
	v_dot2_f32_f16 v0, v19, v23, v0
	;;#ASMEND
	;; [unrolled: 3-line block ×4, first 2 shown]
	s_waitcnt lgkmcnt(0)
	;;#ASMSTART
	v_dot2_f32_f16 v1, v26, v22, v1
	;;#ASMEND
	;;#ASMSTART
	v_dot2_f32_f16 v1, v27, v23, v1
	;;#ASMEND
	;; [unrolled: 3-line block ×3, first 2 shown]
	v_cmp_nlt_f32_e64 s[22:23], |v0|, s22
	;;#ASMSTART
	v_dot2_f32_f16 v1, v29, v25, v1
	;;#ASMEND
                                        ; implicit-def: $vgpr8
	s_and_saveexec_b64 s[42:43], s[22:23]
	s_xor_b64 s[22:23], exec, s[42:43]
	s_cbranch_execz .LBB90_29
; %bb.28:
	v_add_f32_e64 v8, |v0|, |v0|
	v_mul_f32_e32 v16, 0x3fb8aa3b, v8
	s_mov_b32 s34, 0x3fb8aa3b
	v_rndne_f32_e32 v17, v16
	v_sub_f32_e32 v18, v16, v17
	v_fma_f32 v16, v8, s34, -v16
	v_fmac_f32_e32 v16, 0x32a5705f, v8
	v_add_f32_e32 v16, v18, v16
	v_exp_f32_e32 v16, v16
	v_cvt_i32_f32_e32 v17, v17
	s_mov_b32 s34, 0xc2ce8ed0
	v_cmp_ngt_f32_e32 vcc, s34, v8
	s_mov_b32 s34, 0x42b17218
	v_ldexp_f32 v16, v16, v17
	v_cndmask_b32_e32 v16, 0, v16, vcc
	v_mov_b32_e32 v17, 0x7f800000
	v_cmp_nlt_f32_e32 vcc, s34, v8
	v_cndmask_b32_e32 v8, v17, v16, vcc
	v_add_f32_e32 v8, 1.0, v8
	v_rcp_f32_e32 v8, v8
	v_fma_f32 v8, v8, -2.0, 1.0
.LBB90_29:
	s_andn2_saveexec_b64 s[22:23], s[22:23]
; %bb.30:
	v_mul_f32_e32 v8, v0, v0
	v_mov_b32_e32 v16, 0x3ca908c9
	v_fmac_f32_e32 v16, 0xbbbac73d, v8
	v_mov_b32_e32 v17, 0xbd5c1c4e
	v_fmac_f32_e32 v17, v8, v16
	;; [unrolled: 2-line block ×4, first 2 shown]
	v_mul_f32_e64 v16, |v0|, v17
	v_fma_f32 v8, v8, v16, |v0|
; %bb.31:
	s_or_b64 exec, exec, s[22:23]
	s_cmp_lg_u64 s[30:31], 0
	s_brev_b32 s22, -2
	v_bfi_b32 v0, s22, v8, v0
	s_cselect_b64 s[22:23], -1, 0
	v_mul_lo_u32 v16, v50, s36
	v_cndmask_b32_e64 v8, 0, 1, s[22:23]
	v_add_u32_e32 v16, s40, v16
	v_mul_f32_e32 v0, s35, v0
	v_cmp_gt_i32_e32 vcc, s41, v4
	v_cmp_ne_u32_e64 s[22:23], 1, v8
	v_mov_b32_e32 v8, v6
	s_and_saveexec_b64 s[36:37], vcc
	s_cbranch_execz .LBB90_36
; %bb.32:
	s_and_b64 vcc, exec, s[22:23]
	s_cbranch_vccnz .LBB90_34
; %bb.33:
	v_add_u32_e32 v18, v16, v4
	v_ashrrev_i32_e32 v19, 31, v18
	v_lshlrev_b64 v[18:19], 1, v[18:19]
	v_mov_b32_e32 v8, s31
	v_add_co_u32_e32 v18, vcc, s30, v18
	v_addc_co_u32_e32 v19, vcc, v8, v19, vcc
	flat_load_ushort v8, v[18:19]
	s_waitcnt vmcnt(0) lgkmcnt(0)
	v_cvt_f32_f16_e32 v8, v8
	v_mul_f32_e32 v8, v48, v8
	s_branch .LBB90_35
.LBB90_34:
	v_mov_b32_e32 v8, 0
.LBB90_35:
	v_add_f32_e32 v0, v0, v8
	v_add_f32_e32 v8, 0x40051340, v0
	v_max_f32_e32 v17, v6, v6
	v_max_f32_e32 v8, v17, v8
.LBB90_36:
	s_or_b64 exec, exec, s[36:37]
	s_mov_b32 s34, 0x3f200000
	v_cmp_nlt_f32_e64 s[36:37], |v1|, s34
                                        ; implicit-def: $vgpr17
	s_and_saveexec_b64 s[42:43], s[36:37]
	s_xor_b64 s[36:37], exec, s[42:43]
	s_cbranch_execz .LBB90_38
; %bb.37:
	v_add_f32_e64 v17, |v1|, |v1|
	v_mul_f32_e32 v18, 0x3fb8aa3b, v17
	s_mov_b32 s34, 0x3fb8aa3b
	v_rndne_f32_e32 v19, v18
	v_sub_f32_e32 v20, v18, v19
	v_fma_f32 v18, v17, s34, -v18
	v_fmac_f32_e32 v18, 0x32a5705f, v17
	v_add_f32_e32 v18, v20, v18
	v_exp_f32_e32 v18, v18
	v_cvt_i32_f32_e32 v19, v19
	s_mov_b32 s34, 0xc2ce8ed0
	v_cmp_ngt_f32_e32 vcc, s34, v17
	s_mov_b32 s34, 0x42b17218
	v_ldexp_f32 v18, v18, v19
	v_cndmask_b32_e32 v18, 0, v18, vcc
	v_mov_b32_e32 v19, 0x7f800000
	v_cmp_nlt_f32_e32 vcc, s34, v17
	v_cndmask_b32_e32 v17, v19, v18, vcc
	v_add_f32_e32 v17, 1.0, v17
	v_rcp_f32_e32 v17, v17
	v_fma_f32 v17, v17, -2.0, 1.0
.LBB90_38:
	s_andn2_saveexec_b64 s[36:37], s[36:37]
; %bb.39:
	v_mul_f32_e32 v17, v1, v1
	v_mov_b32_e32 v18, 0x3ca908c9
	v_fmac_f32_e32 v18, 0xbbbac73d, v17
	v_mov_b32_e32 v19, 0xbd5c1c4e
	v_fmac_f32_e32 v19, v17, v18
	;; [unrolled: 2-line block ×4, first 2 shown]
	v_mul_f32_e64 v18, |v1|, v19
	v_fma_f32 v17, v17, v18, |v1|
; %bb.40:
	s_or_b64 exec, exec, s[36:37]
	s_brev_b32 s34, -2
	v_add_u32_e32 v23, 32, v4
	v_bfi_b32 v1, s34, v17, v1
	v_mul_f32_e32 v1, s35, v1
	v_cmp_gt_i32_e32 vcc, s41, v23
	s_and_saveexec_b64 s[34:35], vcc
	s_cbranch_execz .LBB90_45
; %bb.41:
	s_and_b64 vcc, exec, s[22:23]
	s_cbranch_vccnz .LBB90_43
; %bb.42:
	v_ashrrev_i32_e32 v17, 31, v16
	v_add_co_u32_e32 v16, vcc, v16, v4
	v_addc_co_u32_e32 v17, vcc, 0, v17, vcc
	v_lshlrev_b64 v[16:17], 1, v[16:17]
	v_mov_b32_e32 v18, s31
	v_add_co_u32_e32 v16, vcc, s30, v16
	v_addc_co_u32_e32 v17, vcc, v18, v17, vcc
	flat_load_ushort v16, v[16:17] offset:64
	s_waitcnt vmcnt(0) lgkmcnt(0)
	v_cvt_f32_f16_e32 v16, v16
	v_mul_f32_e32 v16, v48, v16
	s_branch .LBB90_44
.LBB90_43:
	v_mov_b32_e32 v16, 0
.LBB90_44:
	v_add_f32_e32 v1, v1, v16
	v_add_f32_e32 v16, 0x40051340, v1
	v_max_f32_e32 v8, v8, v8
	v_max_f32_e32 v8, v8, v16
.LBB90_45:
	s_or_b64 exec, exec, s[34:35]
	v_mbcnt_hi_u32_b32 v16, -1, v49
	v_and_b32_e32 v17, 0x60, v16
	v_add_u32_e32 v17, 32, v17
	v_xor_b32_e32 v18, 16, v16
	v_cmp_lt_i32_e32 vcc, v18, v17
	v_cndmask_b32_e32 v19, v16, v18, vcc
	v_lshlrev_b32_e32 v19, 2, v19
	ds_bpermute_b32 v20, v19, v8
	v_xor_b32_e32 v19, 8, v16
	v_max_f32_e32 v8, v8, v8
	v_cmp_lt_i32_e32 vcc, v19, v17
	s_mov_b32 s30, 0x3fb8aa3b
	s_waitcnt lgkmcnt(0)
	v_max_f32_e32 v20, v20, v20
	v_max_f32_e32 v8, v8, v20
	v_cndmask_b32_e32 v20, v16, v19, vcc
	v_lshlrev_b32_e32 v20, 2, v20
	ds_bpermute_b32 v21, v20, v8
	v_xor_b32_e32 v20, 4, v16
	v_cmp_lt_i32_e32 vcc, v20, v17
	s_mov_b32 s22, 0xc2ce8ed0
	s_mov_b32 s23, 0x42b17218
	s_waitcnt lgkmcnt(0)
	v_max_f32_e32 v21, v21, v21
	v_max_f32_e32 v8, v8, v21
	v_cndmask_b32_e32 v21, v16, v20, vcc
	v_lshlrev_b32_e32 v21, 2, v21
	ds_bpermute_b32 v22, v21, v8
	v_xor_b32_e32 v21, 2, v16
	v_cmp_lt_i32_e32 vcc, v21, v17
	s_movk_i32 s31, 0x4800
	s_mul_hi_i32 s35, s40, s8
	s_waitcnt lgkmcnt(0)
	v_max_f32_e32 v22, v22, v22
	v_max_f32_e32 v8, v8, v22
	v_cndmask_b32_e32 v22, v16, v21, vcc
	v_lshlrev_b32_e32 v22, 2, v22
	ds_bpermute_b32 v24, v22, v8
	v_xor_b32_e32 v22, 1, v16
	v_cmp_lt_i32_e32 vcc, v22, v17
	s_mul_i32 s34, s40, s8
	s_waitcnt lgkmcnt(0)
	v_max_f32_e32 v24, v24, v24
	v_max_f32_e32 v8, v8, v24
	v_cndmask_b32_e32 v24, v16, v22, vcc
	v_lshlrev_b32_e32 v24, 2, v24
	ds_bpermute_b32 v24, v24, v8
	s_barrier
	s_waitcnt lgkmcnt(0)
	s_lshl_b64 s[34:35], s[34:35], 2
	s_mov_b64 s[36:37], src_private_base
	v_max_f32_e32 v24, v24, v24
	v_max_f32_e32 v8, v8, v24
	v_pk_add_f32 v[0:1], v[0:1], v[8:9] op_sel_hi:[1,0] neg_lo:[0,1] neg_hi:[0,1]
	v_mul_f32_e32 v24, 0x3fb8aa3b, v0
	v_fma_f32 v25, v0, s30, -v24
	v_rndne_f32_e32 v26, v24
	v_fmac_f32_e32 v25, 0x32a5705f, v0
	v_sub_f32_e32 v24, v24, v26
	v_add_f32_e32 v24, v24, v25
	v_exp_f32_e32 v24, v24
	v_cvt_i32_f32_e32 v25, v26
	v_cmp_ngt_f32_e32 vcc, s22, v0
	v_mov_b32_e32 v27, 0
	v_mov_b32_e32 v34, s37
	v_ldexp_f32 v24, v24, v25
	v_cndmask_b32_e32 v25, 0, v24, vcc
	v_mul_f32_e32 v24, 0x3fb8aa3b, v1
	v_fma_f32 v26, v1, s30, -v24
	v_rndne_f32_e32 v28, v24
	v_fmac_f32_e32 v26, 0x32a5705f, v1
	v_sub_f32_e32 v24, v24, v28
	v_add_f32_e32 v24, v24, v26
	v_exp_f32_e32 v26, v24
	v_cvt_i32_f32_e32 v28, v28
	v_mov_b32_e32 v24, 0x7f800000
	v_cmp_nlt_f32_e32 vcc, s23, v0
	v_cndmask_b32_e32 v0, v24, v25, vcc
	v_ldexp_f32 v25, v26, v28
	v_cmp_ngt_f32_e32 vcc, s22, v1
	v_cndmask_b32_e32 v25, 0, v25, vcc
	v_cmp_nlt_f32_e32 vcc, s23, v1
	v_cndmask_b32_e32 v1, v24, v25, vcc
	v_cmp_gt_u32_e32 vcc, s41, v23
	v_cndmask_b32_e32 v25, 0, v1, vcc
	v_cmp_gt_u32_e32 vcc, s41, v4
	v_cndmask_b32_e32 v26, 0, v0, vcc
	v_cvt_f16_f32_e32 v0, v26
	v_cvt_f16_f32_e32 v1, v25
	v_lshlrev_b32_e32 v23, 7, v46
	v_add3_u32 v28, v23, s31, v47
	ds_write_b16 v28, v0
	ds_write_b16 v28, v1 offset:64
	v_mul_lo_u32 v0, s8, v2
	s_add_u32 s31, s38, s34
	v_ashrrev_i32_e32 v1, 31, v0
	s_addc_u32 s34, s39, s35
	v_lshlrev_b64 v[28:29], 2, v[0:1]
	v_mov_b32_e32 v1, s34
	v_add_co_u32_e32 v28, vcc, s31, v28
	v_addc_co_u32_e32 v1, vcc, v1, v29, vcc
	v_add_co_u32_e32 v28, vcc, v28, v9
	v_addc_co_u32_e32 v1, vcc, 0, v1, vcc
	v_mov_b32_e32 v35, 0
	buffer_store_dword v27, off, s[0:3], 0
	buffer_store_dword v27, off, s[0:3], 0 offset:8
	buffer_store_dword v27, off, s[0:3], 0 offset:4
	;; [unrolled: 1-line block ×3, first 2 shown]
	v_cndmask_b32_e64 v29, v34, v1, s[6:7]
	v_cndmask_b32_e64 v28, v35, v28, s[6:7]
	flat_load_dwordx4 v[28:31], v[28:29]
	s_lshl_b32 s6, s8, 3
	v_add_u32_e32 v0, s6, v0
	v_ashrrev_i32_e32 v1, 31, v0
	v_lshlrev_b64 v[32:33], 2, v[0:1]
	v_mov_b32_e32 v36, s34
	v_add_co_u32_e32 v1, vcc, s31, v32
	v_addc_co_u32_e32 v32, vcc, v36, v33, vcc
	v_add_co_u32_e32 v1, vcc, v1, v9
	v_lshl_or_b32 v2, v2, 8, v9
	v_addc_co_u32_e32 v32, vcc, 0, v32, vcc
	v_cndmask_b32_e64 v33, v34, v32, s[10:11]
	v_cndmask_b32_e64 v32, v35, v1, s[10:11]
	buffer_store_dword v27, off, s[0:3], 0
	buffer_store_dword v27, off, s[0:3], 0 offset:8
	buffer_store_dword v27, off, s[0:3], 0 offset:4
	;; [unrolled: 1-line block ×3, first 2 shown]
	v_lshl_or_b32 v10, v10, 8, v9
	v_lshl_or_b32 v12, v12, 8, v9
	v_add_u32_e32 v138, 0x2800, v43
	v_add_u32_e32 v154, 0x3000, v43
	;; [unrolled: 1-line block ×3, first 2 shown]
	v_add_f32_e32 v183, v26, v25
	v_add_u32_e32 v40, 0x1800, v43
	v_add_u32_e32 v41, 0x2000, v43
	s_waitcnt vmcnt(0) lgkmcnt(0)
	ds_write_b128 v2, v[28:31]
	flat_load_dwordx4 v[28:31], v[32:33]
	v_add_u32_e32 v32, s6, v0
	v_ashrrev_i32_e32 v33, 31, v32
	v_lshlrev_b64 v[0:1], 2, v[32:33]
	v_lshl_or_b32 v2, v3, 8, v9
	v_mov_b32_e32 v3, s34
	v_add_co_u32_e32 v0, vcc, s31, v0
	v_addc_co_u32_e32 v1, vcc, v3, v1, vcc
	v_add_co_u32_e32 v0, vcc, v0, v9
	v_addc_co_u32_e32 v1, vcc, 0, v1, vcc
	v_cndmask_b32_e64 v1, v34, v1, s[24:25]
	v_cndmask_b32_e64 v0, v35, v0, s[24:25]
	buffer_store_dword v27, off, s[0:3], 0
	buffer_store_dword v27, off, s[0:3], 0 offset:8
	buffer_store_dword v27, off, s[0:3], 0 offset:4
	;; [unrolled: 1-line block ×3, first 2 shown]
	v_mov_b32_e32 v33, s34
	s_waitcnt vmcnt(0) lgkmcnt(0)
	ds_write_b128 v2, v[28:31]
	flat_load_dwordx4 v[0:3], v[0:1]
	v_add_u32_e32 v28, s6, v32
	v_ashrrev_i32_e32 v29, 31, v28
	v_lshlrev_b64 v[30:31], 2, v[28:29]
	v_add_co_u32_e32 v29, vcc, s31, v30
	v_addc_co_u32_e32 v30, vcc, v33, v31, vcc
	v_add_co_u32_e32 v29, vcc, v29, v9
	v_addc_co_u32_e32 v30, vcc, 0, v30, vcc
	v_cndmask_b32_e64 v31, v34, v30, s[12:13]
	v_cndmask_b32_e64 v30, v35, v29, s[12:13]
	buffer_store_dword v27, off, s[0:3], 0
	buffer_store_dword v27, off, s[0:3], 0 offset:8
	buffer_store_dword v27, off, s[0:3], 0 offset:4
	;; [unrolled: 1-line block ×3, first 2 shown]
	s_waitcnt vmcnt(0) lgkmcnt(0)
	ds_write_b128 v10, v[0:3]
	flat_load_dwordx4 v[0:3], v[30:31]
	v_add_u32_e32 v10, s6, v28
	v_lshl_or_b32 v30, v11, 8, v9
	v_ashrrev_i32_e32 v11, 31, v10
	v_lshlrev_b64 v[28:29], 2, v[10:11]
	v_mov_b32_e32 v31, s34
	v_add_co_u32_e32 v11, vcc, s31, v28
	v_addc_co_u32_e32 v28, vcc, v31, v29, vcc
	v_add_co_u32_e32 v11, vcc, v11, v9
	v_addc_co_u32_e32 v28, vcc, 0, v28, vcc
	v_cndmask_b32_e64 v29, v34, v28, s[14:15]
	v_cndmask_b32_e64 v28, v35, v11, s[14:15]
	buffer_store_dword v27, off, s[0:3], 0
	buffer_store_dword v27, off, s[0:3], 0 offset:8
	buffer_store_dword v27, off, s[0:3], 0 offset:4
	buffer_store_dword v27, off, s[0:3], 0 offset:12
	v_add_u32_e32 v10, s6, v10
	v_ashrrev_i32_e32 v11, 31, v10
	s_waitcnt vmcnt(0) lgkmcnt(0)
	ds_write_b128 v30, v[0:3]
	flat_load_dwordx4 v[0:3], v[28:29]
	v_lshlrev_b64 v[28:29], 2, v[10:11]
	v_mov_b32_e32 v30, s34
	v_add_co_u32_e32 v11, vcc, s31, v28
	v_addc_co_u32_e32 v28, vcc, v30, v29, vcc
	v_add_co_u32_e32 v11, vcc, v11, v9
	v_addc_co_u32_e32 v28, vcc, 0, v28, vcc
	v_cndmask_b32_e64 v29, v34, v28, s[16:17]
	v_cndmask_b32_e64 v28, v35, v11, s[16:17]
	buffer_store_dword v27, off, s[0:3], 0
	buffer_store_dword v27, off, s[0:3], 0 offset:8
	buffer_store_dword v27, off, s[0:3], 0 offset:4
	buffer_store_dword v27, off, s[0:3], 0 offset:12
	v_add_u32_e32 v10, s6, v10
	v_ashrrev_i32_e32 v11, 31, v10
	s_waitcnt vmcnt(0) lgkmcnt(0)
	ds_write_b128 v12, v[0:3]
	flat_load_dwordx4 v[0:3], v[28:29]
	v_lshl_or_b32 v28, v13, 8, v9
	v_lshlrev_b64 v[12:13], 2, v[10:11]
	v_mov_b32_e32 v29, s34
	v_add_co_u32_e32 v11, vcc, s31, v12
	v_addc_co_u32_e32 v12, vcc, v29, v13, vcc
	v_add_co_u32_e32 v11, vcc, v11, v9
	v_addc_co_u32_e32 v12, vcc, 0, v12, vcc
	v_cndmask_b32_e64 v13, v34, v12, s[18:19]
	v_cndmask_b32_e64 v12, v35, v11, s[18:19]
	buffer_store_dword v27, off, s[0:3], 0
	buffer_store_dword v27, off, s[0:3], 0 offset:8
	buffer_store_dword v27, off, s[0:3], 0 offset:4
	;; [unrolled: 1-line block ×3, first 2 shown]
	v_add_u32_e32 v10, s6, v10
	v_ashrrev_i32_e32 v11, 31, v10
	v_lshlrev_b64 v[10:11], 2, v[10:11]
	v_add_co_u32_e32 v10, vcc, s31, v10
	s_waitcnt vmcnt(0) lgkmcnt(0)
	ds_write_b128 v28, v[0:3]
	flat_load_dwordx4 v[0:3], v[12:13]
	v_mov_b32_e32 v13, s34
	v_addc_co_u32_e32 v11, vcc, v13, v11, vcc
	v_add_co_u32_e32 v10, vcc, v10, v9
	v_lshl_or_b32 v12, v14, 8, v9
	v_addc_co_u32_e32 v11, vcc, 0, v11, vcc
	v_cndmask_b32_e64 v11, v34, v11, s[20:21]
	v_cndmask_b32_e64 v10, v35, v10, s[20:21]
	buffer_store_dword v27, off, s[0:3], 0
	buffer_store_dword v27, off, s[0:3], 0 offset:8
	buffer_store_dword v27, off, s[0:3], 0 offset:4
	;; [unrolled: 1-line block ×3, first 2 shown]
	v_lshl_or_b32 v9, v15, 8, v9
	v_add_u32_e32 v14, 0x800, v43
	v_add_u32_e32 v15, 0x1000, v43
	s_waitcnt vmcnt(0) lgkmcnt(0)
	ds_write_b128 v12, v[0:3]
	flat_load_dwordx4 v[0:3], v[10:11]
	v_sub_f32_e32 v10, v6, v8
	v_mul_f32_e32 v6, 0x3fb8aa3b, v10
	v_fma_f32 v11, v10, s30, -v6
	v_rndne_f32_e32 v12, v6
	v_fmac_f32_e32 v11, 0x32a5705f, v10
	v_sub_f32_e32 v6, v6, v12
	v_add_f32_e32 v6, v6, v11
	v_cvt_i32_f32_e32 v12, v12
	v_exp_f32_e32 v11, v6
	v_cmp_ngt_f32_e32 vcc, s22, v10
	v_mov_b32_e32 v6, v8
	v_ldexp_f32 v11, v11, v12
	v_cndmask_b32_e32 v11, 0, v11, vcc
	v_cmp_nlt_f32_e32 vcc, s23, v10
	v_cndmask_b32_e32 v10, v24, v11, vcc
	v_cvt_f16_f32_e32 v182, v10
	v_fmac_f32_e32 v183, v7, v10
	v_mov_b32_e32 v7, v183
	s_waitcnt vmcnt(0) lgkmcnt(0)
	ds_write_b128 v9, v[0:3]
	s_waitcnt lgkmcnt(0)
	s_barrier
	ds_read2_b64 v[0:3], v43 offset1:32
	ds_read_b128 v[10:13], v23 offset:18432
	ds_read_b128 v[24:27], v23 offset:18448
	;; [unrolled: 1-line block ×4, first 2 shown]
	ds_read2_b64 v[36:39], v43 offset0:64 offset1:96
	ds_read2_b64 v[46:49], v43 offset0:128 offset1:160
	ds_read2_b64 v[50:53], v43 offset0:192 offset1:224
	ds_read2_b64 v[54:57], v14 offset1:32
	ds_read2_b64 v[58:61], v14 offset0:64 offset1:96
	ds_read2_b64 v[62:65], v14 offset0:128 offset1:160
	ds_read2_b64 v[66:69], v14 offset0:192 offset1:224
	ds_read2_b64 v[70:73], v15 offset1:32
	;; [unrolled: 4-line block ×5, first 2 shown]
	ds_read_b128 v[122:125], v23 offset:18496
	ds_read_b128 v[126:129], v23 offset:18512
	ds_read2_b64 v[130:133], v138 offset0:64 offset1:96
	ds_read2_b64 v[134:137], v138 offset0:128 offset1:160
	;; [unrolled: 1-line block ×3, first 2 shown]
	ds_read2_b64 v[142:145], v154 offset1:32
	ds_read2_b64 v[146:149], v154 offset0:64 offset1:96
	ds_read2_b64 v[150:153], v154 offset0:128 offset1:160
	;; [unrolled: 1-line block ×3, first 2 shown]
	ds_read2_b64 v[158:161], v178 offset1:32
	ds_read_b128 v[162:165], v23 offset:18528
	ds_read_b128 v[166:169], v23 offset:18544
	ds_read2_b64 v[170:173], v178 offset0:64 offset1:96
	ds_read2_b64 v[174:177], v178 offset0:128 offset1:160
	;; [unrolled: 1-line block ×3, first 2 shown]
	s_waitcnt lgkmcnt(14)
	v_pk_mul_f16 v0, v0, v10 op_sel_hi:[1,0]
	v_pk_mul_f16 v1, v1, v10 op_sel_hi:[1,0]
	v_pk_fma_f16 v0, v44, v182, v0 op_sel_hi:[1,0,1]
	v_pk_fma_f16 v1, v45, v182, v1 op_sel_hi:[1,0,1]
	v_pk_fma_f16 v0, v2, v10, v0 op_sel:[0,1,0]
	v_pk_fma_f16 v1, v3, v10, v1 op_sel:[0,1,0]
	v_pk_fma_f16 v0, v36, v11, v0 op_sel_hi:[1,0,1]
	v_pk_fma_f16 v1, v37, v11, v1 op_sel_hi:[1,0,1]
	v_pk_fma_f16 v0, v38, v11, v0 op_sel:[0,1,0]
	v_pk_fma_f16 v1, v39, v11, v1 op_sel:[0,1,0]
	;; [unrolled: 4-line block ×20, first 2 shown]
	s_waitcnt lgkmcnt(13)
	v_pk_fma_f16 v0, v118, v126, v0 op_sel_hi:[1,0,1]
	v_pk_fma_f16 v1, v119, v126, v1 op_sel_hi:[1,0,1]
	v_pk_fma_f16 v0, v120, v126, v0 op_sel:[0,1,0]
	v_pk_fma_f16 v1, v121, v126, v1 op_sel:[0,1,0]
	s_waitcnt lgkmcnt(12)
	v_pk_fma_f16 v0, v130, v127, v0 op_sel_hi:[1,0,1]
	v_pk_fma_f16 v1, v131, v127, v1 op_sel_hi:[1,0,1]
	v_pk_fma_f16 v0, v132, v127, v0 op_sel:[0,1,0]
	v_pk_fma_f16 v1, v133, v127, v1 op_sel:[0,1,0]
	;; [unrolled: 5-line block ×5, first 2 shown]
	v_pk_fma_f16 v0, v146, v163, v0 op_sel_hi:[1,0,1]
	v_pk_fma_f16 v1, v147, v163, v1 op_sel_hi:[1,0,1]
	v_pk_fma_f16 v0, v148, v163, v0 op_sel:[0,1,0]
	v_pk_fma_f16 v1, v149, v163, v1 op_sel:[0,1,0]
	v_pk_fma_f16 v0, v150, v164, v0 op_sel_hi:[1,0,1]
	v_pk_fma_f16 v1, v151, v164, v1 op_sel_hi:[1,0,1]
	v_pk_fma_f16 v0, v152, v164, v0 op_sel:[0,1,0]
	v_pk_fma_f16 v1, v153, v164, v1 op_sel:[0,1,0]
	;; [unrolled: 4-line block ×3, first 2 shown]
	s_waitcnt lgkmcnt(3)
	v_pk_fma_f16 v0, v158, v166, v0 op_sel_hi:[1,0,1]
	v_pk_fma_f16 v1, v159, v166, v1 op_sel_hi:[1,0,1]
	v_pk_fma_f16 v0, v160, v166, v0 op_sel:[0,1,0]
	v_pk_fma_f16 v1, v161, v166, v1 op_sel:[0,1,0]
	s_waitcnt lgkmcnt(2)
	v_pk_fma_f16 v0, v170, v167, v0 op_sel_hi:[1,0,1]
	v_pk_fma_f16 v1, v171, v167, v1 op_sel_hi:[1,0,1]
	v_pk_fma_f16 v0, v172, v167, v0 op_sel:[0,1,0]
	v_pk_fma_f16 v1, v173, v167, v1 op_sel:[0,1,0]
	;; [unrolled: 5-line block ×4, first 2 shown]
	s_barrier
.LBB90_46:
	v_cmp_lt_i32_e32 vcc, v18, v17
	v_cndmask_b32_e32 v0, v16, v18, vcc
	v_lshlrev_b32_e32 v0, 2, v0
	ds_bpermute_b32 v0, v0, v7
	v_cmp_lt_i32_e32 vcc, v19, v17
	v_cndmask_b32_e32 v1, v16, v19, vcc
	v_lshlrev_b32_e32 v1, 2, v1
	v_cmp_lt_i32_e32 vcc, v20, v17
	s_waitcnt lgkmcnt(0)
	v_add_f32_e32 v0, v7, v0
	ds_bpermute_b32 v1, v1, v0
	v_cndmask_b32_e32 v2, v16, v20, vcc
	v_lshlrev_b32_e32 v2, 2, v2
	v_cmp_lt_i32_e32 vcc, v21, v17
	s_cmp_eq_u64 s[44:45], 0
	s_waitcnt lgkmcnt(0)
	v_add_f32_e32 v0, v0, v1
	ds_bpermute_b32 v1, v2, v0
	v_cndmask_b32_e32 v2, v16, v21, vcc
	v_lshlrev_b32_e32 v2, 2, v2
	v_cmp_lt_i32_e32 vcc, v22, v17
	s_cselect_b64 s[6:7], -1, 0
	s_waitcnt lgkmcnt(0)
	v_add_f32_e32 v0, v0, v1
	ds_bpermute_b32 v1, v2, v0
	v_cndmask_b32_e32 v2, v16, v22, vcc
	v_lshlrev_b32_e32 v2, 2, v2
	s_cmp_lg_u32 s9, 0
	s_cselect_b64 s[10:11], -1, 0
	s_waitcnt lgkmcnt(0)
	v_add_f32_e32 v0, v0, v1
	ds_bpermute_b32 v1, v2, v0
	s_or_b64 s[6:7], s[10:11], s[6:7]
	s_and_b64 vcc, exec, s[6:7]
	s_waitcnt lgkmcnt(0)
	v_add_f32_e32 v9, v0, v1
	s_cbranch_vccnz .LBB90_48
; %bb.47:
	s_lshl_b64 s[6:7], s[28:29], 2
	s_add_u32 s6, s44, s6
	s_addc_u32 s7, s45, s7
	v_mov_b32_e32 v0, 0
	global_load_dword v1, v0, s[6:7]
	v_max_f32_e32 v0, v6, v6
	s_mov_b32 s6, 0x3fb8aa3b
	s_mov_b32 s7, 0xc2ce8ed0
	s_waitcnt vmcnt(0)
	v_max_f32_e32 v2, v1, v1
	v_max_f32_e32 v0, v0, v2
	v_sub_f32_e32 v2, v6, v0
	v_sub_f32_e32 v1, v1, v0
	v_mul_f32_e32 v3, 0x3fb8aa3b, v2
	v_mul_f32_e32 v6, 0x3fb8aa3b, v1
	v_fma_f32 v7, v2, s6, -v3
	v_rndne_f32_e32 v8, v3
	v_fma_f32 v10, v1, s6, -v6
	v_rndne_f32_e32 v11, v6
	v_fmac_f32_e32 v7, 0x32a5705f, v2
	v_sub_f32_e32 v3, v3, v8
	v_fmac_f32_e32 v10, 0x32a5705f, v1
	v_sub_f32_e32 v6, v6, v11
	v_add_f32_e32 v3, v3, v7
	v_cvt_i32_f32_e32 v8, v8
	v_add_f32_e32 v6, v6, v10
	v_exp_f32_e32 v3, v3
	v_cvt_i32_f32_e32 v11, v11
	v_exp_f32_e32 v6, v6
	v_cmp_ngt_f32_e32 vcc, s7, v2
	v_ldexp_f32 v3, v3, v8
	s_mov_b32 s6, 0x42b17218
	v_ldexp_f32 v6, v6, v11
	v_cndmask_b32_e32 v3, 0, v3, vcc
	v_cmp_ngt_f32_e32 vcc, s7, v1
	v_mov_b32_e32 v7, 0x7f800000
	v_cndmask_b32_e32 v6, 0, v6, vcc
	v_cmp_nlt_f32_e32 vcc, s6, v2
	v_cndmask_b32_e32 v2, v7, v3, vcc
	v_cvt_f16_f32_e32 v3, v2
	v_cmp_nlt_f32_e32 vcc, s6, v1
	v_cndmask_b32_e32 v1, v7, v6, vcc
	v_fmac_f32_e32 v1, v9, v2
	v_pk_mul_f16 v44, v3, v44 op_sel_hi:[0,1]
	v_pk_mul_f16 v45, v3, v45 op_sel_hi:[0,1]
	v_mov_b32_e32 v9, v1
	v_cmp_gt_i32_e32 vcc, s26, v5
	s_and_saveexec_b64 s[6:7], vcc
	s_cbranch_execnz .LBB90_49
	s_branch .LBB90_51
.LBB90_48:
	v_pk_mov_b32 v[0:1], v[8:9], v[8:9] op_sel:[0,1]
	v_cmp_gt_i32_e32 vcc, s26, v5
	s_and_saveexec_b64 s[6:7], vcc
	s_cbranch_execz .LBB90_51
.LBB90_49:
	s_load_dword s6, s[4:5], 0xd4
	v_div_scale_f32 v2, s[4:5], v9, v9, 1.0
	v_rcp_f32_e32 v3, v2
	s_mul_i32 s33, s33, s26
	s_waitcnt lgkmcnt(0)
	s_cmp_lg_u32 s6, 1
	s_cselect_b64 s[4:5], -1, 0
	v_fma_f32 v6, -v2, v3, 1.0
	v_fmac_f32_e32 v3, v6, v3
	v_div_scale_f32 v6, vcc, 1.0, v9, 1.0
	v_mul_f32_e32 v7, v6, v3
	v_fma_f32 v8, -v2, v7, v6
	v_fmac_f32_e32 v7, v8, v3
	v_fma_f32 v2, -v2, v7, v6
	v_div_fmas_f32 v2, v2, v3, v7
	v_div_fixup_f32 v2, v2, v9, 1.0
	v_cndmask_b32_e64 v8, v2, 1.0, s[4:5]
	v_add_u32_e32 v2, s33, v5
	v_mul_lo_u32 v2, v2, s27
	v_add_u32_e32 v2, s28, v2
	v_mul_lo_u32 v2, s6, v2
	v_add_u32_e32 v2, s9, v2
	v_lshl_add_u32 v6, v2, 7, v42
	v_mov_b32_e32 v7, 0
	v_lshlrev_b64 v[6:7], 2, v[6:7]
	v_cvt_f32_f16_sdwa v11, v44 dst_sel:DWORD dst_unused:UNUSED_PAD src0_sel:WORD_1
	v_cvt_f32_f16_e32 v10, v44
	v_cvt_f32_f16_sdwa v13, v45 dst_sel:DWORD dst_unused:UNUSED_PAD src0_sel:WORD_1
	v_cvt_f32_f16_e32 v12, v45
	v_mov_b32_e32 v3, s49
	v_add_co_u32_e32 v14, vcc, s48, v6
	v_addc_co_u32_e32 v15, vcc, v3, v7, vcc
	v_cmp_eq_u32_e32 vcc, 0, v4
	v_pk_mul_f32 v[6:7], v[8:9], v[10:11] op_sel_hi:[0,1]
	v_pk_mul_f32 v[8:9], v[8:9], v[12:13] op_sel_hi:[0,1]
	s_and_b64 s[4:5], vcc, s[4:5]
	global_store_dwordx4 v[14:15], v[6:9], off
	s_and_b64 exec, exec, s[4:5]
	s_cbranch_execz .LBB90_51
; %bb.50:
	v_ashrrev_i32_e32 v3, 31, v2
	v_lshlrev_b64 v[2:3], 3, v[2:3]
	v_mov_b32_e32 v4, s51
	v_add_co_u32_e32 v2, vcc, s50, v2
	v_addc_co_u32_e32 v3, vcc, v4, v3, vcc
	global_store_dwordx2 v[2:3], v[0:1], off
	s_endpgm
.LBB90_51:
	s_endpgm
	.section	.rodata,"a",@progbits
	.p2align	6, 0x0
	.amdhsa_kernel _ZL15flash_attn_tileILi128ELi128ELi4ELi1ELb1EEvPKcS1_S1_S1_S1_PKiPfP15HIP_vector_typeIfLj2EEffffjfiS5_IjLj3EEiiiiiiiiiiiliiliiiiil
		.amdhsa_group_segment_fixed_size 18944
		.amdhsa_private_segment_fixed_size 32
		.amdhsa_kernarg_size 464
		.amdhsa_user_sgpr_count 8
		.amdhsa_user_sgpr_private_segment_buffer 1
		.amdhsa_user_sgpr_dispatch_ptr 0
		.amdhsa_user_sgpr_queue_ptr 0
		.amdhsa_user_sgpr_kernarg_segment_ptr 1
		.amdhsa_user_sgpr_dispatch_id 0
		.amdhsa_user_sgpr_flat_scratch_init 1
		.amdhsa_user_sgpr_kernarg_preload_length 0
		.amdhsa_user_sgpr_kernarg_preload_offset 0
		.amdhsa_user_sgpr_private_segment_size 0
		.amdhsa_uses_dynamic_stack 0
		.amdhsa_system_sgpr_private_segment_wavefront_offset 1
		.amdhsa_system_sgpr_workgroup_id_x 1
		.amdhsa_system_sgpr_workgroup_id_y 1
		.amdhsa_system_sgpr_workgroup_id_z 1
		.amdhsa_system_sgpr_workgroup_info 0
		.amdhsa_system_vgpr_workitem_id 1
		.amdhsa_next_free_vgpr 184
		.amdhsa_next_free_sgpr 56
		.amdhsa_accum_offset 184
		.amdhsa_reserve_vcc 1
		.amdhsa_reserve_flat_scratch 1
		.amdhsa_float_round_mode_32 0
		.amdhsa_float_round_mode_16_64 0
		.amdhsa_float_denorm_mode_32 3
		.amdhsa_float_denorm_mode_16_64 3
		.amdhsa_dx10_clamp 1
		.amdhsa_ieee_mode 1
		.amdhsa_fp16_overflow 0
		.amdhsa_tg_split 0
		.amdhsa_exception_fp_ieee_invalid_op 0
		.amdhsa_exception_fp_denorm_src 0
		.amdhsa_exception_fp_ieee_div_zero 0
		.amdhsa_exception_fp_ieee_overflow 0
		.amdhsa_exception_fp_ieee_underflow 0
		.amdhsa_exception_fp_ieee_inexact 0
		.amdhsa_exception_int_div_zero 0
	.end_amdhsa_kernel
	.section	.text._ZL15flash_attn_tileILi128ELi128ELi4ELi1ELb1EEvPKcS1_S1_S1_S1_PKiPfP15HIP_vector_typeIfLj2EEffffjfiS5_IjLj3EEiiiiiiiiiiiliiliiiiil,"axG",@progbits,_ZL15flash_attn_tileILi128ELi128ELi4ELi1ELb1EEvPKcS1_S1_S1_S1_PKiPfP15HIP_vector_typeIfLj2EEffffjfiS5_IjLj3EEiiiiiiiiiiiliiliiiiil,comdat
.Lfunc_end90:
	.size	_ZL15flash_attn_tileILi128ELi128ELi4ELi1ELb1EEvPKcS1_S1_S1_S1_PKiPfP15HIP_vector_typeIfLj2EEffffjfiS5_IjLj3EEiiiiiiiiiiiliiliiiiil, .Lfunc_end90-_ZL15flash_attn_tileILi128ELi128ELi4ELi1ELb1EEvPKcS1_S1_S1_S1_PKiPfP15HIP_vector_typeIfLj2EEffffjfiS5_IjLj3EEiiiiiiiiiiiliiliiiiil
                                        ; -- End function
	.section	.AMDGPU.csdata,"",@progbits
; Kernel info:
; codeLenInByte = 14652
; NumSgprs: 62
; NumVgprs: 184
; NumAgprs: 0
; TotalNumVgprs: 184
; ScratchSize: 32
; MemoryBound: 0
; FloatMode: 240
; IeeeMode: 1
; LDSByteSize: 18944 bytes/workgroup (compile time only)
; SGPRBlocks: 7
; VGPRBlocks: 22
; NumSGPRsForWavesPerEU: 62
; NumVGPRsForWavesPerEU: 184
; AccumOffset: 184
; Occupancy: 2
; WaveLimiterHint : 1
; COMPUTE_PGM_RSRC2:SCRATCH_EN: 1
; COMPUTE_PGM_RSRC2:USER_SGPR: 8
; COMPUTE_PGM_RSRC2:TRAP_HANDLER: 0
; COMPUTE_PGM_RSRC2:TGID_X_EN: 1
; COMPUTE_PGM_RSRC2:TGID_Y_EN: 1
; COMPUTE_PGM_RSRC2:TGID_Z_EN: 1
; COMPUTE_PGM_RSRC2:TIDIG_COMP_CNT: 1
; COMPUTE_PGM_RSRC3_GFX90A:ACCUM_OFFSET: 45
; COMPUTE_PGM_RSRC3_GFX90A:TG_SPLIT: 0
	.section	.text._ZL15flash_attn_tileILi128ELi128ELi2ELi1ELb1EEvPKcS1_S1_S1_S1_PKiPfP15HIP_vector_typeIfLj2EEffffjfiS5_IjLj3EEiiiiiiiiiiiliiliiiiil,"axG",@progbits,_ZL15flash_attn_tileILi128ELi128ELi2ELi1ELb1EEvPKcS1_S1_S1_S1_PKiPfP15HIP_vector_typeIfLj2EEffffjfiS5_IjLj3EEiiiiiiiiiiiliiliiiiil,comdat
	.globl	_ZL15flash_attn_tileILi128ELi128ELi2ELi1ELb1EEvPKcS1_S1_S1_S1_PKiPfP15HIP_vector_typeIfLj2EEffffjfiS5_IjLj3EEiiiiiiiiiiiliiliiiiil ; -- Begin function _ZL15flash_attn_tileILi128ELi128ELi2ELi1ELb1EEvPKcS1_S1_S1_S1_PKiPfP15HIP_vector_typeIfLj2EEffffjfiS5_IjLj3EEiiiiiiiiiiiliiliiiiil
	.p2align	8
	.type	_ZL15flash_attn_tileILi128ELi128ELi2ELi1ELb1EEvPKcS1_S1_S1_S1_PKiPfP15HIP_vector_typeIfLj2EEffffjfiS5_IjLj3EEiiiiiiiiiiiliiliiiiil,@function
_ZL15flash_attn_tileILi128ELi128ELi2ELi1ELb1EEvPKcS1_S1_S1_S1_PKiPfP15HIP_vector_typeIfLj2EEffffjfiS5_IjLj3EEiiiiiiiiiiiliiliiiiil: ; @_ZL15flash_attn_tileILi128ELi128ELi2ELi1ELb1EEvPKcS1_S1_S1_S1_PKiPfP15HIP_vector_typeIfLj2EEffffjfiS5_IjLj3EEiiiiiiiiiiiliiliiiiil
; %bb.0:
	s_load_dwordx4 s[36:39], s[4:5], 0x5c
	s_load_dwordx2 s[14:15], s[4:5], 0x80
	s_add_u32 flat_scratch_lo, s6, s11
	s_addc_u32 flat_scratch_hi, s7, 0
	s_add_u32 s0, s0, s11
	s_waitcnt lgkmcnt(0)
	v_cvt_f32_u32_e32 v1, s39
	s_addc_u32 s1, s1, 0
	s_sub_i32 s6, 0, s39
	s_load_dwordx16 s[16:31], s[4:5], 0x0
	v_rcp_iflag_f32_e32 v1, v1
	s_load_dwordx2 s[46:47], s[4:5], 0xb8
	s_mov_b64 s[44:45], 0
	v_mul_f32_e32 v1, 0x4f7ffffe, v1
	v_cvt_u32_f32_e32 v1, v1
	v_readfirstlane_b32 s7, v1
	s_mul_i32 s6, s6, s7
	s_mul_hi_u32 s6, s7, s6
	s_add_i32 s7, s7, s6
	s_mul_hi_u32 s6, s10, s7
	s_mul_i32 s7, s6, s39
	s_sub_i32 s7, s10, s7
	s_add_i32 s11, s6, 1
	s_sub_i32 s12, s7, s39
	s_cmp_ge_u32 s7, s39
	s_cselect_b32 s6, s11, s6
	s_cselect_b32 s7, s12, s7
	s_add_i32 s11, s6, 1
	s_cmp_ge_u32 s7, s39
	s_cselect_b32 s33, s11, s6
	s_abs_i32 s6, s15
	v_cvt_f32_u32_e32 v1, s6
	s_mul_i32 s12, s33, s39
	s_sub_i32 s13, 0, s6
	s_sub_i32 s34, s10, s12
	v_rcp_iflag_f32_e32 v1, v1
	s_abs_i32 s11, s39
	s_xor_b32 s7, s39, s15
	s_ashr_i32 s7, s7, 31
	v_mul_f32_e32 v1, 0x4f7ffffe, v1
	v_cvt_u32_f32_e32 v1, v1
	v_readfirstlane_b32 s10, v1
	s_mul_i32 s13, s13, s10
	s_mul_hi_u32 s12, s10, s13
	s_add_i32 s10, s10, s12
	s_mul_hi_u32 s10, s11, s10
	s_mul_i32 s12, s10, s6
	s_sub_i32 s11, s11, s12
	s_add_i32 s13, s10, 1
	s_sub_i32 s12, s11, s6
	s_cmp_ge_u32 s11, s6
	s_cselect_b32 s10, s13, s10
	s_cselect_b32 s11, s12, s11
	s_add_i32 s12, s10, 1
	s_cmp_ge_u32 s11, s6
	s_cselect_b32 s6, s12, s10
	s_xor_b32 s6, s6, s7
	s_sub_i32 s15, s6, s7
	s_abs_i32 s48, s15
	v_cvt_f32_u32_e32 v1, s48
	s_sub_i32 s6, 0, s48
	s_waitcnt lgkmcnt(0)
	s_cmp_eq_u64 s[22:23], 0
	v_rcp_iflag_f32_e32 v1, v1
	v_mul_f32_e32 v1, 0x4f7ffffe, v1
	v_cvt_u32_f32_e32 v1, v1
	v_readfirstlane_b32 s35, v1
	s_mul_i32 s6, s6, s35
	s_mul_hi_u32 s6, s35, s6
	s_cbranch_scc1 .LBB91_2
; %bb.1:
	s_abs_i32 s7, s46
	v_cvt_f32_u32_e32 v1, s7
	s_sub_i32 s40, 0, s7
	s_abs_i32 s13, s33
	s_ashr_i32 s12, s33, 31
	v_rcp_iflag_f32_e32 v1, v1
	s_load_dwordx2 s[10:11], s[4:5], 0xc8
	v_mul_f32_e32 v1, 0x4f7ffffe, v1
	v_cvt_u32_f32_e32 v1, v1
	v_readfirstlane_b32 s41, v1
	s_mul_i32 s40, s40, s41
	s_mul_hi_u32 s40, s41, s40
	s_add_i32 s41, s41, s40
	s_mul_hi_u32 s40, s13, s41
	s_mul_i32 s40, s40, s7
	s_sub_i32 s13, s13, s40
	s_sub_i32 s40, s13, s7
	s_cmp_ge_u32 s13, s7
	s_cselect_b32 s13, s40, s13
	s_sub_i32 s40, s13, s7
	s_cmp_ge_u32 s13, s7
	s_cselect_b32 s7, s40, s13
	s_xor_b32 s7, s7, s12
	s_sub_i32 s7, s7, s12
	s_ashr_i32 s12, s7, 31
	s_waitcnt lgkmcnt(0)
	s_mul_i32 s11, s7, s11
	s_mul_hi_u32 s13, s7, s10
	s_add_i32 s11, s13, s11
	s_mul_i32 s12, s12, s10
	s_add_i32 s11, s11, s12
	s_mul_i32 s7, s7, s10
	s_add_u32 s44, s22, s7
	s_addc_u32 s45, s23, s11
.LBB91_2:
	s_load_dwordx4 s[40:43], s[4:5], 0x40
	s_load_dwordx2 s[22:23], s[4:5], 0x50
	s_add_i32 s35, s35, s6
	s_abs_i32 s46, s34
	v_mov_b32_e32 v30, 1.0
	s_waitcnt lgkmcnt(0)
	v_cmp_le_f32_e64 s[6:7], s41, 0
	s_and_b64 vcc, exec, s[6:7]
	s_cbranch_vccnz .LBB91_4
; %bb.3:
	s_sub_i32 s6, s34, s22
	s_lshl_b32 s6, s6, 1
	s_add_i32 s10, s34, 1
	s_or_b32 s11, s6, 1
	s_cmp_lt_u32 s34, s22
	s_cselect_b64 vcc, -1, 0
	s_and_b64 s[6:7], vcc, exec
	v_mov_b32_e32 v1, s43
	v_mov_b32_e32 v2, s42
	s_cselect_b32 s6, s10, s11
	v_cndmask_b32_e32 v18, v1, v2, vcc
	v_cvt_f32_i32_e32 v1, s6
	v_cmp_neq_f32_e32 vcc, 1.0, v18
	s_mov_b32 s6, 0x3f2aaaab
	s_movk_i32 s10, 0x204
	v_cndmask_b32_e32 v19, 1.0, v1, vcc
	v_cmp_eq_f32_e32 vcc, 0, v19
	v_cndmask_b32_e64 v20, |v18|, 1.0, vcc
	v_frexp_mant_f32_e32 v1, v20
	v_cmp_gt_f32_e64 s[6:7], s6, v1
	v_cndmask_b32_e64 v2, 1.0, 2.0, s[6:7]
	v_mul_f32_e32 v1, v1, v2
	v_add_f32_e32 v2, 1.0, v1
	v_rcp_f32_e32 v10, v2
	v_add_f32_e32 v3, -1.0, v2
	v_sub_f32_e32 v5, v1, v3
	v_add_f32_e32 v3, -1.0, v1
	v_mul_f32_e32 v1, v3, v10
	v_mul_f32_e32 v4, v2, v1
	v_fma_f32 v6, v1, v2, -v4
	v_fmac_f32_e32 v6, v1, v5
	v_add_f32_e32 v2, v4, v6
	v_sub_f32_e32 v5, v3, v2
	v_pk_add_f32 v[8:9], v[2:3], v[4:5] neg_lo:[0,1] neg_hi:[0,1]
	v_mov_b32_e32 v7, v2
	v_pk_add_f32 v[2:3], v[8:9], v[6:7] neg_lo:[0,1] neg_hi:[0,1]
	v_add_f32_e32 v2, v2, v3
	v_add_f32_e32 v2, v5, v2
	v_mul_f32_e32 v3, v10, v2
	v_add_f32_e32 v2, v1, v3
	v_sub_f32_e32 v1, v2, v1
	v_sub_f32_e32 v1, v3, v1
	v_mul_f32_e32 v3, v2, v2
	v_fma_f32 v5, v2, v2, -v3
	v_add_f32_e32 v4, v1, v1
	v_fmac_f32_e32 v5, v2, v4
	v_add_f32_e32 v4, v3, v5
	v_mov_b32_e32 v6, 0x3e91f4c4
	v_fmac_f32_e32 v6, 0x3e76c4e1, v4
	v_mov_b32_e32 v7, 0x3ecccdef
	v_fmac_f32_e32 v7, v4, v6
	v_sub_f32_e32 v3, v4, v3
	v_sub_f32_e32 v12, v5, v3
	v_mul_f32_e32 v3, v4, v7
	v_fma_f32 v5, v4, v7, -v3
	v_fmac_f32_e32 v5, v12, v7
	v_add_f32_e32 v6, v3, v5
	v_add_f32_e32 v7, 0x3f2aaaaa, v6
	v_sub_f32_e32 v3, v6, v3
	v_sub_f32_e32 v3, v5, v3
	v_add_f32_e32 v5, 0xbf2aaaaa, v7
	v_add_f32_e32 v3, 0x31739010, v3
	v_sub_f32_e32 v5, v6, v5
	v_pk_mul_f32 v[8:9], v[2:3], v[4:5]
	v_fma_f32 v6, v4, v2, -v8
	v_pk_add_f32 v[10:11], v[2:3], v[4:5]
	v_fmac_f32_e32 v6, v4, v1
	v_mov_b32_e32 v9, v11
	v_fmac_f32_e32 v6, v12, v2
	v_pk_add_f32 v[4:5], v[8:9], v[6:7]
	v_sub_f32_e32 v3, v4, v8
	v_sub_f32_e32 v3, v6, v3
	;; [unrolled: 1-line block ×3, first 2 shown]
	v_add_f32_e32 v9, v11, v6
	v_mov_b32_e32 v6, v5
	v_pk_mul_f32 v[6:7], v[4:5], v[6:7]
	v_cvt_f64_f32_e32 v[10:11], v20
	v_frexp_exp_i32_f64_e32 v7, v[10:11]
	v_subbrev_co_u32_e64 v7, s[6:7], 0, v7, s[6:7]
	v_cvt_f32_i32_e32 v7, v7
	v_fma_f32 v8, v4, v5, -v6
	v_fmac_f32_e32 v8, v4, v9
	s_mov_b32 s6, 0x3f317218
	v_mul_f32_e32 v4, 0x3f317218, v7
	v_fmac_f32_e32 v8, v3, v5
	v_fma_f32 v10, v7, s6, -v4
	v_fmac_f32_e32 v10, 0xb102e308, v7
	v_ldexp_f32 v11, v2, 1
	v_add_f32_e32 v5, v6, v8
	v_pk_add_f32 v[2:3], v[4:5], v[10:11]
	v_mov_b32_e32 v12, v5
	v_mov_b32_e32 v13, v3
	;; [unrolled: 1-line block ×3, first 2 shown]
	v_pk_add_f32 v[6:7], v[12:13], v[6:7] neg_lo:[0,1] neg_hi:[0,1]
	v_mov_b32_e32 v9, v5
	v_ldexp_f32 v1, v1, 1
	v_pk_add_f32 v[6:7], v[8:9], v[6:7] neg_lo:[0,1] neg_hi:[0,1]
	v_add_f32_e32 v1, v1, v6
	v_add_f32_e32 v5, v1, v7
	v_pk_add_f32 v[6:7], v[2:3], v[4:5] neg_lo:[0,1] neg_hi:[0,1]
	v_pk_add_f32 v[8:9], v[2:3], v[4:5]
	v_mov_b32_e32 v12, v6
	v_mov_b32_e32 v13, v9
	;; [unrolled: 1-line block ×3, first 2 shown]
	v_pk_add_f32 v[12:13], v[10:11], v[12:13]
	v_mov_b32_e32 v4, v13
	v_pk_add_f32 v[14:15], v[4:5], v[2:3] neg_lo:[0,1] neg_hi:[0,1]
	v_mov_b32_e32 v1, v14
	v_mov_b32_e32 v12, v9
	;; [unrolled: 1-line block ×4, first 2 shown]
	v_pk_add_f32 v[6:7], v[10:11], v[6:7] neg_lo:[0,1] neg_hi:[0,1]
	v_pk_add_f32 v[16:17], v[8:9], v[0:1] neg_lo:[0,1] neg_hi:[0,1]
	;; [unrolled: 1-line block ×3, first 2 shown]
	v_mov_b32_e32 v10, v5
	v_pk_add_f32 v[2:3], v[10:11], v[2:3] neg_lo:[0,1] neg_hi:[0,1]
	v_mov_b32_e32 v16, v6
	v_pk_add_f32 v[8:9], v[16:17], v[2:3]
	v_mov_b32_e32 v10, v9
	v_pk_add_f32 v[10:11], v[8:9], v[10:11]
	v_pk_add_f32 v[4:5], v[4:5], v[10:11]
	v_mov_b32_e32 v7, v13
	v_mov_b32_e32 v9, v4
	v_pk_add_f32 v[12:13], v[8:9], v[6:7] neg_lo:[0,1] neg_hi:[0,1]
	v_mov_b32_e32 v3, v10
	v_sub_f32_e32 v1, v8, v12
	v_pk_add_f32 v[2:3], v[2:3], v[12:13] neg_lo:[0,1] neg_hi:[0,1]
	v_sub_f32_e32 v1, v6, v1
	v_add_f32_e32 v1, v2, v1
	v_add_f32_e32 v1, v1, v3
	;; [unrolled: 1-line block ×3, first 2 shown]
	v_sub_f32_e32 v3, v2, v4
	v_sub_f32_e32 v1, v1, v3
	v_mul_f32_e32 v3, v19, v2
	v_fma_f32 v2, v19, v2, -v3
	v_fmac_f32_e32 v2, v19, v1
	v_add_f32_e32 v1, v3, v2
	v_cmp_class_f32_e64 s[6:7], v3, s10
	v_sub_f32_e32 v4, v1, v3
	v_cndmask_b32_e64 v1, v1, v3, s[6:7]
	s_mov_b32 s12, 0x42b17218
	v_mov_b32_e32 v3, 0x37000000
	v_cmp_eq_f32_e64 s[6:7], s12, v1
	v_cndmask_b32_e64 v3, 0, v3, s[6:7]
	v_sub_f32_e32 v2, v2, v4
	v_sub_f32_e32 v4, v1, v3
	s_mov_b32 s6, 0x3fb8aa3b
	v_mul_f32_e32 v5, 0x3fb8aa3b, v4
	v_fma_f32 v6, v4, s6, -v5
	v_rndne_f32_e32 v7, v5
	v_fmac_f32_e32 v6, 0x32a5705f, v4
	v_sub_f32_e32 v5, v5, v7
	v_add_f32_e32 v5, v5, v6
	v_exp_f32_e32 v5, v5
	v_cvt_i32_f32_e32 v6, v7
	s_mov_b32 s11, 0x7f800000
	v_cmp_neq_f32_e64 s[6:7], |v1|, s11
	v_cndmask_b32_e64 v1, 0, v2, s[6:7]
	s_mov_b32 s6, 0xc2ce8ed0
	v_ldexp_f32 v2, v5, v6
	v_cmp_ngt_f32_e64 s[6:7], s6, v4
	v_add_f32_e32 v1, v3, v1
	v_cndmask_b32_e64 v2, 0, v2, s[6:7]
	v_mov_b32_e32 v3, 0x7f800000
	v_cmp_nlt_f32_e64 s[6:7], s12, v4
	v_cndmask_b32_e64 v2, v3, v2, s[6:7]
	v_fma_f32 v1, v2, v1, v2
	v_cmp_class_f32_e64 s[6:7], v2, s10
	v_trunc_f32_e32 v4, v19
	v_cndmask_b32_e64 v1, v1, v2, s[6:7]
	v_cndmask_b32_e64 v2, v18, 1.0, vcc
	v_cmp_eq_f32_e32 vcc, v4, v19
	v_mul_f32_e32 v4, 0.5, v19
	v_trunc_f32_e32 v6, v4
	v_cmp_neq_f32_e64 s[6:7], v6, v4
	s_and_b64 s[6:7], vcc, s[6:7]
	v_cndmask_b32_e64 v4, 1.0, v2, s[6:7]
	s_brev_b32 s22, -2
	v_mov_b32_e32 v5, 0x7fc00000
	v_bfi_b32 v1, s22, v1, v4
	v_cndmask_b32_e32 v4, v5, v1, vcc
	v_cmp_gt_f32_e32 vcc, 0, v2
	v_cndmask_b32_e32 v1, v1, v4, vcc
	v_cmp_eq_f32_e32 vcc, s11, v20
	v_cmp_eq_f32_e64 s[10:11], 0, v2
	v_cmp_gt_f32_e64 s[12:13], 0, v19
	s_xor_b64 s[12:13], s[12:13], s[10:11]
	v_cndmask_b32_e64 v3, v3, 0, s[12:13]
	v_cndmask_b32_e64 v4, 0, v2, s[6:7]
	v_bfi_b32 v3, s22, v3, v4
	s_or_b64 vcc, vcc, s[10:11]
	v_cndmask_b32_e32 v1, v1, v3, vcc
	v_cmp_o_f32_e32 vcc, v2, v2
	v_cndmask_b32_e32 v30, v5, v1, vcc
.LBB91_4:
	v_bfe_u32 v5, v0, 10, 10
	v_lshlrev_b32_e32 v2, 7, v5
	v_and_b32_e32 v7, 0x3ff, v0
	v_and_b32_e32 v2, 0x180, v2
	v_lshlrev_b32_e32 v26, 2, v7
	s_lshl_b32 s6, s8, 1
	v_lshrrev_b32_e32 v1, 2, v5
	v_add_u32_e32 v0, v2, v26
	s_movk_i32 s7, 0x80
	s_mul_hi_u32 s10, s46, s35
	v_cmp_gt_u32_e32 vcc, s7, v0
	v_add_u32_e32 v27, s6, v1
	s_and_saveexec_b64 s[6:7], vcc
	s_cbranch_execz .LBB91_6
; %bb.5:
	s_load_dwordx4 s[52:55], s[4:5], 0x70
	v_mul_hi_u32 v0, s36, v27
	v_add_u32_e32 v0, v27, v0
	v_lshrrev_b32_e32 v0, s37, v0
	v_mul_lo_u32 v0, v0, s38
	s_waitcnt lgkmcnt(0)
	s_mul_i32 s11, s33, s54
	s_ashr_i32 s13, s11, 31
	s_mul_i32 s12, s34, s53
	s_add_u32 s11, s16, s11
	s_addc_u32 s13, s17, s13
	s_ashr_i32 s16, s12, 31
	s_add_u32 s11, s11, s12
	s_addc_u32 s16, s13, s16
	v_sub_u32_e32 v3, v27, v0
	s_ashr_i32 s17, s52, 31
	v_mov_b32_e32 v0, s52
	v_alignbit_b32 v0, s17, v0, 2
	v_mad_u64_u32 v[8:9], s[12:13], v0, v3, 0
	v_mov_b32_e32 v0, v9
	s_lshr_b32 s12, s17, 2
	v_mad_u64_u32 v[10:11], s[12:13], s12, v3, v[0:1]
	v_mov_b32_e32 v9, v10
	v_lshlrev_b64 v[8:9], 2, v[8:9]
	v_mov_b32_e32 v0, s16
	v_add_co_u32_e32 v3, vcc, s11, v8
	v_addc_co_u32_e32 v0, vcc, v0, v9, vcc
	v_lshlrev_b32_e32 v2, 2, v2
	v_add_co_u32_e32 v2, vcc, v3, v2
	v_addc_co_u32_e32 v0, vcc, 0, v0, vcc
	v_lshlrev_b32_e32 v3, 2, v26
	v_add_co_u32_e32 v2, vcc, v2, v3
	v_addc_co_u32_e32 v3, vcc, 0, v0, vcc
	global_load_dwordx4 v[8:11], v[2:3], off
	v_mul_i32_i24_e32 v4, -3, v1
	v_lshlrev_b32_e32 v6, 1, v7
	s_waitcnt vmcnt(0)
	v_pk_mul_f32 v[0:1], v[8:9], s[40:41] op_sel_hi:[1,0]
	v_pk_mul_f32 v[2:3], v[10:11], s[40:41] op_sel_hi:[1,0]
	v_cvt_f16_f32_e32 v8, v1
	v_cvt_f16_f32_e32 v1, v3
	;; [unrolled: 1-line block ×4, first 2 shown]
	v_add_lshl_u32 v3, v4, v5, 6
	v_add_lshl_u32 v3, v3, v6, 2
	v_pack_b32_f16 v1, v2, v1
	v_pack_b32_f16 v0, v0, v8
	ds_write_b64 v3, v[0:1] offset:18944
.LBB91_6:
	s_or_b64 exec, exec, s[6:7]
	s_ashr_i32 s35, s34, 31
	s_ashr_i32 s6, s15, 31
	s_cmp_eq_u64 s[26:27], 0
	s_waitcnt lgkmcnt(0)
	s_barrier
	s_cbranch_scc1 .LBB91_8
; %bb.7:
	s_load_dword s7, s[4:5], 0xd0
	s_mov_b32 s13, 0
	s_waitcnt lgkmcnt(0)
	s_mul_i32 s7, s7, s33
	s_add_i32 s12, s7, s8
	s_lshl_b64 s[12:13], s[12:13], 2
	s_add_u32 s12, s26, s12
	s_addc_u32 s13, s27, s13
	s_load_dword s14, s[12:13], 0x0
.LBB91_8:
	s_nop 0
	s_load_dwordx2 s[12:13], s[4:5], 0x8c
	s_load_dwordx4 s[40:43], s[4:5], 0x98
	s_load_dwordx2 s[16:17], s[4:5], 0xa8
	s_ashr_i32 s7, s33, 31
	s_ashr_i32 s22, s47, 1
	s_waitcnt lgkmcnt(0)
	s_ashr_i32 s15, s12, 2
	s_mul_i32 s11, s33, s41
	s_mul_hi_u32 s12, s33, s40
	s_add_i32 s11, s12, s11
	s_mul_i32 s12, s7, s40
	s_ashr_i32 s8, s42, 2
	s_add_i32 s11, s11, s12
	s_mul_i32 s12, s33, s40
	s_add_u32 s12, s18, s12
	s_mul_i32 s18, s10, s48
	s_addc_u32 s11, s19, s11
	s_sub_i32 s18, s46, s18
	s_xor_b32 s6, s35, s6
	s_add_i32 s19, s10, 1
	s_sub_i32 s26, s18, s48
	s_cmp_ge_u32 s18, s48
	s_cselect_b32 s10, s19, s10
	s_cselect_b32 s18, s26, s18
	s_add_i32 s19, s10, 1
	s_cmp_ge_u32 s18, s48
	s_cselect_b32 s10, s19, s10
	s_xor_b32 s10, s10, s6
	s_sub_i32 s6, s10, s6
	s_mul_i32 s10, s6, s13
	s_ashr_i32 s13, s10, 31
	s_add_u32 s26, s12, s10
	s_addc_u32 s27, s11, s13
	s_mul_i32 s10, s33, s17
	s_mul_hi_u32 s11, s33, s16
	s_add_i32 s10, s11, s10
	s_mul_i32 s7, s7, s16
	s_add_i32 s10, s10, s7
	s_mul_i32 s7, s33, s16
	s_add_u32 s7, s20, s7
	s_mul_i32 s6, s6, s43
	s_addc_u32 s10, s21, s10
	s_ashr_i32 s11, s6, 31
	s_add_u32 s18, s7, s6
	s_addc_u32 s19, s10, s11
	s_lshl_b32 s20, s9, 7
	s_add_i32 s21, s14, 0xffffff80
	s_cmp_ge_i32 s20, s21
	v_mov_b32_e32 v1, 0
	v_lshlrev_b32_e32 v28, 2, v5
	v_lshrrev_b32_e32 v36, 3, v7
	v_and_b32_e32 v6, 28, v26
	v_lshlrev_b32_e32 v32, 5, v5
	v_lshlrev_b32_e32 v35, 6, v5
	v_and_b32_e32 v33, 3, v7
	v_lshrrev_b32_e32 v31, 4, v7
	v_and_b32_e32 v4, 60, v26
	v_and_b32_e32 v3, 3, v5
	v_lshlrev_b32_e32 v29, 3, v7
	v_mbcnt_lo_u32_b32 v34, -1, 0
	s_cbranch_scc1 .LBB91_21
; %bb.9:
	v_mul_hi_u32 v8, s36, v27
	v_add_u32_e32 v1, v36, v28
	v_lshlrev_b32_e32 v2, 2, v6
	s_movk_i32 s6, 0x90
	v_add_u32_e32 v8, v27, v8
	v_mad_u32_u24 v37, v1, s6, v2
	v_mul_lo_u32 v10, s15, v1
	s_lshl_b32 s6, s15, 5
	v_lshrrev_b32_e32 v8, s37, v8
	v_add_u32_e32 v12, s6, v10
	v_and_b32_e32 v1, 0x60, v32
	v_mul_lo_u32 v8, v8, s38
	v_add_u32_e32 v14, s6, v12
	v_add_u32_e32 v2, v1, v7
	v_sub_u32_e32 v8, v27, v8
	v_add_u32_e32 v16, s6, v14
	v_mad_u64_u32 v[8:9], s[6:7], v8, s22, v[2:3]
	s_movk_i32 s12, 0x3fc
	v_mul_u32_u24_e32 v41, 0x90, v2
	v_and_b32_e32 v18, 0xff00, v35
	v_and_or_b32 v2, v5, s12, v33
	v_mov_b32_e32 v9, 0x4c00
	v_lshl_add_u32 v44, v2, 2, v9
	v_add_u32_e32 v2, 0x4800, v18
	v_lshl_or_b32 v1, v1, 1, v2
	s_cmp_lg_u64 s[44:45], 0
	v_lshl_add_u32 v45, v7, 1, v1
	v_lshl_add_u32 v1, v5, 1, v31
	v_add_u32_e32 v42, 0x4a00, v18
	s_cselect_b64 s[10:11], -1, 0
	v_mul_lo_u32 v18, s8, v1
	s_lshl_b32 s12, s8, 4
	v_lshlrev_b32_e32 v9, 2, v4
	v_add_u32_e32 v20, s12, v18
	v_lshl_or_b32 v46, v1, 8, v9
	v_add_u32_e32 v22, s12, v20
	v_and_b32_e32 v1, 3, v5
	v_add_u32_e32 v24, s12, v22
	v_lshlrev_b32_e32 v50, 8, v1
	v_mov_b32_e32 v0, 0
	v_ashrrev_i32_e32 v11, 31, v10
	v_ashrrev_i32_e32 v13, 31, v12
	v_ashrrev_i32_e32 v15, 31, v14
	v_ashrrev_i32_e32 v17, 31, v16
	v_ashrrev_i32_e32 v19, 31, v18
	v_ashrrev_i32_e32 v21, 31, v20
	v_ashrrev_i32_e32 v23, 31, v22
	v_ashrrev_i32_e32 v25, 31, v24
	v_lshl_or_b32 v51, v1, 1, v2
	v_or_b32_e32 v1, 0x400, v50
	v_or_b32_e32 v2, 0x800, v50
	;; [unrolled: 1-line block ×15, first 2 shown]
	s_add_u32 s12, s4, 0xd0
	v_add_u32_e32 v38, 0x1200, v37
	v_add_u32_e32 v39, 0x2400, v37
	;; [unrolled: 1-line block ×3, first 2 shown]
	v_cmp_eq_u32_e64 s[6:7], 0, v7
	v_add_u32_e32 v43, 0x4c00, v28
	v_add_u32_e32 v47, 0x1000, v46
	;; [unrolled: 1-line block ×4, first 2 shown]
	s_addc_u32 s13, s5, 0
	v_mov_b32_e32 v74, 0xfeffffff
	v_lshlrev_b64 v[10:11], 2, v[10:11]
	v_lshlrev_b32_e32 v52, 2, v6
	v_lshlrev_b64 v[12:13], 2, v[12:13]
	v_lshlrev_b64 v[14:15], 2, v[14:15]
	;; [unrolled: 1-line block ×3, first 2 shown]
	s_mov_b32 s40, 0x3f200000
	s_mov_b32 s41, 0x3fb8aa3b
	;; [unrolled: 1-line block ×4, first 2 shown]
	v_mov_b32_e32 v53, 0xbd5c1c4e
	v_mov_b32_e32 v54, 0x3e088382
	;; [unrolled: 1-line block ×3, first 2 shown]
	s_brev_b32 s46, -2
	v_mbcnt_hi_u32_b32 v56, -1, v34
	v_lshlrev_b64 v[18:19], 2, v[18:19]
	v_lshlrev_b32_e32 v57, 2, v4
	v_lshlrev_b64 v[20:21], 2, v[20:21]
	v_lshlrev_b64 v[22:23], 2, v[22:23]
	v_lshlrev_b64 v[24:25], 2, v[24:25]
	v_add_u32_e32 v58, v29, v1
	v_add_u32_e32 v59, v29, v2
	;; [unrolled: 1-line block ×15, first 2 shown]
	v_mov_b32_e32 v73, 0x7f800000
	v_mov_b32_e32 v1, v0
	;; [unrolled: 1-line block ×3, first 2 shown]
.LBB91_10:                              ; =>This Inner Loop Header: Depth=1
	s_mul_hi_i32 s17, s20, s15
	s_mul_i32 s16, s20, s15
	s_lshl_b64 s[16:17], s[16:17], 2
	s_add_u32 s16, s26, s16
	s_addc_u32 s17, s27, s17
	v_mov_b32_e32 v2, s17
	v_add_co_u32_e32 v75, vcc, s16, v10
	v_addc_co_u32_e32 v2, vcc, v2, v11, vcc
	v_add_co_u32_e32 v92, vcc, v75, v52
	v_addc_co_u32_e32 v93, vcc, 0, v2, vcc
	v_mov_b32_e32 v2, s17
	v_add_co_u32_e32 v75, vcc, s16, v12
	v_addc_co_u32_e32 v2, vcc, v2, v13, vcc
	v_add_co_u32_e32 v94, vcc, v75, v52
	v_addc_co_u32_e32 v95, vcc, 0, v2, vcc
	;; [unrolled: 5-line block ×3, first 2 shown]
	v_mov_b32_e32 v2, s17
	v_add_co_u32_e32 v75, vcc, s16, v16
	v_addc_co_u32_e32 v2, vcc, v2, v17, vcc
	v_add_co_u32_e32 v98, vcc, v75, v52
	global_load_dwordx4 v[76:79], v[92:93], off
	global_load_dwordx4 v[80:83], v[94:95], off
	v_addc_co_u32_e32 v99, vcc, 0, v2, vcc
	global_load_dwordx4 v[84:87], v[96:97], off
	global_load_dwordx4 v[88:91], v[98:99], off
	v_mov_b32_e32 v2, 0
	s_waitcnt vmcnt(3)
	ds_write_b128 v37, v[76:79]
	s_waitcnt vmcnt(2)
	ds_write_b128 v38, v[80:83]
	;; [unrolled: 2-line block ×4, first 2 shown]
	s_waitcnt lgkmcnt(0)
	s_barrier
	ds_read_b128 v[76:79], v41
	ds_read_b128 v[80:83], v42
	s_waitcnt lgkmcnt(0)
	;;#ASMSTART
	v_dot2_f32_f16 v2, v76, v80, v2
	;;#ASMEND
	;;#ASMSTART
	v_dot2_f32_f16 v2, v77, v81, v2
	;;#ASMEND
	;;#ASMSTART
	v_dot2_f32_f16 v2, v78, v82, v2
	;;#ASMEND
	;;#ASMSTART
	v_dot2_f32_f16 v2, v79, v83, v2
	;;#ASMEND
	ds_read_b128 v[76:79], v41 offset:16
	ds_read_b128 v[80:83], v42 offset:16
	s_waitcnt lgkmcnt(0)
	;;#ASMSTART
	v_dot2_f32_f16 v2, v76, v80, v2
	;;#ASMEND
	;;#ASMSTART
	v_dot2_f32_f16 v2, v77, v81, v2
	;;#ASMEND
	;;#ASMSTART
	v_dot2_f32_f16 v2, v78, v82, v2
	;;#ASMEND
	;;#ASMSTART
	v_dot2_f32_f16 v2, v79, v83, v2
	;;#ASMEND
	ds_read_b128 v[76:79], v41 offset:32
	ds_read_b128 v[80:83], v42 offset:32
	;; [unrolled: 15-line block ×7, first 2 shown]
	s_waitcnt lgkmcnt(0)
	;;#ASMSTART
	v_dot2_f32_f16 v2, v76, v80, v2
	;;#ASMEND
	;;#ASMSTART
	v_dot2_f32_f16 v2, v77, v81, v2
	;;#ASMEND
	;; [unrolled: 3-line block ×4, first 2 shown]
	s_barrier
	global_load_dwordx4 v[76:79], v[92:93], off offset:128
	global_load_dwordx4 v[80:83], v[94:95], off offset:128
	;; [unrolled: 1-line block ×4, first 2 shown]
	s_waitcnt vmcnt(3)
	ds_write_b128 v37, v[76:79]
	s_waitcnt vmcnt(2)
	ds_write_b128 v38, v[80:83]
	;; [unrolled: 2-line block ×4, first 2 shown]
	s_waitcnt lgkmcnt(0)
	s_barrier
	ds_read_b128 v[76:79], v41
	ds_read_b128 v[80:83], v42 offset:128
	s_waitcnt lgkmcnt(0)
	;;#ASMSTART
	v_dot2_f32_f16 v2, v76, v80, v2
	;;#ASMEND
	;;#ASMSTART
	v_dot2_f32_f16 v2, v77, v81, v2
	;;#ASMEND
	;;#ASMSTART
	v_dot2_f32_f16 v2, v78, v82, v2
	;;#ASMEND
	;;#ASMSTART
	v_dot2_f32_f16 v2, v79, v83, v2
	;;#ASMEND
	ds_read_b128 v[76:79], v41 offset:16
	ds_read_b128 v[80:83], v42 offset:144
	s_waitcnt lgkmcnt(0)
	;;#ASMSTART
	v_dot2_f32_f16 v2, v76, v80, v2
	;;#ASMEND
	;;#ASMSTART
	v_dot2_f32_f16 v2, v77, v81, v2
	;;#ASMEND
	;;#ASMSTART
	v_dot2_f32_f16 v2, v78, v82, v2
	;;#ASMEND
	;;#ASMSTART
	v_dot2_f32_f16 v2, v79, v83, v2
	;;#ASMEND
	ds_read_b128 v[76:79], v41 offset:32
	;; [unrolled: 15-line block ×7, first 2 shown]
	ds_read_b128 v[80:83], v42 offset:240
	s_waitcnt lgkmcnt(0)
	;;#ASMSTART
	v_dot2_f32_f16 v2, v76, v80, v2
	;;#ASMEND
	;;#ASMSTART
	v_dot2_f32_f16 v2, v77, v81, v2
	;;#ASMEND
	;; [unrolled: 3-line block ×4, first 2 shown]
	v_cmp_nlt_f32_e64 s[16:17], |v2|, s40
                                        ; implicit-def: $vgpr76
	s_and_saveexec_b64 s[48:49], s[16:17]
	s_xor_b64 s[16:17], exec, s[48:49]
	s_cbranch_execnz .LBB91_14
; %bb.11:                               ;   in Loop: Header=BB91_10 Depth=1
	s_andn2_saveexec_b64 s[16:17], s[16:17]
	s_cbranch_execnz .LBB91_15
.LBB91_12:                              ;   in Loop: Header=BB91_10 Depth=1
	s_or_b64 exec, exec, s[16:17]
	s_andn2_b64 vcc, exec, s[10:11]
	s_cbranch_vccnz .LBB91_16
.LBB91_13:                              ;   in Loop: Header=BB91_10 Depth=1
	v_add_u32_e32 v78, s20, v8
	v_ashrrev_i32_e32 v79, 31, v78
	v_lshlrev_b64 v[78:79], 1, v[78:79]
	v_mov_b32_e32 v75, s45
	v_add_co_u32_e32 v78, vcc, s44, v78
	v_addc_co_u32_e32 v79, vcc, v75, v79, vcc
	flat_load_ushort v75, v[78:79]
	s_waitcnt vmcnt(0) lgkmcnt(0)
	v_cvt_f32_f16_e32 v75, v75
	v_mul_f32_e32 v75, v30, v75
	s_branch .LBB91_17
.LBB91_14:                              ;   in Loop: Header=BB91_10 Depth=1
	v_add_f32_e64 v75, |v2|, |v2|
	v_mul_f32_e32 v76, 0x3fb8aa3b, v75
	v_rndne_f32_e32 v77, v76
	v_sub_f32_e32 v78, v76, v77
	v_fma_f32 v76, v75, s41, -v76
	v_fmac_f32_e32 v76, 0x32a5705f, v75
	v_add_f32_e32 v76, v78, v76
	v_cvt_i32_f32_e32 v77, v77
	v_exp_f32_e32 v76, v76
	v_cmp_ngt_f32_e32 vcc, s42, v75
	v_ldexp_f32 v76, v76, v77
	v_cndmask_b32_e32 v76, 0, v76, vcc
	v_cmp_nlt_f32_e32 vcc, s43, v75
	v_cndmask_b32_e32 v75, v73, v76, vcc
	v_add_f32_e32 v75, 1.0, v75
	v_rcp_f32_e32 v75, v75
	v_fma_f32 v76, v75, -2.0, 1.0
	s_andn2_saveexec_b64 s[16:17], s[16:17]
	s_cbranch_execz .LBB91_12
.LBB91_15:                              ;   in Loop: Header=BB91_10 Depth=1
	v_mul_f32_e32 v75, v2, v2
	v_mov_b32_e32 v76, 0x3ca908c9
	v_fmac_f32_e32 v76, 0xbbbac73d, v75
	v_fma_f32 v76, v75, v76, v53
	v_fma_f32 v76, v75, v76, v54
	;; [unrolled: 1-line block ×3, first 2 shown]
	v_mul_f32_e64 v76, |v2|, v76
	v_fma_f32 v76, v75, v76, |v2|
	s_or_b64 exec, exec, s[16:17]
	s_andn2_b64 vcc, exec, s[10:11]
	s_cbranch_vccz .LBB91_13
.LBB91_16:                              ;   in Loop: Header=BB91_10 Depth=1
	v_mov_b32_e32 v75, 0
.LBB91_17:                              ;   in Loop: Header=BB91_10 Depth=1
	v_bfi_b32 v2, s46, v76, v2
	v_fmac_f32_e32 v75, s23, v2
	v_add_f32_e32 v2, 0x40051340, v75
	v_max_f32_e32 v76, v74, v74
	v_max_f32_e32 v2, v76, v2
	v_and_b32_e32 v76, 0x60, v56
	v_add_u32_e32 v78, 32, v76
	v_xor_b32_e32 v76, 16, v56
	v_cmp_lt_i32_e32 vcc, v76, v78
	v_cndmask_b32_e32 v76, v56, v76, vcc
	v_lshlrev_b32_e32 v76, 2, v76
	ds_bpermute_b32 v76, v76, v2
	s_waitcnt lgkmcnt(0)
	v_max_f32_e32 v76, v76, v76
	v_max_f32_e32 v2, v2, v76
	v_xor_b32_e32 v76, 8, v56
	v_cmp_lt_i32_e32 vcc, v76, v78
	v_cndmask_b32_e32 v76, v56, v76, vcc
	v_lshlrev_b32_e32 v76, 2, v76
	ds_bpermute_b32 v76, v76, v2
	s_waitcnt lgkmcnt(0)
	v_max_f32_e32 v76, v76, v76
	v_max_f32_e32 v2, v2, v76
	;; [unrolled: 8-line block ×4, first 2 shown]
	v_xor_b32_e32 v76, 1, v56
	v_cmp_lt_i32_e32 vcc, v76, v78
	v_cndmask_b32_e32 v78, v56, v76, vcc
	v_lshlrev_b32_e32 v78, 2, v78
	ds_bpermute_b32 v78, v78, v77
	s_and_saveexec_b64 s[16:17], s[6:7]
	s_cbranch_execz .LBB91_19
; %bb.18:                               ;   in Loop: Header=BB91_10 Depth=1
	s_waitcnt lgkmcnt(0)
	v_max_f32_e32 v78, v78, v78
	v_max_f32_e32 v77, v77, v77
	;; [unrolled: 1-line block ×3, first 2 shown]
	ds_write_b32 v43, v77
.LBB91_19:                              ;   in Loop: Header=BB91_10 Depth=1
	s_or_b64 exec, exec, s[16:17]
	s_mul_hi_i32 s17, s20, s8
	s_mul_i32 s16, s20, s8
	s_lshl_b64 s[16:17], s[16:17], 2
	s_add_u32 s16, s18, s16
	s_addc_u32 s17, s19, s17
	v_mov_b32_e32 v77, s17
	s_waitcnt lgkmcnt(0)
	v_add_co_u32_e32 v78, vcc, s16, v18
	v_addc_co_u32_e32 v77, vcc, v77, v19, vcc
	v_add_co_u32_e32 v86, vcc, v78, v57
	v_addc_co_u32_e32 v87, vcc, 0, v77, vcc
	v_mov_b32_e32 v77, s17
	v_add_co_u32_e32 v78, vcc, s16, v20
	v_addc_co_u32_e32 v77, vcc, v77, v21, vcc
	v_add_co_u32_e32 v88, vcc, v78, v57
	v_addc_co_u32_e32 v89, vcc, 0, v77, vcc
	s_barrier
	global_load_dwordx4 v[78:81], v[86:87], off
	global_load_dwordx4 v[82:85], v[88:89], off
	v_mov_b32_e32 v77, s17
	v_add_co_u32_e32 v86, vcc, s16, v22
	v_addc_co_u32_e32 v77, vcc, v77, v23, vcc
	v_add_co_u32_e32 v94, vcc, v86, v57
	v_addc_co_u32_e32 v95, vcc, 0, v77, vcc
	v_mov_b32_e32 v77, s17
	v_add_co_u32_e32 v86, vcc, s16, v24
	v_addc_co_u32_e32 v77, vcc, v77, v25, vcc
	v_add_co_u32_e32 v96, vcc, v86, v57
	v_addc_co_u32_e32 v97, vcc, 0, v77, vcc
	global_load_dwordx4 v[86:89], v[94:95], off
	global_load_dwordx4 v[90:93], v[96:97], off
	ds_read_b32 v77, v44
	v_and_b32_e32 v94, 0x7c, v56
	v_add_u32_e32 v94, 4, v94
	v_cmp_lt_i32_e32 vcc, v2, v94
	v_cndmask_b32_e32 v2, v56, v2, vcc
	v_lshlrev_b32_e32 v2, 2, v2
	s_waitcnt lgkmcnt(0)
	ds_bpermute_b32 v2, v2, v77
	v_cmp_lt_i32_e32 vcc, v76, v94
	v_max_f32_e32 v77, v77, v77
	v_cndmask_b32_e32 v76, v56, v76, vcc
	v_lshlrev_b32_e32 v76, 2, v76
	s_waitcnt lgkmcnt(0)
	v_max_f32_e32 v2, v2, v2
	v_max_f32_e32 v2, v77, v2
	ds_bpermute_b32 v76, v76, v2
	s_or_b32 s16, s20, 64
	s_mul_hi_i32 s17, s16, s8
	s_mul_i32 s16, s16, s8
	s_lshl_b64 s[16:17], s[16:17], 2
	s_waitcnt lgkmcnt(0)
	v_max_f32_e32 v76, v76, v76
	v_max_f32_e32 v2, v2, v76
	v_sub_f32_e32 v75, v75, v2
	v_mul_f32_e32 v76, 0x3fb8aa3b, v75
	v_fma_f32 v77, v75, s41, -v76
	v_rndne_f32_e32 v94, v76
	v_fmac_f32_e32 v77, 0x32a5705f, v75
	v_sub_f32_e32 v76, v76, v94
	v_add_f32_e32 v76, v76, v77
	v_cvt_i32_f32_e32 v94, v94
	v_exp_f32_e32 v76, v76
	v_cmp_ngt_f32_e32 vcc, s42, v75
	s_add_u32 s16, s18, s16
	s_addc_u32 s17, s19, s17
	v_ldexp_f32 v76, v76, v94
	v_cndmask_b32_e32 v76, 0, v76, vcc
	v_cmp_nlt_f32_e32 vcc, s43, v75
	v_cndmask_b32_e32 v75, v73, v76, vcc
	v_cvt_f16_f32_e32 v76, v75
	v_add_co_u32_e32 v77, vcc, s16, v18
	v_add_u32_e32 v124, v29, v50
	v_sub_f32_e32 v74, v74, v2
	v_mul_f32_e32 v141, 0x3fb8aa3b, v74
	v_fma_f32 v142, v74, s41, -v141
	v_rndne_f32_e32 v143, v141
	v_fmac_f32_e32 v142, 0x32a5705f, v74
	v_sub_f32_e32 v141, v141, v143
	v_add_f32_e32 v141, v141, v142
	v_exp_f32_e32 v141, v141
	v_cvt_i32_f32_e32 v142, v143
	ds_write_b16 v45, v76
	s_waitcnt vmcnt(3)
	ds_write_b128 v46, v[78:81]
	s_waitcnt vmcnt(2)
	ds_write_b128 v47, v[82:85]
	;; [unrolled: 2-line block ×4, first 2 shown]
	v_mov_b32_e32 v76, s17
	v_addc_co_u32_e32 v78, vcc, v76, v19, vcc
	v_add_co_u32_e32 v76, vcc, v77, v57
	v_addc_co_u32_e32 v77, vcc, 0, v78, vcc
	v_mov_b32_e32 v78, s17
	v_add_co_u32_e32 v79, vcc, s16, v20
	v_addc_co_u32_e32 v78, vcc, v78, v21, vcc
	v_add_co_u32_e32 v80, vcc, v79, v57
	v_addc_co_u32_e32 v81, vcc, 0, v78, vcc
	v_mov_b32_e32 v84, s17
	v_add_co_u32_e32 v85, vcc, s16, v22
	;; [unrolled: 5-line block ×3, first 2 shown]
	v_addc_co_u32_e32 v86, vcc, v86, v25, vcc
	v_add_co_u32_e32 v88, vcc, v87, v57
	v_addc_co_u32_e32 v89, vcc, 0, v86, vcc
	s_waitcnt lgkmcnt(0)
	s_barrier
	ds_read_u16 v125, v51
	ds_read_u16 v126, v51 offset:8
	ds_read_u16 v127, v51 offset:16
	;; [unrolled: 1-line block ×7, first 2 shown]
	ds_read_b64 v[92:93], v124
	ds_read_b64 v[94:95], v58
	;; [unrolled: 1-line block ×16, first 2 shown]
	ds_read_u16 v133, v51 offset:64
	ds_read_u16 v134, v51 offset:72
	;; [unrolled: 1-line block ×8, first 2 shown]
	s_waitcnt lgkmcnt(0)
	s_barrier
	global_load_dwordx4 v[76:79], v[76:77], off
	s_nop 0
	global_load_dwordx4 v[80:83], v[80:81], off
	s_nop 0
	global_load_dwordx4 v[84:87], v[84:85], off
	s_nop 0
	global_load_dwordx4 v[88:91], v[88:89], off
	v_ldexp_f32 v141, v141, v142
	v_cmp_ngt_f32_e32 vcc, s42, v74
	v_cndmask_b32_e32 v141, 0, v141, vcc
	v_cmp_nlt_f32_e32 vcc, s43, v74
	v_cndmask_b32_e32 v74, v73, v141, vcc
	v_cvt_f16_f32_e32 v141, v74
	v_fma_f32 v9, v9, v74, v75
	v_pk_mul_f16 v74, v92, v125 op_sel_hi:[1,0]
	s_waitcnt vmcnt(3)
	ds_write_b128 v46, v[76:79]
	s_waitcnt vmcnt(2)
	ds_write_b128 v47, v[80:83]
	;; [unrolled: 2-line block ×4, first 2 shown]
	v_pk_fma_f16 v0, v0, v141, v74 op_sel_hi:[1,0,1]
	v_pk_mul_f16 v74, v93, v125 op_sel_hi:[1,0]
	v_pk_fma_f16 v1, v1, v141, v74 op_sel_hi:[1,0,1]
	v_pk_fma_f16 v0, v94, v126, v0 op_sel_hi:[1,0,1]
	v_pk_fma_f16 v1, v95, v126, v1 op_sel_hi:[1,0,1]
	v_pk_fma_f16 v0, v96, v127, v0 op_sel_hi:[1,0,1]
	v_pk_fma_f16 v1, v97, v127, v1 op_sel_hi:[1,0,1]
	v_pk_fma_f16 v0, v98, v128, v0 op_sel_hi:[1,0,1]
	v_pk_fma_f16 v1, v99, v128, v1 op_sel_hi:[1,0,1]
	v_pk_fma_f16 v0, v100, v129, v0 op_sel_hi:[1,0,1]
	v_pk_fma_f16 v1, v101, v129, v1 op_sel_hi:[1,0,1]
	v_pk_fma_f16 v0, v102, v130, v0 op_sel_hi:[1,0,1]
	v_pk_fma_f16 v1, v103, v130, v1 op_sel_hi:[1,0,1]
	v_pk_fma_f16 v0, v104, v131, v0 op_sel_hi:[1,0,1]
	v_pk_fma_f16 v1, v105, v131, v1 op_sel_hi:[1,0,1]
	v_pk_fma_f16 v0, v106, v132, v0 op_sel_hi:[1,0,1]
	v_pk_fma_f16 v1, v107, v132, v1 op_sel_hi:[1,0,1]
	v_pk_fma_f16 v0, v108, v133, v0 op_sel_hi:[1,0,1]
	v_pk_fma_f16 v1, v109, v133, v1 op_sel_hi:[1,0,1]
	v_pk_fma_f16 v0, v110, v134, v0 op_sel_hi:[1,0,1]
	v_pk_fma_f16 v1, v111, v134, v1 op_sel_hi:[1,0,1]
	v_pk_fma_f16 v0, v112, v135, v0 op_sel_hi:[1,0,1]
	v_pk_fma_f16 v1, v113, v135, v1 op_sel_hi:[1,0,1]
	v_pk_fma_f16 v0, v114, v136, v0 op_sel_hi:[1,0,1]
	v_pk_fma_f16 v1, v115, v136, v1 op_sel_hi:[1,0,1]
	v_pk_fma_f16 v0, v116, v137, v0 op_sel_hi:[1,0,1]
	v_pk_fma_f16 v1, v117, v137, v1 op_sel_hi:[1,0,1]
	v_pk_fma_f16 v0, v118, v138, v0 op_sel_hi:[1,0,1]
	v_pk_fma_f16 v1, v119, v138, v1 op_sel_hi:[1,0,1]
	v_pk_fma_f16 v0, v120, v139, v0 op_sel_hi:[1,0,1]
	v_pk_fma_f16 v1, v121, v139, v1 op_sel_hi:[1,0,1]
	v_pk_fma_f16 v92, v122, v140, v0 op_sel_hi:[1,0,1]
	v_pk_fma_f16 v93, v123, v140, v1 op_sel_hi:[1,0,1]
	s_waitcnt lgkmcnt(0)
	s_barrier
	ds_read_b64 v[0:1], v124
	ds_read_u16 v80, v51 offset:128
	ds_read_u16 v81, v51 offset:136
	;; [unrolled: 1-line block ×8, first 2 shown]
	ds_read_b64 v[74:75], v58
	ds_read_b64 v[76:77], v59
	;; [unrolled: 1-line block ×3, first 2 shown]
	s_waitcnt lgkmcnt(10)
	v_pk_fma_f16 v0, v0, v80, v92 op_sel_hi:[1,0,1]
	v_pk_fma_f16 v1, v1, v80, v93 op_sel_hi:[1,0,1]
	s_waitcnt lgkmcnt(2)
	v_pk_fma_f16 v0, v74, v81, v0 op_sel_hi:[1,0,1]
	v_pk_fma_f16 v1, v75, v81, v1 op_sel_hi:[1,0,1]
	;; [unrolled: 3-line block ×3, first 2 shown]
	s_waitcnt lgkmcnt(0)
	v_pk_fma_f16 v80, v78, v83, v0 op_sel_hi:[1,0,1]
	ds_read_b64 v[0:1], v61
	v_pk_fma_f16 v81, v79, v83, v74 op_sel_hi:[1,0,1]
	ds_read_b64 v[74:75], v62
	ds_read_b64 v[76:77], v63
	;; [unrolled: 1-line block ×3, first 2 shown]
	s_waitcnt lgkmcnt(3)
	v_pk_fma_f16 v0, v0, v84, v80 op_sel_hi:[1,0,1]
	v_pk_fma_f16 v1, v1, v84, v81 op_sel_hi:[1,0,1]
	s_waitcnt lgkmcnt(2)
	v_pk_fma_f16 v0, v74, v85, v0 op_sel_hi:[1,0,1]
	v_pk_fma_f16 v1, v75, v85, v1 op_sel_hi:[1,0,1]
	;; [unrolled: 3-line block ×4, first 2 shown]
	ds_read_b64 v[0:1], v65
	ds_read_b64 v[74:75], v66
	;; [unrolled: 1-line block ×4, first 2 shown]
	ds_read_u16 v82, v51 offset:192
	ds_read_u16 v83, v51 offset:200
	;; [unrolled: 1-line block ×8, first 2 shown]
	s_waitcnt lgkmcnt(7)
	v_pk_fma_f16 v0, v0, v82, v80 op_sel_hi:[1,0,1]
	v_pk_fma_f16 v1, v1, v82, v81 op_sel_hi:[1,0,1]
	s_waitcnt lgkmcnt(6)
	v_pk_fma_f16 v0, v74, v83, v0 op_sel_hi:[1,0,1]
	v_pk_fma_f16 v1, v75, v83, v1 op_sel_hi:[1,0,1]
	s_waitcnt lgkmcnt(5)
	v_pk_fma_f16 v0, v76, v84, v0 op_sel_hi:[1,0,1]
	v_pk_fma_f16 v74, v77, v84, v1 op_sel_hi:[1,0,1]
	s_waitcnt lgkmcnt(4)
	v_pk_fma_f16 v80, v78, v85, v0 op_sel_hi:[1,0,1]
	ds_read_b64 v[0:1], v69
	v_pk_fma_f16 v81, v79, v85, v74 op_sel_hi:[1,0,1]
	ds_read_b64 v[74:75], v70
	ds_read_b64 v[76:77], v71
	;; [unrolled: 1-line block ×3, first 2 shown]
	s_waitcnt lgkmcnt(0)
	s_barrier
	s_load_dword s16, s[12:13], 0x4
	v_pk_fma_f16 v0, v0, v86, v80 op_sel_hi:[1,0,1]
	v_pk_fma_f16 v1, v1, v86, v81 op_sel_hi:[1,0,1]
	;; [unrolled: 1-line block ×4, first 2 shown]
	s_waitcnt lgkmcnt(0)
	s_lshl_b32 s16, s16, 7
	v_pk_fma_f16 v0, v76, v88, v0 op_sel_hi:[1,0,1]
	v_pk_fma_f16 v1, v77, v88, v1 op_sel_hi:[1,0,1]
	s_add_i32 s20, s16, s20
	v_pk_fma_f16 v0, v78, v89, v0 op_sel_hi:[1,0,1]
	s_cmp_lt_i32 s20, s21
	v_pk_fma_f16 v1, v79, v89, v1 op_sel_hi:[1,0,1]
	s_cbranch_scc0 .LBB91_22
; %bb.20:                               ;   in Loop: Header=BB91_10 Depth=1
	v_mov_b32_e32 v74, v2
	s_branch .LBB91_10
.LBB91_21:
	v_mov_b32_e32 v2, 0xfeffffff
	v_mov_b32_e32 v9, 0
	v_mov_b32_e32 v0, 0
.LBB91_22:
	s_cmp_gt_i32 s14, s20
	s_cbranch_scc1 .LBB91_24
; %bb.23:
	v_mbcnt_hi_u32_b32 v8, -1, v34
	v_and_b32_e32 v10, 0x60, v8
	v_add_u32_e32 v10, 32, v10
	v_xor_b32_e32 v11, 16, v8
	v_xor_b32_e32 v12, 8, v8
	;; [unrolled: 1-line block ×5, first 2 shown]
	v_and_b32_e32 v16, 3, v5
	s_cbranch_execz .LBB91_25
	s_branch .LBB91_37
.LBB91_24:
                                        ; implicit-def: $vgpr8
                                        ; implicit-def: $vgpr10
                                        ; implicit-def: $vgpr11
                                        ; implicit-def: $vgpr12
                                        ; implicit-def: $vgpr13
                                        ; implicit-def: $vgpr14
                                        ; implicit-def: $vgpr15
                                        ; implicit-def: $vgpr16
.LBB91_25:
	s_mul_hi_i32 s7, s20, s15
	s_mul_i32 s6, s20, s15
	v_lshl_add_u32 v8, v5, 2, v36
	s_sub_i32 s16, s14, s20
	s_lshl_b64 s[6:7], s[6:7], 2
	v_mul_lo_u32 v14, s15, v8
	s_add_u32 s14, s26, s6
	v_ashrrev_i32_e32 v15, 31, v14
	s_addc_u32 s17, s27, s7
	v_lshlrev_b64 v[10:11], 2, v[14:15]
	v_mov_b32_e32 v12, s17
	v_add_co_u32_e32 v10, vcc, s14, v10
	v_lshlrev_b32_e32 v6, 2, v6
	v_addc_co_u32_e32 v11, vcc, v12, v11, vcc
	v_add_co_u32_e32 v18, vcc, v10, v6
	s_mov_b64 s[6:7], src_private_base
	v_addc_co_u32_e32 v19, vcc, 0, v11, vcc
	v_mov_b32_e32 v20, 0
	v_mov_b32_e32 v21, s7
	v_cmp_gt_i32_e32 vcc, s16, v8
	v_mov_b32_e32 v22, 0
	buffer_store_dword v20, off, s[0:3], 0
	buffer_store_dword v20, off, s[0:3], 0 offset:8
	buffer_store_dword v20, off, s[0:3], 0 offset:4
	;; [unrolled: 1-line block ×3, first 2 shown]
	v_cndmask_b32_e32 v11, v21, v19, vcc
	v_cndmask_b32_e32 v10, v22, v18, vcc
	flat_load_dwordx4 v[10:13], v[10:11]
	s_lshl_b32 s15, s15, 5
	v_add_u32_e32 v14, s15, v14
	v_ashrrev_i32_e32 v15, 31, v14
	s_movk_i32 s6, 0x90
	v_lshlrev_b64 v[16:17], 2, v[14:15]
	v_mad_u32_u24 v23, v8, s6, v6
	v_mov_b32_e32 v25, s17
	v_add_co_u32_e64 v15, s[6:7], s14, v16
	v_addc_co_u32_e64 v16, s[6:7], v25, v17, s[6:7]
	v_add_co_u32_e64 v25, s[6:7], v15, v6
	v_add_u32_e32 v24, 32, v8
	v_addc_co_u32_e64 v36, s[6:7], 0, v16, s[6:7]
	v_cmp_gt_i32_e64 s[6:7], s16, v24
	buffer_store_dword v20, off, s[0:3], 0
	buffer_store_dword v20, off, s[0:3], 0 offset:8
	buffer_store_dword v20, off, s[0:3], 0 offset:4
	;; [unrolled: 1-line block ×3, first 2 shown]
	v_cndmask_b32_e64 v17, v21, v36, s[6:7]
	v_cndmask_b32_e64 v16, v22, v25, s[6:7]
	v_add_u32_e32 v14, s15, v14
	v_ashrrev_i32_e32 v15, 31, v14
	v_mov_b32_e32 v37, s17
	v_add_u32_e32 v24, 64, v8
	v_cmp_gt_i32_e64 s[12:13], s16, v24
	v_add_u32_e32 v8, 0x60, v8
	v_and_b32_e32 v35, 0xff00, v35
	s_waitcnt vmcnt(0) lgkmcnt(0)
	ds_write_b128 v23, v[10:13]
	flat_load_dwordx4 v[10:13], v[16:17]
	v_lshlrev_b64 v[16:17], 2, v[14:15]
	v_add_co_u32_e64 v15, s[10:11], s14, v16
	v_addc_co_u32_e64 v16, s[10:11], v37, v17, s[10:11]
	v_add_co_u32_e64 v37, s[10:11], v15, v6
	v_addc_co_u32_e64 v38, s[10:11], 0, v16, s[10:11]
	v_cndmask_b32_e64 v17, v21, v38, s[12:13]
	v_cndmask_b32_e64 v16, v22, v37, s[12:13]
	buffer_store_dword v20, off, s[0:3], 0
	buffer_store_dword v20, off, s[0:3], 0 offset:8
	buffer_store_dword v20, off, s[0:3], 0 offset:4
	buffer_store_dword v20, off, s[0:3], 0 offset:12
	v_add_u32_e32 v14, s15, v14
	v_ashrrev_i32_e32 v15, 31, v14
	v_lshlrev_b64 v[14:15], 2, v[14:15]
	v_add_co_u32_e64 v14, s[10:11], s14, v14
	s_waitcnt vmcnt(0) lgkmcnt(0)
	ds_write_b128 v23, v[10:13] offset:4608
	flat_load_dwordx4 v[10:13], v[16:17]
	v_mov_b32_e32 v16, s17
	v_addc_co_u32_e64 v15, s[10:11], v16, v15, s[10:11]
	v_add_co_u32_e64 v24, s[10:11], v14, v6
	v_addc_co_u32_e64 v39, s[10:11], 0, v15, s[10:11]
	v_cmp_gt_i32_e64 s[10:11], s16, v8
	v_cndmask_b32_e64 v15, v21, v39, s[10:11]
	v_cndmask_b32_e64 v14, v22, v24, s[10:11]
	buffer_store_dword v20, off, s[0:3], 0
	buffer_store_dword v20, off, s[0:3], 0 offset:8
	buffer_store_dword v20, off, s[0:3], 0 offset:4
	;; [unrolled: 1-line block ×3, first 2 shown]
	v_and_b32_e32 v6, 0x60, v32
	v_add_u32_e32 v6, v6, v7
	v_mul_u32_u24_e32 v40, 0x90, v6
	v_mov_b32_e32 v8, 0
	s_movk_i32 s17, 0x80
	v_add_co_u32_e64 v18, s[14:15], s17, v18
	v_addc_co_u32_e64 v19, s[14:15], 0, v19, s[14:15]
	v_cndmask_b32_e32 v18, v22, v18, vcc
	v_cndmask_b32_e32 v19, v21, v19, vcc
	s_waitcnt vmcnt(0) lgkmcnt(0)
	ds_write_b128 v23, v[10:13] offset:9216
	flat_load_dwordx4 v[10:13], v[14:15]
	s_waitcnt vmcnt(0) lgkmcnt(0)
	ds_write_b128 v23, v[10:13] offset:13824
	s_waitcnt lgkmcnt(0)
	s_barrier
	ds_read_b128 v[10:13], v40
	ds_read_b128 v[14:17], v35 offset:18944
	s_waitcnt lgkmcnt(0)
	;;#ASMSTART
	v_dot2_f32_f16 v8, v10, v14, v8
	;;#ASMEND
	;;#ASMSTART
	v_dot2_f32_f16 v8, v11, v15, v8
	;;#ASMEND
	;;#ASMSTART
	v_dot2_f32_f16 v8, v12, v16, v8
	;;#ASMEND
	;;#ASMSTART
	v_dot2_f32_f16 v8, v13, v17, v8
	;;#ASMEND
	ds_read_b128 v[10:13], v40 offset:16
	ds_read_b128 v[14:17], v35 offset:18960
	s_waitcnt lgkmcnt(0)
	;;#ASMSTART
	v_dot2_f32_f16 v8, v10, v14, v8
	;;#ASMEND
	;;#ASMSTART
	v_dot2_f32_f16 v8, v11, v15, v8
	;;#ASMEND
	;;#ASMSTART
	v_dot2_f32_f16 v8, v12, v16, v8
	;;#ASMEND
	;;#ASMSTART
	v_dot2_f32_f16 v8, v13, v17, v8
	;;#ASMEND
	ds_read_b128 v[10:13], v40 offset:32
	;; [unrolled: 15-line block ×7, first 2 shown]
	ds_read_b128 v[14:17], v35 offset:19056
	s_waitcnt lgkmcnt(0)
	;;#ASMSTART
	v_dot2_f32_f16 v8, v10, v14, v8
	;;#ASMEND
	;;#ASMSTART
	v_dot2_f32_f16 v8, v11, v15, v8
	;;#ASMEND
	;; [unrolled: 3-line block ×4, first 2 shown]
	s_barrier
	buffer_store_dword v20, off, s[0:3], 0
	buffer_store_dword v20, off, s[0:3], 0 offset:8
	buffer_store_dword v20, off, s[0:3], 0 offset:4
	buffer_store_dword v20, off, s[0:3], 0 offset:12
	flat_load_dwordx4 v[10:13], v[18:19]
	v_add_co_u32_e32 v14, vcc, s17, v25
	v_addc_co_u32_e32 v15, vcc, 0, v36, vcc
	v_cndmask_b32_e64 v15, v21, v15, s[6:7]
	v_cndmask_b32_e64 v14, v22, v14, s[6:7]
	buffer_store_dword v20, off, s[0:3], 0
	buffer_store_dword v20, off, s[0:3], 0 offset:8
	buffer_store_dword v20, off, s[0:3], 0 offset:4
	buffer_store_dword v20, off, s[0:3], 0 offset:12
	s_mov_b32 s6, 0x3f200000
	s_waitcnt vmcnt(0) lgkmcnt(0)
	ds_write_b128 v23, v[10:13]
	flat_load_dwordx4 v[10:13], v[14:15]
	v_add_co_u32_e32 v14, vcc, s17, v37
	v_addc_co_u32_e32 v15, vcc, 0, v38, vcc
	v_cndmask_b32_e64 v15, v21, v15, s[12:13]
	v_cndmask_b32_e64 v14, v22, v14, s[12:13]
	buffer_store_dword v20, off, s[0:3], 0
	buffer_store_dword v20, off, s[0:3], 0 offset:8
	buffer_store_dword v20, off, s[0:3], 0 offset:4
	;; [unrolled: 1-line block ×3, first 2 shown]
	s_waitcnt vmcnt(0) lgkmcnt(0)
	ds_write_b128 v23, v[10:13] offset:4608
	flat_load_dwordx4 v[10:13], v[14:15]
	v_add_co_u32_e32 v14, vcc, s17, v24
	v_addc_co_u32_e32 v15, vcc, 0, v39, vcc
	v_cndmask_b32_e64 v15, v21, v15, s[10:11]
	v_cndmask_b32_e64 v14, v22, v14, s[10:11]
	buffer_store_dword v20, off, s[0:3], 0
	buffer_store_dword v20, off, s[0:3], 0 offset:8
	buffer_store_dword v20, off, s[0:3], 0 offset:4
	;; [unrolled: 1-line block ×3, first 2 shown]
	s_waitcnt vmcnt(0) lgkmcnt(0)
	ds_write_b128 v23, v[10:13] offset:9216
	flat_load_dwordx4 v[10:13], v[14:15]
	s_waitcnt vmcnt(0) lgkmcnt(0)
	ds_write_b128 v23, v[10:13] offset:13824
	s_waitcnt lgkmcnt(0)
	s_barrier
	ds_read_b128 v[10:13], v40
	ds_read_b128 v[14:17], v35 offset:19072
	s_waitcnt lgkmcnt(0)
	;;#ASMSTART
	v_dot2_f32_f16 v8, v10, v14, v8
	;;#ASMEND
	;;#ASMSTART
	v_dot2_f32_f16 v8, v11, v15, v8
	;;#ASMEND
	;;#ASMSTART
	v_dot2_f32_f16 v8, v12, v16, v8
	;;#ASMEND
	;;#ASMSTART
	v_dot2_f32_f16 v8, v13, v17, v8
	;;#ASMEND
	ds_read_b128 v[10:13], v40 offset:16
	ds_read_b128 v[14:17], v35 offset:19088
	s_waitcnt lgkmcnt(0)
	;;#ASMSTART
	v_dot2_f32_f16 v8, v10, v14, v8
	;;#ASMEND
	;;#ASMSTART
	v_dot2_f32_f16 v8, v11, v15, v8
	;;#ASMEND
	;;#ASMSTART
	v_dot2_f32_f16 v8, v12, v16, v8
	;;#ASMEND
	;;#ASMSTART
	v_dot2_f32_f16 v8, v13, v17, v8
	;;#ASMEND
	ds_read_b128 v[10:13], v40 offset:32
	;; [unrolled: 15-line block ×7, first 2 shown]
	ds_read_b128 v[14:17], v35 offset:19184
	s_waitcnt lgkmcnt(0)
	;;#ASMSTART
	v_dot2_f32_f16 v8, v10, v14, v8
	;;#ASMEND
	;;#ASMSTART
	v_dot2_f32_f16 v8, v11, v15, v8
	;;#ASMEND
	;;#ASMSTART
	v_dot2_f32_f16 v8, v12, v16, v8
	;;#ASMEND
	;;#ASMSTART
	v_dot2_f32_f16 v8, v13, v17, v8
	;;#ASMEND
	v_cmp_nlt_f32_e64 s[6:7], |v8|, s6
                                        ; implicit-def: $vgpr10
	s_and_saveexec_b64 s[10:11], s[6:7]
	s_xor_b64 s[6:7], exec, s[10:11]
	s_cbranch_execz .LBB91_27
; %bb.26:
	v_add_f32_e64 v10, |v8|, |v8|
	v_mul_f32_e32 v11, 0x3fb8aa3b, v10
	s_mov_b32 s10, 0x3fb8aa3b
	v_rndne_f32_e32 v12, v11
	v_sub_f32_e32 v13, v11, v12
	v_fma_f32 v11, v10, s10, -v11
	v_fmac_f32_e32 v11, 0x32a5705f, v10
	v_add_f32_e32 v11, v13, v11
	v_exp_f32_e32 v11, v11
	v_cvt_i32_f32_e32 v12, v12
	s_mov_b32 s10, 0xc2ce8ed0
	v_cmp_ngt_f32_e32 vcc, s10, v10
	s_mov_b32 s10, 0x42b17218
	v_ldexp_f32 v11, v11, v12
	v_cndmask_b32_e32 v11, 0, v11, vcc
	v_mov_b32_e32 v12, 0x7f800000
	v_cmp_nlt_f32_e32 vcc, s10, v10
	v_cndmask_b32_e32 v10, v12, v11, vcc
	v_add_f32_e32 v10, 1.0, v10
	v_rcp_f32_e32 v10, v10
	v_fma_f32 v10, v10, -2.0, 1.0
.LBB91_27:
	s_andn2_saveexec_b64 s[6:7], s[6:7]
; %bb.28:
	v_mul_f32_e32 v10, v8, v8
	v_mov_b32_e32 v11, 0x3ca908c9
	v_fmac_f32_e32 v11, 0xbbbac73d, v10
	v_mov_b32_e32 v12, 0xbd5c1c4e
	v_fmac_f32_e32 v12, v10, v11
	;; [unrolled: 2-line block ×4, first 2 shown]
	v_mul_f32_e64 v11, |v8|, v12
	v_fma_f32 v10, v10, v11, |v8|
; %bb.29:
	s_or_b64 exec, exec, s[6:7]
	s_brev_b32 s6, -2
	v_bfi_b32 v8, s6, v10, v8
	v_mul_f32_e32 v16, s23, v8
	v_cmp_gt_i32_e32 vcc, s16, v6
	v_mov_b32_e32 v12, v2
	s_and_saveexec_b64 s[6:7], vcc
	s_cbranch_execz .LBB91_34
; %bb.30:
	s_cmp_eq_u64 s[44:45], 0
	s_cbranch_scc1 .LBB91_32
; %bb.31:
	v_mul_hi_u32 v8, s36, v27
	v_add_u32_e32 v8, v27, v8
	v_lshrrev_b32_e32 v8, s37, v8
	v_mul_lo_u32 v8, v8, s38
	v_sub_u32_e32 v8, v27, v8
	v_mul_lo_u32 v8, v8, s22
	v_add3_u32 v10, v8, v6, s20
	v_ashrrev_i32_e32 v11, 31, v10
	v_lshlrev_b64 v[10:11], 1, v[10:11]
	v_mov_b32_e32 v8, s45
	v_add_co_u32_e32 v10, vcc, s44, v10
	v_addc_co_u32_e32 v11, vcc, v8, v11, vcc
	flat_load_ushort v8, v[10:11]
	s_waitcnt vmcnt(0) lgkmcnt(0)
	v_cvt_f32_f16_e32 v8, v8
	v_mul_f32_e32 v8, v30, v8
	s_branch .LBB91_33
.LBB91_32:
	v_mov_b32_e32 v8, 0
.LBB91_33:
	v_add_f32_e32 v16, v16, v8
	v_add_f32_e32 v8, 0x40051340, v16
	v_max_f32_e32 v10, v2, v2
	v_max_f32_e32 v12, v10, v8
.LBB91_34:
	s_or_b64 exec, exec, s[6:7]
	v_mbcnt_hi_u32_b32 v8, -1, v34
	v_and_b32_e32 v10, 0x60, v8
	v_add_u32_e32 v10, 32, v10
	v_xor_b32_e32 v11, 16, v8
	v_cmp_lt_i32_e32 vcc, v11, v10
	v_cndmask_b32_e32 v13, v8, v11, vcc
	v_lshlrev_b32_e32 v13, 2, v13
	ds_bpermute_b32 v13, v13, v12
	v_max_f32_e32 v14, v12, v12
	v_xor_b32_e32 v12, 8, v8
	v_cmp_lt_i32_e32 vcc, v12, v10
	s_waitcnt lgkmcnt(0)
	v_max_f32_e32 v13, v13, v13
	v_max_f32_e32 v14, v14, v13
	v_cndmask_b32_e32 v13, v8, v12, vcc
	v_lshlrev_b32_e32 v13, 2, v13
	ds_bpermute_b32 v15, v13, v14
	v_xor_b32_e32 v13, 4, v8
	v_cmp_lt_i32_e32 vcc, v13, v10
	s_waitcnt lgkmcnt(0)
	v_max_f32_e32 v15, v15, v15
	v_max_f32_e32 v15, v14, v15
	v_cndmask_b32_e32 v14, v8, v13, vcc
	v_lshlrev_b32_e32 v14, 2, v14
	ds_bpermute_b32 v17, v14, v15
	;; [unrolled: 8-line block ×4, first 2 shown]
	v_cmp_eq_u32_e32 vcc, 0, v7
	s_and_saveexec_b64 s[6:7], vcc
	s_cbranch_execz .LBB91_36
; %bb.35:
	s_waitcnt lgkmcnt(0)
	v_max_f32_e32 v18, v18, v18
	v_max_f32_e32 v17, v17, v17
	;; [unrolled: 1-line block ×3, first 2 shown]
	ds_write_b32 v28, v17 offset:19488
.LBB91_36:
	s_or_b64 exec, exec, s[6:7]
	s_movk_i32 s6, 0x3fc
	v_and_or_b32 v17, v5, s6, v33
	v_lshlrev_b32_e32 v17, 2, v17
	s_waitcnt lgkmcnt(0)
	s_barrier
	ds_read_b32 v17, v17 offset:19488
	v_and_b32_e32 v18, 0x7c, v8
	v_add_u32_e32 v18, 4, v18
	v_cmp_lt_i32_e32 vcc, v14, v18
	v_cndmask_b32_e32 v19, v8, v14, vcc
	v_lshlrev_b32_e32 v19, 2, v19
	s_waitcnt lgkmcnt(0)
	ds_bpermute_b32 v19, v19, v17
	v_cmp_lt_i32_e32 vcc, v15, v18
	v_max_f32_e32 v17, v17, v17
	v_cndmask_b32_e32 v18, v8, v15, vcc
	v_lshlrev_b32_e32 v18, 2, v18
	s_waitcnt lgkmcnt(0)
	v_max_f32_e32 v19, v19, v19
	v_max_f32_e32 v17, v17, v19
	ds_bpermute_b32 v18, v18, v17
	s_mov_b32 s10, 0x3fb8aa3b
	s_mov_b32 s7, 0xc2ce8ed0
	;; [unrolled: 1-line block ×3, first 2 shown]
	v_mov_b32_e32 v63, 0x7f800000
	s_waitcnt lgkmcnt(0)
	v_max_f32_e32 v18, v18, v18
	v_max_f32_e32 v62, v17, v18
	v_sub_f32_e32 v16, v16, v62
	v_mul_f32_e32 v17, 0x3fb8aa3b, v16
	v_fma_f32 v18, v16, s10, -v17
	v_rndne_f32_e32 v19, v17
	v_fmac_f32_e32 v18, 0x32a5705f, v16
	v_sub_f32_e32 v17, v17, v19
	v_add_f32_e32 v17, v17, v18
	v_exp_f32_e32 v17, v17
	v_cvt_i32_f32_e32 v18, v19
	v_cmp_ngt_f32_e32 vcc, s7, v16
	s_mul_hi_i32 s15, s20, s8
	s_mul_i32 s14, s20, s8
	v_ldexp_f32 v17, v17, v18
	v_cndmask_b32_e32 v17, 0, v17, vcc
	v_cmp_nlt_f32_e32 vcc, s6, v16
	v_cndmask_b32_e32 v16, v63, v17, vcc
	v_cmp_gt_u32_e32 vcc, s16, v6
	v_cndmask_b32_e32 v64, 0, v16, vcc
	v_cvt_f16_f32_e32 v16, v64
	v_and_b32_e32 v17, 0x7f80, v32
	v_mov_b32_e32 v18, 0x4800
	v_lshl_add_u32 v32, v17, 1, v18
	v_lshl_add_u32 v6, v6, 1, v32
	ds_write_b16 v6, v16
	v_lshl_add_u32 v6, v5, 1, v31
	s_mov_b64 s[12:13], src_private_base
	v_mul_lo_u32 v20, s8, v6
	s_lshl_b32 s11, s8, 4
	s_lshl_b64 s[14:15], s[14:15], 2
	v_ashrrev_i32_e32 v21, 31, v20
	s_add_u32 s12, s18, s14
	s_addc_u32 s14, s19, s15
	v_lshlrev_b64 v[22:23], 2, v[20:21]
	v_mov_b32_e32 v16, s14
	v_add_co_u32_e32 v17, vcc, s12, v22
	v_lshlrev_b32_e32 v4, 2, v4
	v_addc_co_u32_e32 v16, vcc, v16, v23, vcc
	v_add_co_u32_e32 v18, vcc, v17, v4
	v_addc_co_u32_e32 v16, vcc, 0, v16, vcc
	v_mov_b32_e32 v65, 0
	v_mov_b32_e32 v66, s13
	v_cmp_gt_i32_e32 vcc, s16, v6
	v_mov_b32_e32 v67, 0
	buffer_store_dword v65, off, s[0:3], 0
	buffer_store_dword v65, off, s[0:3], 0 offset:8
	buffer_store_dword v65, off, s[0:3], 0 offset:4
	;; [unrolled: 1-line block ×3, first 2 shown]
	v_cndmask_b32_e32 v17, v66, v16, vcc
	v_cndmask_b32_e32 v16, v67, v18, vcc
	flat_load_dwordx4 v[16:19], v[16:17]
	v_add_u32_e32 v20, s11, v20
	v_ashrrev_i32_e32 v21, 31, v20
	v_lshlrev_b64 v[24:25], 2, v[20:21]
	v_mov_b32_e32 v21, s14
	v_add_co_u32_e32 v30, vcc, s12, v24
	v_addc_co_u32_e32 v21, vcc, v21, v25, vcc
	v_add_co_u32_e32 v30, vcc, v30, v4
	v_add_u32_e32 v69, 16, v6
	v_addc_co_u32_e32 v21, vcc, 0, v21, vcc
	v_lshl_or_b32 v68, v6, 8, v4
	v_cmp_gt_i32_e32 vcc, s16, v69
	v_cndmask_b32_e32 v31, v66, v21, vcc
	v_cndmask_b32_e32 v30, v67, v30, vcc
	buffer_store_dword v65, off, s[0:3], 0
	buffer_store_dword v65, off, s[0:3], 0 offset:8
	buffer_store_dword v65, off, s[0:3], 0 offset:4
	;; [unrolled: 1-line block ×3, first 2 shown]
	v_add_u32_e32 v20, s11, v20
	v_ashrrev_i32_e32 v21, 31, v20
	v_lshlrev_b64 v[58:59], 2, v[20:21]
	v_add_co_u32_e32 v21, vcc, s12, v58
	v_add_u32_e32 v70, 32, v6
	v_lshl_or_b32 v71, v69, 8, v4
	v_add_u32_e32 v20, s11, v20
	v_add_u32_e32 v72, 48, v6
	v_lshl_or_b32 v73, v70, 8, v4
	s_or_b32 s11, s20, 64
	s_mul_hi_i32 s13, s11, s8
	v_lshl_or_b32 v75, v72, 8, v4
	v_lshl_or_b32 v76, v3, 1, v32
	s_waitcnt vmcnt(0) lgkmcnt(0)
	ds_write_b128 v68, v[16:19]
	flat_load_dwordx4 v[16:19], v[30:31]
	v_mov_b32_e32 v30, s14
	v_addc_co_u32_e32 v30, vcc, v30, v59, vcc
	v_add_co_u32_e32 v21, vcc, v21, v4
	v_addc_co_u32_e32 v30, vcc, 0, v30, vcc
	v_cmp_gt_i32_e32 vcc, s16, v70
	v_cndmask_b32_e32 v31, v66, v30, vcc
	v_cndmask_b32_e32 v30, v67, v21, vcc
	buffer_store_dword v65, off, s[0:3], 0
	buffer_store_dword v65, off, s[0:3], 0 offset:8
	buffer_store_dword v65, off, s[0:3], 0 offset:4
	;; [unrolled: 1-line block ×3, first 2 shown]
	v_ashrrev_i32_e32 v21, 31, v20
	v_lshlrev_b64 v[60:61], 2, v[20:21]
	v_add_co_u32_e32 v20, vcc, s12, v60
	s_mul_i32 s12, s11, s8
	s_lshl_b64 s[12:13], s[12:13], 2
	s_add_u32 s8, s18, s12
	s_addc_u32 s11, s19, s13
	s_sub_i32 s12, s16, 64
	v_mov_b32_e32 v92, s11
	s_waitcnt vmcnt(0) lgkmcnt(0)
	ds_write_b128 v71, v[16:19]
	flat_load_dwordx4 v[16:19], v[30:31]
	v_mov_b32_e32 v30, s14
	v_addc_co_u32_e32 v21, vcc, v30, v61, vcc
	v_add_co_u32_e32 v20, vcc, v20, v4
	v_addc_co_u32_e32 v21, vcc, 0, v21, vcc
	v_cmp_gt_i32_e32 vcc, s16, v72
	v_cndmask_b32_e32 v21, v66, v21, vcc
	v_cndmask_b32_e32 v20, v67, v20, vcc
	buffer_store_dword v65, off, s[0:3], 0
	buffer_store_dword v65, off, s[0:3], 0 offset:8
	buffer_store_dword v65, off, s[0:3], 0 offset:4
	;; [unrolled: 1-line block ×3, first 2 shown]
	s_waitcnt vmcnt(0) lgkmcnt(0)
	ds_write_b128 v73, v[16:19]
	flat_load_dwordx4 v[16:19], v[20:21]
	v_lshlrev_b32_e32 v20, 8, v3
	v_lshl_add_u32 v74, v7, 3, v20
	v_mov_b32_e32 v20, s11
	v_add_co_u32_e32 v21, vcc, s8, v22
	v_addc_co_u32_e32 v20, vcc, v20, v23, vcc
	v_add_co_u32_e32 v21, vcc, v21, v4
	v_addc_co_u32_e32 v20, vcc, 0, v20, vcc
	v_cmp_gt_i32_e32 vcc, s12, v6
	v_cndmask_b32_e32 v55, v66, v20, vcc
	v_cndmask_b32_e32 v54, v67, v21, vcc
	v_add_co_u32_e32 v24, vcc, s8, v24
	v_addc_co_u32_e32 v25, vcc, v92, v25, vcc
	v_add_co_u32_e32 v24, vcc, v24, v4
	v_addc_co_u32_e32 v25, vcc, 0, v25, vcc
	v_cmp_gt_i32_e32 vcc, s12, v69
	v_cndmask_b32_e32 v25, v66, v25, vcc
	v_cndmask_b32_e32 v24, v67, v24, vcc
	s_waitcnt vmcnt(0) lgkmcnt(0)
	ds_write_b128 v75, v[16:19]
	s_waitcnt lgkmcnt(0)
	s_barrier
	ds_read2st64_b64 v[16:19], v74 offset1:2
	ds_read_u16 v6, v76
	ds_read_u16 v77, v76 offset:8
	ds_read_u16 v78, v76 offset:16
	;; [unrolled: 1-line block ×7, first 2 shown]
	ds_read2st64_b64 v[20:23], v74 offset0:4 offset1:6
	ds_read2st64_b64 v[30:33], v74 offset0:8 offset1:10
	ds_read2st64_b64 v[34:37], v74 offset0:12 offset1:14
	ds_read2st64_b64 v[38:41], v74 offset0:16 offset1:18
	ds_read2st64_b64 v[42:45], v74 offset0:20 offset1:22
	ds_read2st64_b64 v[46:49], v74 offset0:24 offset1:26
	ds_read2st64_b64 v[50:53], v74 offset0:28 offset1:30
	ds_read_u16 v84, v76 offset:64
	ds_read_u16 v85, v76 offset:72
	;; [unrolled: 1-line block ×8, first 2 shown]
	s_waitcnt lgkmcnt(0)
	s_barrier
	buffer_store_dword v65, off, s[0:3], 0
	buffer_store_dword v65, off, s[0:3], 0 offset:8
	buffer_store_dword v65, off, s[0:3], 0 offset:4
	;; [unrolled: 1-line block ×3, first 2 shown]
	flat_load_dwordx4 v[54:57], v[54:55]
	s_nop 0
	buffer_store_dword v65, off, s[0:3], 0
	buffer_store_dword v65, off, s[0:3], 0 offset:8
	buffer_store_dword v65, off, s[0:3], 0 offset:4
	;; [unrolled: 1-line block ×3, first 2 shown]
	s_waitcnt vmcnt(0) lgkmcnt(0)
	ds_write_b128 v68, v[54:57]
	flat_load_dwordx4 v[54:57], v[24:25]
	v_mov_b32_e32 v24, s11
	v_add_co_u32_e32 v25, vcc, s8, v58
	v_addc_co_u32_e32 v24, vcc, v24, v59, vcc
	v_add_co_u32_e32 v58, vcc, v25, v4
	v_addc_co_u32_e32 v24, vcc, 0, v24, vcc
	v_cmp_gt_i32_e32 vcc, s12, v70
	v_cndmask_b32_e32 v25, v66, v24, vcc
	v_cndmask_b32_e32 v24, v67, v58, vcc
	buffer_store_dword v65, off, s[0:3], 0
	buffer_store_dword v65, off, s[0:3], 0 offset:8
	buffer_store_dword v65, off, s[0:3], 0 offset:4
	;; [unrolled: 1-line block ×3, first 2 shown]
	s_waitcnt vmcnt(0) lgkmcnt(0)
	ds_write_b128 v71, v[54:57]
	flat_load_dwordx4 v[54:57], v[24:25]
	v_mov_b32_e32 v24, s11
	v_add_co_u32_e32 v25, vcc, s8, v60
	v_addc_co_u32_e32 v24, vcc, v24, v61, vcc
	v_add_co_u32_e32 v4, vcc, v25, v4
	v_addc_co_u32_e32 v24, vcc, 0, v24, vcc
	v_cmp_gt_i32_e32 vcc, s12, v72
	v_cndmask_b32_e32 v25, v66, v24, vcc
	v_cndmask_b32_e32 v24, v67, v4, vcc
	buffer_store_dword v65, off, s[0:3], 0
	buffer_store_dword v65, off, s[0:3], 0 offset:8
	buffer_store_dword v65, off, s[0:3], 0 offset:4
	;; [unrolled: 1-line block ×3, first 2 shown]
	v_sub_f32_e32 v4, v2, v62
	v_mul_f32_e32 v2, 0x3fb8aa3b, v4
	v_cmp_ngt_f32_e32 vcc, s7, v4
	s_waitcnt vmcnt(0) lgkmcnt(0)
	ds_write_b128 v73, v[54:57]
	flat_load_dwordx4 v[54:57], v[24:25]
	v_fma_f32 v24, v4, s10, -v2
	v_rndne_f32_e32 v25, v2
	v_fmac_f32_e32 v24, 0x32a5705f, v4
	v_sub_f32_e32 v2, v2, v25
	v_add_f32_e32 v2, v2, v24
	v_cvt_i32_f32_e32 v25, v25
	v_exp_f32_e32 v24, v2
	v_mov_b32_e32 v2, v62
	v_ldexp_f32 v24, v24, v25
	v_cndmask_b32_e32 v24, 0, v24, vcc
	v_cmp_nlt_f32_e32 vcc, s6, v4
	v_cndmask_b32_e32 v4, v63, v24, vcc
	v_cvt_f16_f32_e32 v24, v4
	v_fma_f32 v9, v9, v4, v64
	v_pk_mul_f16 v4, v16, v6 op_sel_hi:[1,0]
	v_pk_mul_f16 v6, v17, v6 op_sel_hi:[1,0]
	v_pk_fma_f16 v0, v0, v24, v4 op_sel_hi:[1,0,1]
	v_pk_fma_f16 v1, v1, v24, v6 op_sel_hi:[1,0,1]
	;; [unrolled: 1-line block ×32, first 2 shown]
	s_waitcnt vmcnt(0) lgkmcnt(0)
	ds_write_b128 v75, v[54:57]
	s_waitcnt lgkmcnt(0)
	s_barrier
	ds_read2st64_b64 v[16:19], v74 offset1:2
	ds_read_u16 v4, v76 offset:128
	ds_read_u16 v6, v76 offset:136
	;; [unrolled: 1-line block ×8, first 2 shown]
	ds_read2st64_b64 v[20:23], v74 offset0:4 offset1:6
	ds_read2st64_b64 v[30:33], v74 offset0:8 offset1:10
	;; [unrolled: 1-line block ×7, first 2 shown]
	ds_read_u16 v58, v76 offset:192
	ds_read_u16 v59, v76 offset:200
	;; [unrolled: 1-line block ×8, first 2 shown]
	s_waitcnt lgkmcnt(14)
	v_pk_fma_f16 v0, v16, v4, v0 op_sel_hi:[1,0,1]
	v_pk_fma_f16 v1, v17, v4, v1 op_sel_hi:[1,0,1]
	;; [unrolled: 1-line block ×8, first 2 shown]
	s_waitcnt lgkmcnt(13)
	v_pk_fma_f16 v0, v30, v54, v0 op_sel_hi:[1,0,1]
	v_pk_fma_f16 v1, v31, v54, v1 op_sel_hi:[1,0,1]
	;; [unrolled: 1-line block ×4, first 2 shown]
	s_waitcnt lgkmcnt(12)
	v_pk_fma_f16 v0, v34, v56, v0 op_sel_hi:[1,0,1]
	v_pk_fma_f16 v1, v35, v56, v1 op_sel_hi:[1,0,1]
	;; [unrolled: 1-line block ×4, first 2 shown]
	s_waitcnt lgkmcnt(7)
	v_pk_fma_f16 v0, v38, v58, v0 op_sel_hi:[1,0,1]
	v_pk_fma_f16 v1, v39, v58, v1 op_sel_hi:[1,0,1]
	s_waitcnt lgkmcnt(6)
	v_pk_fma_f16 v0, v40, v59, v0 op_sel_hi:[1,0,1]
	v_pk_fma_f16 v1, v41, v59, v1 op_sel_hi:[1,0,1]
	;; [unrolled: 3-line block ×8, first 2 shown]
	v_mov_b32_e32 v16, v3
	s_barrier
.LBB91_37:
	v_cmp_lt_i32_e32 vcc, v11, v10
	v_cndmask_b32_e32 v3, v8, v11, vcc
	v_lshlrev_b32_e32 v3, 2, v3
	ds_bpermute_b32 v3, v3, v9
	v_cmp_lt_i32_e32 vcc, v12, v10
	v_cndmask_b32_e32 v4, v8, v12, vcc
	v_lshlrev_b32_e32 v4, 2, v4
	v_cmp_lt_i32_e32 vcc, v13, v10
	s_waitcnt lgkmcnt(0)
	v_add_f32_e32 v3, v9, v3
	ds_bpermute_b32 v4, v4, v3
	v_cndmask_b32_e32 v6, v8, v13, vcc
	v_lshlrev_b32_e32 v6, 2, v6
	v_cmp_lt_i32_e32 vcc, v14, v10
	v_cmp_ne_u32_e64 s[6:7], 0, v16
	s_waitcnt lgkmcnt(0)
	v_add_f32_e32 v3, v3, v4
	ds_bpermute_b32 v4, v6, v3
	v_cndmask_b32_e32 v6, v8, v14, vcc
	v_lshlrev_b32_e32 v6, 2, v6
	v_cmp_lt_i32_e32 vcc, v15, v10
	s_waitcnt lgkmcnt(0)
	v_add_f32_e32 v3, v3, v4
	ds_bpermute_b32 v4, v6, v3
	v_cndmask_b32_e32 v6, v8, v15, vcc
	v_lshlrev_b32_e32 v6, 2, v6
	v_cmp_eq_u32_e32 vcc, 0, v16
	s_waitcnt lgkmcnt(0)
	v_add_f32_e32 v3, v3, v4
	ds_bpermute_b32 v4, v6, v3
	s_waitcnt lgkmcnt(0)
	v_add_f32_e32 v3, v3, v4
	s_and_saveexec_b64 s[10:11], s[6:7]
	s_xor_b64 s[10:11], exec, s[10:11]
	s_cbranch_execnz .LBB91_41
; %bb.38:
	s_andn2_saveexec_b64 s[6:7], s[10:11]
	s_cbranch_execnz .LBB91_44
.LBB91_39:
	s_or_b64 exec, exec, s[6:7]
	s_and_saveexec_b64 s[6:7], vcc
	s_cbranch_execnz .LBB91_45
.LBB91_40:
	s_endpgm
.LBB91_41:
	v_lshl_add_u32 v4, v5, 8, v29
	v_cmp_eq_u32_e64 s[6:7], 0, v7
	ds_write_b64 v4, v[0:1]
	s_and_saveexec_b64 s[12:13], s[6:7]
	s_cbranch_execz .LBB91_43
; %bb.42:
	ds_write_b32 v28, v3 offset:18944
.LBB91_43:
	s_or_b64 exec, exec, s[12:13]
                                        ; implicit-def: $vgpr5
                                        ; implicit-def: $vgpr28
	s_andn2_saveexec_b64 s[6:7], s[10:11]
	s_cbranch_execz .LBB91_39
.LBB91_44:
	v_lshlrev_b32_e32 v4, 8, v5
	v_lshl_add_u32 v6, v7, 3, v4
	s_waitcnt lgkmcnt(0)
	s_barrier
	ds_read2_b64 v[8:11], v6 offset0:32 offset1:64
	v_add_u32_e32 v4, 0x4a04, v28
	ds_read2_b32 v[4:5], v4 offset1:1
	s_waitcnt lgkmcnt(1)
	v_pk_add_f16 v8, v8, v0
	v_pk_add_f16 v9, v9, v1
	ds_read_b32 v12, v28 offset:18956
	ds_read_b64 v[0:1], v6 offset:768
	s_waitcnt lgkmcnt(2)
	v_add_f32_e32 v3, v3, v4
	v_pk_add_f16 v4, v10, v8
	v_pk_add_f16 v6, v11, v9
	v_add_f32_e32 v3, v3, v5
	s_waitcnt lgkmcnt(0)
	v_pk_add_f16 v0, v0, v4
	v_pk_add_f16 v1, v1, v6
	v_add_f32_e32 v3, v3, v12
	s_or_b64 exec, exec, s[6:7]
	s_and_saveexec_b64 s[6:7], vcc
	s_cbranch_execz .LBB91_40
.LBB91_45:
	s_cmp_eq_u64 s[24:25], 0
	s_cselect_b64 s[6:7], -1, 0
	s_cmp_lg_u32 s9, 0
	s_cselect_b64 s[10:11], -1, 0
	s_or_b64 s[6:7], s[10:11], s[6:7]
	s_and_b64 vcc, exec, s[6:7]
	s_cbranch_vccnz .LBB91_47
; %bb.46:
	s_lshl_b64 s[6:7], s[34:35], 2
	s_add_u32 s6, s24, s6
	s_addc_u32 s7, s25, s7
	v_mov_b32_e32 v4, 0
	global_load_dword v5, v4, s[6:7]
	v_max_f32_e32 v4, v2, v2
	s_mov_b32 s6, 0x3fb8aa3b
	s_mov_b32 s7, 0xc2ce8ed0
	s_waitcnt vmcnt(0)
	v_max_f32_e32 v6, v5, v5
	v_max_f32_e32 v4, v4, v6
	v_sub_f32_e32 v2, v2, v4
	v_sub_f32_e32 v5, v5, v4
	v_mul_f32_e32 v6, 0x3fb8aa3b, v2
	v_mul_f32_e32 v8, 0x3fb8aa3b, v5
	v_fma_f32 v9, v2, s6, -v6
	v_rndne_f32_e32 v10, v6
	v_fma_f32 v11, v5, s6, -v8
	v_rndne_f32_e32 v12, v8
	v_fmac_f32_e32 v9, 0x32a5705f, v2
	v_sub_f32_e32 v6, v6, v10
	v_fmac_f32_e32 v11, 0x32a5705f, v5
	v_sub_f32_e32 v8, v8, v12
	v_add_f32_e32 v6, v6, v9
	v_cvt_i32_f32_e32 v10, v10
	v_add_f32_e32 v8, v8, v11
	v_exp_f32_e32 v6, v6
	v_cvt_i32_f32_e32 v12, v12
	v_exp_f32_e32 v8, v8
	v_cmp_ngt_f32_e32 vcc, s7, v2
	v_ldexp_f32 v6, v6, v10
	s_mov_b32 s6, 0x42b17218
	v_ldexp_f32 v8, v8, v12
	v_cndmask_b32_e32 v6, 0, v6, vcc
	v_cmp_ngt_f32_e32 vcc, s7, v5
	v_mov_b32_e32 v9, 0x7f800000
	v_cndmask_b32_e32 v8, 0, v8, vcc
	v_cmp_nlt_f32_e32 vcc, s6, v2
	v_cndmask_b32_e32 v2, v9, v6, vcc
	v_cvt_f16_f32_e32 v6, v2
	v_cmp_nlt_f32_e32 vcc, s6, v5
	v_cndmask_b32_e32 v5, v9, v8, vcc
	v_fmac_f32_e32 v5, v3, v2
	v_pk_mul_f16 v0, v6, v0 op_sel_hi:[0,1]
	v_pk_mul_f16 v1, v6, v1 op_sel_hi:[0,1]
	v_pk_mov_b32 v[2:3], v[4:5], v[4:5] op_sel:[0,1]
	v_cmp_gt_i32_e32 vcc, s38, v27
	s_and_b64 exec, exec, vcc
	s_cbranch_execz .LBB91_40
	s_branch .LBB91_48
.LBB91_47:
	v_mov_b32_e32 v5, v3
	v_cmp_gt_i32_e32 vcc, s38, v27
	s_and_b64 exec, exec, vcc
	s_cbranch_execz .LBB91_40
.LBB91_48:
	s_load_dword s6, s[4:5], 0xd4
	v_div_scale_f32 v4, s[4:5], v5, v5, 1.0
	v_rcp_f32_e32 v6, v4
	s_mul_i32 s33, s33, s38
	s_waitcnt lgkmcnt(0)
	s_cmp_lg_u32 s6, 1
	s_cselect_b64 s[4:5], -1, 0
	v_fma_f32 v8, -v4, v6, 1.0
	v_fmac_f32_e32 v6, v8, v6
	v_div_scale_f32 v8, vcc, 1.0, v5, 1.0
	v_mul_f32_e32 v9, v8, v6
	v_fma_f32 v10, -v4, v9, v8
	v_fmac_f32_e32 v9, v10, v6
	v_fma_f32 v4, -v4, v9, v8
	v_div_fmas_f32 v4, v4, v6, v9
	v_div_fixup_f32 v4, v4, v5, 1.0
	v_cndmask_b32_e64 v6, v4, 1.0, s[4:5]
	v_add_u32_e32 v4, s33, v27
	v_mul_lo_u32 v4, v4, s39
	v_add_u32_e32 v4, s34, v4
	v_mul_lo_u32 v4, s6, v4
	v_add_u32_e32 v4, s9, v4
	v_lshl_add_u32 v8, v4, 7, v26
	v_mov_b32_e32 v9, 0
	v_lshlrev_b64 v[8:9], 2, v[8:9]
	v_cvt_f32_f16_sdwa v11, v0 dst_sel:DWORD dst_unused:UNUSED_PAD src0_sel:WORD_1
	v_cvt_f32_f16_e32 v10, v0
	v_cvt_f32_f16_sdwa v13, v1 dst_sel:DWORD dst_unused:UNUSED_PAD src0_sel:WORD_1
	v_cvt_f32_f16_e32 v12, v1
	v_mov_b32_e32 v5, s29
	v_add_co_u32_e32 v0, vcc, s28, v8
	v_addc_co_u32_e32 v1, vcc, v5, v9, vcc
	v_cmp_eq_u32_e32 vcc, 0, v7
	v_pk_mul_f32 v[8:9], v[6:7], v[10:11] op_sel_hi:[0,1]
	v_pk_mul_f32 v[10:11], v[6:7], v[12:13] op_sel_hi:[0,1]
	s_and_b64 s[4:5], vcc, s[4:5]
	global_store_dwordx4 v[0:1], v[8:11], off
	s_and_b64 exec, exec, s[4:5]
	s_cbranch_execz .LBB91_40
; %bb.49:
	v_ashrrev_i32_e32 v5, 31, v4
	v_lshlrev_b64 v[0:1], 3, v[4:5]
	v_mov_b32_e32 v4, s31
	v_add_co_u32_e32 v0, vcc, s30, v0
	v_addc_co_u32_e32 v1, vcc, v4, v1, vcc
	global_store_dwordx2 v[0:1], v[2:3], off
	s_endpgm
	.section	.rodata,"a",@progbits
	.p2align	6, 0x0
	.amdhsa_kernel _ZL15flash_attn_tileILi128ELi128ELi2ELi1ELb1EEvPKcS1_S1_S1_S1_PKiPfP15HIP_vector_typeIfLj2EEffffjfiS5_IjLj3EEiiiiiiiiiiiliiliiiiil
		.amdhsa_group_segment_fixed_size 19520
		.amdhsa_private_segment_fixed_size 32
		.amdhsa_kernarg_size 464
		.amdhsa_user_sgpr_count 8
		.amdhsa_user_sgpr_private_segment_buffer 1
		.amdhsa_user_sgpr_dispatch_ptr 0
		.amdhsa_user_sgpr_queue_ptr 0
		.amdhsa_user_sgpr_kernarg_segment_ptr 1
		.amdhsa_user_sgpr_dispatch_id 0
		.amdhsa_user_sgpr_flat_scratch_init 1
		.amdhsa_user_sgpr_kernarg_preload_length 0
		.amdhsa_user_sgpr_kernarg_preload_offset 0
		.amdhsa_user_sgpr_private_segment_size 0
		.amdhsa_uses_dynamic_stack 0
		.amdhsa_system_sgpr_private_segment_wavefront_offset 1
		.amdhsa_system_sgpr_workgroup_id_x 1
		.amdhsa_system_sgpr_workgroup_id_y 1
		.amdhsa_system_sgpr_workgroup_id_z 1
		.amdhsa_system_sgpr_workgroup_info 0
		.amdhsa_system_vgpr_workitem_id 1
		.amdhsa_next_free_vgpr 144
		.amdhsa_next_free_sgpr 56
		.amdhsa_accum_offset 144
		.amdhsa_reserve_vcc 1
		.amdhsa_reserve_flat_scratch 1
		.amdhsa_float_round_mode_32 0
		.amdhsa_float_round_mode_16_64 0
		.amdhsa_float_denorm_mode_32 3
		.amdhsa_float_denorm_mode_16_64 3
		.amdhsa_dx10_clamp 1
		.amdhsa_ieee_mode 1
		.amdhsa_fp16_overflow 0
		.amdhsa_tg_split 0
		.amdhsa_exception_fp_ieee_invalid_op 0
		.amdhsa_exception_fp_denorm_src 0
		.amdhsa_exception_fp_ieee_div_zero 0
		.amdhsa_exception_fp_ieee_overflow 0
		.amdhsa_exception_fp_ieee_underflow 0
		.amdhsa_exception_fp_ieee_inexact 0
		.amdhsa_exception_int_div_zero 0
	.end_amdhsa_kernel
	.section	.text._ZL15flash_attn_tileILi128ELi128ELi2ELi1ELb1EEvPKcS1_S1_S1_S1_PKiPfP15HIP_vector_typeIfLj2EEffffjfiS5_IjLj3EEiiiiiiiiiiiliiliiiiil,"axG",@progbits,_ZL15flash_attn_tileILi128ELi128ELi2ELi1ELb1EEvPKcS1_S1_S1_S1_PKiPfP15HIP_vector_typeIfLj2EEffffjfiS5_IjLj3EEiiiiiiiiiiiliiliiiiil,comdat
.Lfunc_end91:
	.size	_ZL15flash_attn_tileILi128ELi128ELi2ELi1ELb1EEvPKcS1_S1_S1_S1_PKiPfP15HIP_vector_typeIfLj2EEffffjfiS5_IjLj3EEiiiiiiiiiiiliiliiiiil, .Lfunc_end91-_ZL15flash_attn_tileILi128ELi128ELi2ELi1ELb1EEvPKcS1_S1_S1_S1_PKiPfP15HIP_vector_typeIfLj2EEffffjfiS5_IjLj3EEiiiiiiiiiiiliiliiiiil
                                        ; -- End function
	.section	.AMDGPU.csdata,"",@progbits
; Kernel info:
; codeLenInByte = 12028
; NumSgprs: 62
; NumVgprs: 144
; NumAgprs: 0
; TotalNumVgprs: 144
; ScratchSize: 32
; MemoryBound: 0
; FloatMode: 240
; IeeeMode: 1
; LDSByteSize: 19520 bytes/workgroup (compile time only)
; SGPRBlocks: 7
; VGPRBlocks: 17
; NumSGPRsForWavesPerEU: 62
; NumVGPRsForWavesPerEU: 144
; AccumOffset: 144
; Occupancy: 3
; WaveLimiterHint : 1
; COMPUTE_PGM_RSRC2:SCRATCH_EN: 1
; COMPUTE_PGM_RSRC2:USER_SGPR: 8
; COMPUTE_PGM_RSRC2:TRAP_HANDLER: 0
; COMPUTE_PGM_RSRC2:TGID_X_EN: 1
; COMPUTE_PGM_RSRC2:TGID_Y_EN: 1
; COMPUTE_PGM_RSRC2:TGID_Z_EN: 1
; COMPUTE_PGM_RSRC2:TIDIG_COMP_CNT: 1
; COMPUTE_PGM_RSRC3_GFX90A:ACCUM_OFFSET: 35
; COMPUTE_PGM_RSRC3_GFX90A:TG_SPLIT: 0
	.text
	.p2alignl 6, 3212836864
	.fill 256, 4, 3212836864
	.type	__hip_cuid_6ca0a6c408250a88,@object ; @__hip_cuid_6ca0a6c408250a88
	.section	.bss,"aw",@nobits
	.globl	__hip_cuid_6ca0a6c408250a88
__hip_cuid_6ca0a6c408250a88:
	.byte	0                               ; 0x0
	.size	__hip_cuid_6ca0a6c408250a88, 1

	.ident	"AMD clang version 19.0.0git (https://github.com/RadeonOpenCompute/llvm-project roc-6.4.0 25133 c7fe45cf4b819c5991fe208aaa96edf142730f1d)"
	.section	".note.GNU-stack","",@progbits
	.addrsig
	.addrsig_sym __hip_cuid_6ca0a6c408250a88
	.amdgpu_metadata
---
amdhsa.kernels:
  - .agpr_count:     0
    .args:
      - .address_space:  global
        .offset:         0
        .size:           8
        .value_kind:     global_buffer
      - .address_space:  global
        .offset:         8
        .size:           8
        .value_kind:     global_buffer
      - .address_space:  global
        .offset:         16
        .size:           8
        .value_kind:     global_buffer
      - .address_space:  global
        .offset:         24
        .size:           8
        .value_kind:     global_buffer
      - .address_space:  global
        .offset:         32
        .size:           8
        .value_kind:     global_buffer
      - .address_space:  global
        .offset:         40
        .size:           8
        .value_kind:     global_buffer
      - .address_space:  global
        .offset:         48
        .size:           8
        .value_kind:     global_buffer
      - .address_space:  global
        .offset:         56
        .size:           8
        .value_kind:     global_buffer
      - .offset:         64
        .size:           4
        .value_kind:     by_value
      - .offset:         68
        .size:           4
        .value_kind:     by_value
      - .offset:         72
        .size:           4
        .value_kind:     by_value
      - .offset:         76
        .size:           4
        .value_kind:     by_value
      - .offset:         80
        .size:           4
        .value_kind:     by_value
      - .offset:         84
        .size:           4
        .value_kind:     by_value
      - .offset:         88
        .size:           4
        .value_kind:     by_value
      - .offset:         92
        .size:           12
        .value_kind:     by_value
      - .offset:         104
        .size:           4
        .value_kind:     by_value
      - .offset:         108
        .size:           4
        .value_kind:     by_value
      - .offset:         112
        .size:           4
        .value_kind:     by_value
      - .offset:         116
        .size:           4
        .value_kind:     by_value
      - .offset:         120
        .size:           4
        .value_kind:     by_value
      - .offset:         124
        .size:           4
        .value_kind:     by_value
      - .offset:         128
        .size:           4
        .value_kind:     by_value
      - .offset:         132
        .size:           4
        .value_kind:     by_value
      - .offset:         136
        .size:           4
        .value_kind:     by_value
      - .offset:         140
        .size:           4
        .value_kind:     by_value
      - .offset:         144
        .size:           4
        .value_kind:     by_value
      - .offset:         152
        .size:           8
        .value_kind:     by_value
      - .offset:         160
        .size:           4
        .value_kind:     by_value
      - .offset:         164
        .size:           4
        .value_kind:     by_value
      - .offset:         168
        .size:           8
        .value_kind:     by_value
      - .offset:         176
        .size:           4
        .value_kind:     by_value
      - .offset:         180
        .size:           4
        .value_kind:     by_value
      - .offset:         184
        .size:           4
        .value_kind:     by_value
      - .offset:         188
        .size:           4
        .value_kind:     by_value
      - .offset:         192
        .size:           4
        .value_kind:     by_value
      - .offset:         200
        .size:           8
        .value_kind:     by_value
      - .offset:         208
        .size:           4
        .value_kind:     hidden_block_count_x
      - .offset:         212
        .size:           4
        .value_kind:     hidden_block_count_y
      - .offset:         216
        .size:           4
        .value_kind:     hidden_block_count_z
      - .offset:         220
        .size:           2
        .value_kind:     hidden_group_size_x
      - .offset:         222
        .size:           2
        .value_kind:     hidden_group_size_y
      - .offset:         224
        .size:           2
        .value_kind:     hidden_group_size_z
      - .offset:         226
        .size:           2
        .value_kind:     hidden_remainder_x
      - .offset:         228
        .size:           2
        .value_kind:     hidden_remainder_y
      - .offset:         230
        .size:           2
        .value_kind:     hidden_remainder_z
      - .offset:         248
        .size:           8
        .value_kind:     hidden_global_offset_x
      - .offset:         256
        .size:           8
        .value_kind:     hidden_global_offset_y
      - .offset:         264
        .size:           8
        .value_kind:     hidden_global_offset_z
      - .offset:         272
        .size:           2
        .value_kind:     hidden_grid_dims
    .group_segment_fixed_size: 29696
    .kernarg_segment_align: 8
    .kernarg_segment_size: 464
    .language:       OpenCL C
    .language_version:
      - 2
      - 0
    .max_flat_workgroup_size: 256
    .name:           _ZL15flash_attn_tileILi128ELi128ELi8ELi8ELb0EEvPKcS1_S1_S1_S1_PKiPfP15HIP_vector_typeIfLj2EEffffjfiS5_IjLj3EEiiiiiiiiiiiliiliiiiil
    .private_segment_fixed_size: 0
    .sgpr_count:     75
    .sgpr_spill_count: 0
    .symbol:         _ZL15flash_attn_tileILi128ELi128ELi8ELi8ELb0EEvPKcS1_S1_S1_S1_PKiPfP15HIP_vector_typeIfLj2EEffffjfiS5_IjLj3EEiiiiiiiiiiiliiliiiiil.kd
    .uniform_work_group_size: 1
    .uses_dynamic_stack: false
    .vgpr_count:     163
    .vgpr_spill_count: 0
    .wavefront_size: 64
  - .agpr_count:     0
    .args:
      - .actual_access:  read_only
        .address_space:  global
        .offset:         0
        .size:           8
        .value_kind:     global_buffer
      - .actual_access:  write_only
        .address_space:  global
        .offset:         8
        .size:           8
        .value_kind:     global_buffer
      - .offset:         16
        .size:           4
        .value_kind:     by_value
      - .offset:         20
        .size:           4
        .value_kind:     by_value
      - .offset:         24
        .size:           4
        .value_kind:     by_value
      - .offset:         32
        .size:           4
        .value_kind:     hidden_block_count_x
      - .offset:         36
        .size:           4
        .value_kind:     hidden_block_count_y
      - .offset:         40
        .size:           4
        .value_kind:     hidden_block_count_z
      - .offset:         44
        .size:           2
        .value_kind:     hidden_group_size_x
      - .offset:         46
        .size:           2
        .value_kind:     hidden_group_size_y
      - .offset:         48
        .size:           2
        .value_kind:     hidden_group_size_z
      - .offset:         50
        .size:           2
        .value_kind:     hidden_remainder_x
      - .offset:         52
        .size:           2
        .value_kind:     hidden_remainder_y
      - .offset:         54
        .size:           2
        .value_kind:     hidden_remainder_z
      - .offset:         72
        .size:           8
        .value_kind:     hidden_global_offset_x
      - .offset:         80
        .size:           8
        .value_kind:     hidden_global_offset_y
      - .offset:         88
        .size:           8
        .value_kind:     hidden_global_offset_z
      - .offset:         96
        .size:           2
        .value_kind:     hidden_grid_dims
    .group_segment_fixed_size: 128
    .kernarg_segment_align: 8
    .kernarg_segment_size: 288
    .language:       OpenCL C
    .language_version:
      - 2
      - 0
    .max_flat_workgroup_size: 128
    .name:           _ZL25flash_attn_mask_to_KV_maxILi8EEvPK7__half2Piiii
    .private_segment_fixed_size: 0
    .sgpr_count:     54
    .sgpr_spill_count: 0
    .symbol:         _ZL25flash_attn_mask_to_KV_maxILi8EEvPK7__half2Piiii.kd
    .uniform_work_group_size: 1
    .uses_dynamic_stack: false
    .vgpr_count:     13
    .vgpr_spill_count: 0
    .wavefront_size: 64
  - .agpr_count:     0
    .args:
      - .address_space:  global
        .offset:         0
        .size:           8
        .value_kind:     global_buffer
      - .address_space:  global
        .offset:         8
        .size:           8
        .value_kind:     global_buffer
      - .offset:         16
        .size:           4
        .value_kind:     by_value
      - .offset:         20
        .size:           4
        .value_kind:     by_value
      - .offset:         24
        .size:           4
        .value_kind:     by_value
      - .offset:         28
        .size:           4
        .value_kind:     by_value
      - .offset:         32
        .size:           4
        .value_kind:     by_value
      - .offset:         36
        .size:           4
        .value_kind:     by_value
      - .offset:         40
        .size:           12
        .value_kind:     by_value
      - .offset:         52
        .size:           12
        .value_kind:     by_value
      - .offset:         64
        .size:           12
        .value_kind:     by_value
    .group_segment_fixed_size: 0
    .kernarg_segment_align: 8
    .kernarg_segment_size: 76
    .language:       OpenCL C
    .language_version:
      - 2
      - 0
    .max_flat_workgroup_size: 128
    .name:           _ZL33flash_attn_stream_k_fixup_uniformILi128ELi8ELi8EEvPfPK15HIP_vector_typeIfLj2EEiiiiiiS1_IjLj3EES5_S5_
    .private_segment_fixed_size: 0
    .sgpr_count:     24
    .sgpr_spill_count: 0
    .symbol:         _ZL33flash_attn_stream_k_fixup_uniformILi128ELi8ELi8EEvPfPK15HIP_vector_typeIfLj2EEiiiiiiS1_IjLj3EES5_S5_.kd
    .uniform_work_group_size: 1
    .uses_dynamic_stack: false
    .vgpr_count:     17
    .vgpr_spill_count: 0
    .wavefront_size: 64
  - .agpr_count:     0
    .args:
      - .address_space:  global
        .offset:         0
        .size:           8
        .value_kind:     global_buffer
      - .address_space:  global
        .offset:         8
        .size:           8
        .value_kind:     global_buffer
      - .offset:         16
        .size:           4
        .value_kind:     by_value
      - .offset:         20
        .size:           4
        .value_kind:     by_value
      - .offset:         24
        .size:           4
        .value_kind:     by_value
      - .offset:         28
        .size:           4
        .value_kind:     by_value
      - .offset:         32
        .size:           12
        .value_kind:     by_value
      - .offset:         44
        .size:           12
        .value_kind:     by_value
      - .offset:         56
        .size:           12
        .value_kind:     by_value
      - .offset:         68
        .size:           12
        .value_kind:     by_value
      - .offset:         80
        .size:           4
        .value_kind:     hidden_block_count_x
      - .offset:         84
        .size:           4
        .value_kind:     hidden_block_count_y
      - .offset:         88
        .size:           4
        .value_kind:     hidden_block_count_z
      - .offset:         92
        .size:           2
        .value_kind:     hidden_group_size_x
      - .offset:         94
        .size:           2
        .value_kind:     hidden_group_size_y
      - .offset:         96
        .size:           2
        .value_kind:     hidden_group_size_z
      - .offset:         98
        .size:           2
        .value_kind:     hidden_remainder_x
      - .offset:         100
        .size:           2
        .value_kind:     hidden_remainder_y
      - .offset:         102
        .size:           2
        .value_kind:     hidden_remainder_z
      - .offset:         120
        .size:           8
        .value_kind:     hidden_global_offset_x
      - .offset:         128
        .size:           8
        .value_kind:     hidden_global_offset_y
      - .offset:         136
        .size:           8
        .value_kind:     hidden_global_offset_z
      - .offset:         144
        .size:           2
        .value_kind:     hidden_grid_dims
    .group_segment_fixed_size: 0
    .kernarg_segment_align: 8
    .kernarg_segment_size: 336
    .language:       OpenCL C
    .language_version:
      - 2
      - 0
    .max_flat_workgroup_size: 128
    .name:           _ZL33flash_attn_stream_k_fixup_generalILi128ELi8ELi8EEvPfPK15HIP_vector_typeIfLj2EEiiiiS1_IjLj3EES5_S5_S5_
    .private_segment_fixed_size: 0
    .sgpr_count:     36
    .sgpr_spill_count: 0
    .symbol:         _ZL33flash_attn_stream_k_fixup_generalILi128ELi8ELi8EEvPfPK15HIP_vector_typeIfLj2EEiiiiS1_IjLj3EES5_S5_S5_.kd
    .uniform_work_group_size: 1
    .uses_dynamic_stack: false
    .vgpr_count:     22
    .vgpr_spill_count: 0
    .wavefront_size: 64
  - .agpr_count:     0
    .args:
      - .address_space:  global
        .offset:         0
        .size:           8
        .value_kind:     global_buffer
      - .address_space:  global
        .offset:         8
        .size:           8
        .value_kind:     global_buffer
      - .address_space:  global
        .offset:         16
        .size:           8
        .value_kind:     global_buffer
      - .offset:         24
        .size:           4
        .value_kind:     by_value
      - .offset:         32
        .size:           4
        .value_kind:     hidden_block_count_x
      - .offset:         36
        .size:           4
        .value_kind:     hidden_block_count_y
      - .offset:         40
        .size:           4
        .value_kind:     hidden_block_count_z
      - .offset:         44
        .size:           2
        .value_kind:     hidden_group_size_x
      - .offset:         46
        .size:           2
        .value_kind:     hidden_group_size_y
      - .offset:         48
        .size:           2
        .value_kind:     hidden_group_size_z
      - .offset:         50
        .size:           2
        .value_kind:     hidden_remainder_x
      - .offset:         52
        .size:           2
        .value_kind:     hidden_remainder_y
      - .offset:         54
        .size:           2
        .value_kind:     hidden_remainder_z
      - .offset:         72
        .size:           8
        .value_kind:     hidden_global_offset_x
      - .offset:         80
        .size:           8
        .value_kind:     hidden_global_offset_y
      - .offset:         88
        .size:           8
        .value_kind:     hidden_global_offset_z
      - .offset:         96
        .size:           2
        .value_kind:     hidden_grid_dims
      - .offset:         152
        .size:           4
        .value_kind:     hidden_dynamic_lds_size
    .group_segment_fixed_size: 0
    .kernarg_segment_align: 8
    .kernarg_segment_size: 288
    .language:       OpenCL C
    .language_version:
      - 2
      - 0
    .max_flat_workgroup_size: 128
    .name:           _ZL26flash_attn_combine_resultsILi128EEvPKfPK15HIP_vector_typeIfLj2EEPfi
    .private_segment_fixed_size: 0
    .sgpr_count:     30
    .sgpr_spill_count: 0
    .symbol:         _ZL26flash_attn_combine_resultsILi128EEvPKfPK15HIP_vector_typeIfLj2EEPfi.kd
    .uniform_work_group_size: 1
    .uses_dynamic_stack: false
    .vgpr_count:     51
    .vgpr_spill_count: 0
    .wavefront_size: 64
  - .agpr_count:     0
    .args:
      - .address_space:  global
        .offset:         0
        .size:           8
        .value_kind:     global_buffer
      - .address_space:  global
        .offset:         8
        .size:           8
        .value_kind:     global_buffer
      - .address_space:  global
        .offset:         16
        .size:           8
        .value_kind:     global_buffer
      - .address_space:  global
        .offset:         24
        .size:           8
        .value_kind:     global_buffer
      - .address_space:  global
        .offset:         32
        .size:           8
        .value_kind:     global_buffer
      - .address_space:  global
        .offset:         40
        .size:           8
        .value_kind:     global_buffer
      - .address_space:  global
        .offset:         48
        .size:           8
        .value_kind:     global_buffer
      - .address_space:  global
        .offset:         56
        .size:           8
        .value_kind:     global_buffer
      - .offset:         64
        .size:           4
        .value_kind:     by_value
      - .offset:         68
        .size:           4
        .value_kind:     by_value
      - .offset:         72
        .size:           4
        .value_kind:     by_value
      - .offset:         76
        .size:           4
        .value_kind:     by_value
      - .offset:         80
        .size:           4
        .value_kind:     by_value
      - .offset:         84
        .size:           4
        .value_kind:     by_value
      - .offset:         88
        .size:           4
        .value_kind:     by_value
      - .offset:         92
        .size:           12
        .value_kind:     by_value
      - .offset:         104
        .size:           4
        .value_kind:     by_value
      - .offset:         108
        .size:           4
        .value_kind:     by_value
      - .offset:         112
        .size:           4
        .value_kind:     by_value
      - .offset:         116
        .size:           4
        .value_kind:     by_value
      - .offset:         120
        .size:           4
        .value_kind:     by_value
      - .offset:         124
        .size:           4
        .value_kind:     by_value
      - .offset:         128
        .size:           4
        .value_kind:     by_value
      - .offset:         132
        .size:           4
        .value_kind:     by_value
      - .offset:         136
        .size:           4
        .value_kind:     by_value
      - .offset:         140
        .size:           4
        .value_kind:     by_value
      - .offset:         144
        .size:           4
        .value_kind:     by_value
      - .offset:         152
        .size:           8
        .value_kind:     by_value
      - .offset:         160
        .size:           4
        .value_kind:     by_value
      - .offset:         164
        .size:           4
        .value_kind:     by_value
      - .offset:         168
        .size:           8
        .value_kind:     by_value
      - .offset:         176
        .size:           4
        .value_kind:     by_value
      - .offset:         180
        .size:           4
        .value_kind:     by_value
      - .offset:         184
        .size:           4
        .value_kind:     by_value
      - .offset:         188
        .size:           4
        .value_kind:     by_value
      - .offset:         192
        .size:           4
        .value_kind:     by_value
      - .offset:         200
        .size:           8
        .value_kind:     by_value
      - .offset:         208
        .size:           4
        .value_kind:     hidden_block_count_x
      - .offset:         212
        .size:           4
        .value_kind:     hidden_block_count_y
      - .offset:         216
        .size:           4
        .value_kind:     hidden_block_count_z
      - .offset:         220
        .size:           2
        .value_kind:     hidden_group_size_x
      - .offset:         222
        .size:           2
        .value_kind:     hidden_group_size_y
      - .offset:         224
        .size:           2
        .value_kind:     hidden_group_size_z
      - .offset:         226
        .size:           2
        .value_kind:     hidden_remainder_x
      - .offset:         228
        .size:           2
        .value_kind:     hidden_remainder_y
      - .offset:         230
        .size:           2
        .value_kind:     hidden_remainder_z
      - .offset:         248
        .size:           8
        .value_kind:     hidden_global_offset_x
      - .offset:         256
        .size:           8
        .value_kind:     hidden_global_offset_y
      - .offset:         264
        .size:           8
        .value_kind:     hidden_global_offset_z
      - .offset:         272
        .size:           2
        .value_kind:     hidden_grid_dims
    .group_segment_fixed_size: 21504
    .kernarg_segment_align: 8
    .kernarg_segment_size: 464
    .language:       OpenCL C
    .language_version:
      - 2
      - 0
    .max_flat_workgroup_size: 256
    .name:           _ZL15flash_attn_tileILi128ELi128ELi4ELi8ELb0EEvPKcS1_S1_S1_S1_PKiPfP15HIP_vector_typeIfLj2EEffffjfiS5_IjLj3EEiiiiiiiiiiiliiliiiiil
    .private_segment_fixed_size: 0
    .sgpr_count:     79
    .sgpr_spill_count: 0
    .symbol:         _ZL15flash_attn_tileILi128ELi128ELi4ELi8ELb0EEvPKcS1_S1_S1_S1_PKiPfP15HIP_vector_typeIfLj2EEffffjfiS5_IjLj3EEiiiiiiiiiiiliiliiiiil.kd
    .uniform_work_group_size: 1
    .uses_dynamic_stack: false
    .vgpr_count:     164
    .vgpr_spill_count: 0
    .wavefront_size: 64
  - .agpr_count:     0
    .args:
      - .actual_access:  read_only
        .address_space:  global
        .offset:         0
        .size:           8
        .value_kind:     global_buffer
      - .actual_access:  write_only
        .address_space:  global
        .offset:         8
        .size:           8
        .value_kind:     global_buffer
      - .offset:         16
        .size:           4
        .value_kind:     by_value
      - .offset:         20
        .size:           4
        .value_kind:     by_value
      - .offset:         24
        .size:           4
        .value_kind:     by_value
      - .offset:         32
        .size:           4
        .value_kind:     hidden_block_count_x
      - .offset:         36
        .size:           4
        .value_kind:     hidden_block_count_y
      - .offset:         40
        .size:           4
        .value_kind:     hidden_block_count_z
      - .offset:         44
        .size:           2
        .value_kind:     hidden_group_size_x
      - .offset:         46
        .size:           2
        .value_kind:     hidden_group_size_y
      - .offset:         48
        .size:           2
        .value_kind:     hidden_group_size_z
      - .offset:         50
        .size:           2
        .value_kind:     hidden_remainder_x
      - .offset:         52
        .size:           2
        .value_kind:     hidden_remainder_y
      - .offset:         54
        .size:           2
        .value_kind:     hidden_remainder_z
      - .offset:         72
        .size:           8
        .value_kind:     hidden_global_offset_x
      - .offset:         80
        .size:           8
        .value_kind:     hidden_global_offset_y
      - .offset:         88
        .size:           8
        .value_kind:     hidden_global_offset_z
      - .offset:         96
        .size:           2
        .value_kind:     hidden_grid_dims
    .group_segment_fixed_size: 128
    .kernarg_segment_align: 8
    .kernarg_segment_size: 288
    .language:       OpenCL C
    .language_version:
      - 2
      - 0
    .max_flat_workgroup_size: 128
    .name:           _ZL25flash_attn_mask_to_KV_maxILi4EEvPK7__half2Piiii
    .private_segment_fixed_size: 0
    .sgpr_count:     40
    .sgpr_spill_count: 0
    .symbol:         _ZL25flash_attn_mask_to_KV_maxILi4EEvPK7__half2Piiii.kd
    .uniform_work_group_size: 1
    .uses_dynamic_stack: false
    .vgpr_count:     17
    .vgpr_spill_count: 0
    .wavefront_size: 64
  - .agpr_count:     0
    .args:
      - .address_space:  global
        .offset:         0
        .size:           8
        .value_kind:     global_buffer
      - .address_space:  global
        .offset:         8
        .size:           8
        .value_kind:     global_buffer
      - .offset:         16
        .size:           4
        .value_kind:     by_value
      - .offset:         20
        .size:           4
        .value_kind:     by_value
      - .offset:         24
        .size:           4
        .value_kind:     by_value
      - .offset:         28
        .size:           4
        .value_kind:     by_value
      - .offset:         32
        .size:           4
        .value_kind:     by_value
      - .offset:         36
        .size:           4
        .value_kind:     by_value
      - .offset:         40
        .size:           12
        .value_kind:     by_value
      - .offset:         52
        .size:           12
        .value_kind:     by_value
      - .offset:         64
        .size:           12
        .value_kind:     by_value
    .group_segment_fixed_size: 0
    .kernarg_segment_align: 8
    .kernarg_segment_size: 76
    .language:       OpenCL C
    .language_version:
      - 2
      - 0
    .max_flat_workgroup_size: 128
    .name:           _ZL33flash_attn_stream_k_fixup_uniformILi128ELi4ELi8EEvPfPK15HIP_vector_typeIfLj2EEiiiiiiS1_IjLj3EES5_S5_
    .private_segment_fixed_size: 0
    .sgpr_count:     24
    .sgpr_spill_count: 0
    .symbol:         _ZL33flash_attn_stream_k_fixup_uniformILi128ELi4ELi8EEvPfPK15HIP_vector_typeIfLj2EEiiiiiiS1_IjLj3EES5_S5_.kd
    .uniform_work_group_size: 1
    .uses_dynamic_stack: false
    .vgpr_count:     17
    .vgpr_spill_count: 0
    .wavefront_size: 64
  - .agpr_count:     0
    .args:
      - .address_space:  global
        .offset:         0
        .size:           8
        .value_kind:     global_buffer
      - .address_space:  global
        .offset:         8
        .size:           8
        .value_kind:     global_buffer
      - .offset:         16
        .size:           4
        .value_kind:     by_value
      - .offset:         20
        .size:           4
        .value_kind:     by_value
      - .offset:         24
        .size:           4
        .value_kind:     by_value
      - .offset:         28
        .size:           4
        .value_kind:     by_value
      - .offset:         32
        .size:           12
        .value_kind:     by_value
      - .offset:         44
        .size:           12
        .value_kind:     by_value
      - .offset:         56
        .size:           12
        .value_kind:     by_value
      - .offset:         68
        .size:           12
        .value_kind:     by_value
      - .offset:         80
        .size:           4
        .value_kind:     hidden_block_count_x
      - .offset:         84
        .size:           4
        .value_kind:     hidden_block_count_y
      - .offset:         88
        .size:           4
        .value_kind:     hidden_block_count_z
      - .offset:         92
        .size:           2
        .value_kind:     hidden_group_size_x
      - .offset:         94
        .size:           2
        .value_kind:     hidden_group_size_y
      - .offset:         96
        .size:           2
        .value_kind:     hidden_group_size_z
      - .offset:         98
        .size:           2
        .value_kind:     hidden_remainder_x
      - .offset:         100
        .size:           2
        .value_kind:     hidden_remainder_y
      - .offset:         102
        .size:           2
        .value_kind:     hidden_remainder_z
      - .offset:         120
        .size:           8
        .value_kind:     hidden_global_offset_x
      - .offset:         128
        .size:           8
        .value_kind:     hidden_global_offset_y
      - .offset:         136
        .size:           8
        .value_kind:     hidden_global_offset_z
      - .offset:         144
        .size:           2
        .value_kind:     hidden_grid_dims
    .group_segment_fixed_size: 0
    .kernarg_segment_align: 8
    .kernarg_segment_size: 336
    .language:       OpenCL C
    .language_version:
      - 2
      - 0
    .max_flat_workgroup_size: 128
    .name:           _ZL33flash_attn_stream_k_fixup_generalILi128ELi4ELi8EEvPfPK15HIP_vector_typeIfLj2EEiiiiS1_IjLj3EES5_S5_S5_
    .private_segment_fixed_size: 0
    .sgpr_count:     36
    .sgpr_spill_count: 0
    .symbol:         _ZL33flash_attn_stream_k_fixup_generalILi128ELi4ELi8EEvPfPK15HIP_vector_typeIfLj2EEiiiiS1_IjLj3EES5_S5_S5_.kd
    .uniform_work_group_size: 1
    .uses_dynamic_stack: false
    .vgpr_count:     22
    .vgpr_spill_count: 0
    .wavefront_size: 64
  - .agpr_count:     0
    .args:
      - .address_space:  global
        .offset:         0
        .size:           8
        .value_kind:     global_buffer
      - .address_space:  global
        .offset:         8
        .size:           8
        .value_kind:     global_buffer
      - .address_space:  global
        .offset:         16
        .size:           8
        .value_kind:     global_buffer
      - .address_space:  global
        .offset:         24
        .size:           8
        .value_kind:     global_buffer
      - .address_space:  global
        .offset:         32
        .size:           8
        .value_kind:     global_buffer
      - .address_space:  global
        .offset:         40
        .size:           8
        .value_kind:     global_buffer
      - .address_space:  global
        .offset:         48
        .size:           8
        .value_kind:     global_buffer
      - .address_space:  global
        .offset:         56
        .size:           8
        .value_kind:     global_buffer
      - .offset:         64
        .size:           4
        .value_kind:     by_value
      - .offset:         68
        .size:           4
        .value_kind:     by_value
      - .offset:         72
        .size:           4
        .value_kind:     by_value
      - .offset:         76
        .size:           4
        .value_kind:     by_value
      - .offset:         80
        .size:           4
        .value_kind:     by_value
      - .offset:         84
        .size:           4
        .value_kind:     by_value
      - .offset:         88
        .size:           4
        .value_kind:     by_value
      - .offset:         92
        .size:           12
        .value_kind:     by_value
      - .offset:         104
        .size:           4
        .value_kind:     by_value
      - .offset:         108
        .size:           4
        .value_kind:     by_value
      - .offset:         112
        .size:           4
        .value_kind:     by_value
      - .offset:         116
        .size:           4
        .value_kind:     by_value
      - .offset:         120
        .size:           4
        .value_kind:     by_value
      - .offset:         124
        .size:           4
        .value_kind:     by_value
      - .offset:         128
        .size:           4
        .value_kind:     by_value
      - .offset:         132
        .size:           4
        .value_kind:     by_value
      - .offset:         136
        .size:           4
        .value_kind:     by_value
      - .offset:         140
        .size:           4
        .value_kind:     by_value
      - .offset:         144
        .size:           4
        .value_kind:     by_value
      - .offset:         152
        .size:           8
        .value_kind:     by_value
      - .offset:         160
        .size:           4
        .value_kind:     by_value
      - .offset:         164
        .size:           4
        .value_kind:     by_value
      - .offset:         168
        .size:           8
        .value_kind:     by_value
      - .offset:         176
        .size:           4
        .value_kind:     by_value
      - .offset:         180
        .size:           4
        .value_kind:     by_value
      - .offset:         184
        .size:           4
        .value_kind:     by_value
      - .offset:         188
        .size:           4
        .value_kind:     by_value
      - .offset:         192
        .size:           4
        .value_kind:     by_value
      - .offset:         200
        .size:           8
        .value_kind:     by_value
      - .offset:         208
        .size:           4
        .value_kind:     hidden_block_count_x
      - .offset:         212
        .size:           4
        .value_kind:     hidden_block_count_y
      - .offset:         216
        .size:           4
        .value_kind:     hidden_block_count_z
      - .offset:         220
        .size:           2
        .value_kind:     hidden_group_size_x
      - .offset:         222
        .size:           2
        .value_kind:     hidden_group_size_y
      - .offset:         224
        .size:           2
        .value_kind:     hidden_group_size_z
      - .offset:         226
        .size:           2
        .value_kind:     hidden_remainder_x
      - .offset:         228
        .size:           2
        .value_kind:     hidden_remainder_y
      - .offset:         230
        .size:           2
        .value_kind:     hidden_remainder_z
      - .offset:         248
        .size:           8
        .value_kind:     hidden_global_offset_x
      - .offset:         256
        .size:           8
        .value_kind:     hidden_global_offset_y
      - .offset:         264
        .size:           8
        .value_kind:     hidden_global_offset_z
      - .offset:         272
        .size:           2
        .value_kind:     hidden_grid_dims
    .group_segment_fixed_size: 23552
    .kernarg_segment_align: 8
    .kernarg_segment_size: 464
    .language:       OpenCL C
    .language_version:
      - 2
      - 0
    .max_flat_workgroup_size: 256
    .name:           _ZL15flash_attn_tileILi128ELi128ELi2ELi8ELb0EEvPKcS1_S1_S1_S1_PKiPfP15HIP_vector_typeIfLj2EEffffjfiS5_IjLj3EEiiiiiiiiiiiliiliiiiil
    .private_segment_fixed_size: 0
    .sgpr_count:     56
    .sgpr_spill_count: 0
    .symbol:         _ZL15flash_attn_tileILi128ELi128ELi2ELi8ELb0EEvPKcS1_S1_S1_S1_PKiPfP15HIP_vector_typeIfLj2EEffffjfiS5_IjLj3EEiiiiiiiiiiiliiliiiiil.kd
    .uniform_work_group_size: 1
    .uses_dynamic_stack: false
    .vgpr_count:     249
    .vgpr_spill_count: 0
    .wavefront_size: 64
  - .agpr_count:     0
    .args:
      - .actual_access:  read_only
        .address_space:  global
        .offset:         0
        .size:           8
        .value_kind:     global_buffer
      - .actual_access:  write_only
        .address_space:  global
        .offset:         8
        .size:           8
        .value_kind:     global_buffer
      - .offset:         16
        .size:           4
        .value_kind:     by_value
      - .offset:         20
        .size:           4
        .value_kind:     by_value
      - .offset:         24
        .size:           4
        .value_kind:     by_value
      - .offset:         32
        .size:           4
        .value_kind:     hidden_block_count_x
      - .offset:         36
        .size:           4
        .value_kind:     hidden_block_count_y
      - .offset:         40
        .size:           4
        .value_kind:     hidden_block_count_z
      - .offset:         44
        .size:           2
        .value_kind:     hidden_group_size_x
      - .offset:         46
        .size:           2
        .value_kind:     hidden_group_size_y
      - .offset:         48
        .size:           2
        .value_kind:     hidden_group_size_z
      - .offset:         50
        .size:           2
        .value_kind:     hidden_remainder_x
      - .offset:         52
        .size:           2
        .value_kind:     hidden_remainder_y
      - .offset:         54
        .size:           2
        .value_kind:     hidden_remainder_z
      - .offset:         72
        .size:           8
        .value_kind:     hidden_global_offset_x
      - .offset:         80
        .size:           8
        .value_kind:     hidden_global_offset_y
      - .offset:         88
        .size:           8
        .value_kind:     hidden_global_offset_z
      - .offset:         96
        .size:           2
        .value_kind:     hidden_grid_dims
    .group_segment_fixed_size: 128
    .kernarg_segment_align: 8
    .kernarg_segment_size: 288
    .language:       OpenCL C
    .language_version:
      - 2
      - 0
    .max_flat_workgroup_size: 128
    .name:           _ZL25flash_attn_mask_to_KV_maxILi2EEvPK7__half2Piiii
    .private_segment_fixed_size: 0
    .sgpr_count:     30
    .sgpr_spill_count: 0
    .symbol:         _ZL25flash_attn_mask_to_KV_maxILi2EEvPK7__half2Piiii.kd
    .uniform_work_group_size: 1
    .uses_dynamic_stack: false
    .vgpr_count:     17
    .vgpr_spill_count: 0
    .wavefront_size: 64
  - .agpr_count:     0
    .args:
      - .address_space:  global
        .offset:         0
        .size:           8
        .value_kind:     global_buffer
      - .address_space:  global
        .offset:         8
        .size:           8
        .value_kind:     global_buffer
      - .offset:         16
        .size:           4
        .value_kind:     by_value
      - .offset:         20
        .size:           4
        .value_kind:     by_value
      - .offset:         24
        .size:           4
        .value_kind:     by_value
      - .offset:         28
        .size:           4
        .value_kind:     by_value
      - .offset:         32
        .size:           4
        .value_kind:     by_value
      - .offset:         36
        .size:           4
        .value_kind:     by_value
      - .offset:         40
        .size:           12
        .value_kind:     by_value
      - .offset:         52
        .size:           12
        .value_kind:     by_value
      - .offset:         64
        .size:           12
        .value_kind:     by_value
    .group_segment_fixed_size: 0
    .kernarg_segment_align: 8
    .kernarg_segment_size: 76
    .language:       OpenCL C
    .language_version:
      - 2
      - 0
    .max_flat_workgroup_size: 128
    .name:           _ZL33flash_attn_stream_k_fixup_uniformILi128ELi2ELi8EEvPfPK15HIP_vector_typeIfLj2EEiiiiiiS1_IjLj3EES5_S5_
    .private_segment_fixed_size: 0
    .sgpr_count:     24
    .sgpr_spill_count: 0
    .symbol:         _ZL33flash_attn_stream_k_fixup_uniformILi128ELi2ELi8EEvPfPK15HIP_vector_typeIfLj2EEiiiiiiS1_IjLj3EES5_S5_.kd
    .uniform_work_group_size: 1
    .uses_dynamic_stack: false
    .vgpr_count:     17
    .vgpr_spill_count: 0
    .wavefront_size: 64
  - .agpr_count:     0
    .args:
      - .address_space:  global
        .offset:         0
        .size:           8
        .value_kind:     global_buffer
      - .address_space:  global
        .offset:         8
        .size:           8
        .value_kind:     global_buffer
      - .offset:         16
        .size:           4
        .value_kind:     by_value
      - .offset:         20
        .size:           4
        .value_kind:     by_value
      - .offset:         24
        .size:           4
        .value_kind:     by_value
      - .offset:         28
        .size:           4
        .value_kind:     by_value
      - .offset:         32
        .size:           12
        .value_kind:     by_value
      - .offset:         44
        .size:           12
        .value_kind:     by_value
      - .offset:         56
        .size:           12
        .value_kind:     by_value
      - .offset:         68
        .size:           12
        .value_kind:     by_value
      - .offset:         80
        .size:           4
        .value_kind:     hidden_block_count_x
      - .offset:         84
        .size:           4
        .value_kind:     hidden_block_count_y
      - .offset:         88
        .size:           4
        .value_kind:     hidden_block_count_z
      - .offset:         92
        .size:           2
        .value_kind:     hidden_group_size_x
      - .offset:         94
        .size:           2
        .value_kind:     hidden_group_size_y
      - .offset:         96
        .size:           2
        .value_kind:     hidden_group_size_z
      - .offset:         98
        .size:           2
        .value_kind:     hidden_remainder_x
      - .offset:         100
        .size:           2
        .value_kind:     hidden_remainder_y
      - .offset:         102
        .size:           2
        .value_kind:     hidden_remainder_z
      - .offset:         120
        .size:           8
        .value_kind:     hidden_global_offset_x
      - .offset:         128
        .size:           8
        .value_kind:     hidden_global_offset_y
      - .offset:         136
        .size:           8
        .value_kind:     hidden_global_offset_z
      - .offset:         144
        .size:           2
        .value_kind:     hidden_grid_dims
    .group_segment_fixed_size: 0
    .kernarg_segment_align: 8
    .kernarg_segment_size: 336
    .language:       OpenCL C
    .language_version:
      - 2
      - 0
    .max_flat_workgroup_size: 128
    .name:           _ZL33flash_attn_stream_k_fixup_generalILi128ELi2ELi8EEvPfPK15HIP_vector_typeIfLj2EEiiiiS1_IjLj3EES5_S5_S5_
    .private_segment_fixed_size: 0
    .sgpr_count:     36
    .sgpr_spill_count: 0
    .symbol:         _ZL33flash_attn_stream_k_fixup_generalILi128ELi2ELi8EEvPfPK15HIP_vector_typeIfLj2EEiiiiS1_IjLj3EES5_S5_S5_.kd
    .uniform_work_group_size: 1
    .uses_dynamic_stack: false
    .vgpr_count:     22
    .vgpr_spill_count: 0
    .wavefront_size: 64
  - .agpr_count:     0
    .args:
      - .address_space:  global
        .offset:         0
        .size:           8
        .value_kind:     global_buffer
      - .address_space:  global
        .offset:         8
        .size:           8
        .value_kind:     global_buffer
      - .address_space:  global
        .offset:         16
        .size:           8
        .value_kind:     global_buffer
      - .address_space:  global
        .offset:         24
        .size:           8
        .value_kind:     global_buffer
      - .address_space:  global
        .offset:         32
        .size:           8
        .value_kind:     global_buffer
      - .address_space:  global
        .offset:         40
        .size:           8
        .value_kind:     global_buffer
      - .address_space:  global
        .offset:         48
        .size:           8
        .value_kind:     global_buffer
      - .address_space:  global
        .offset:         56
        .size:           8
        .value_kind:     global_buffer
      - .offset:         64
        .size:           4
        .value_kind:     by_value
      - .offset:         68
        .size:           4
        .value_kind:     by_value
      - .offset:         72
        .size:           4
        .value_kind:     by_value
      - .offset:         76
        .size:           4
        .value_kind:     by_value
      - .offset:         80
        .size:           4
        .value_kind:     by_value
      - .offset:         84
        .size:           4
        .value_kind:     by_value
      - .offset:         88
        .size:           4
        .value_kind:     by_value
      - .offset:         92
        .size:           12
        .value_kind:     by_value
      - .offset:         104
        .size:           4
        .value_kind:     by_value
      - .offset:         108
        .size:           4
        .value_kind:     by_value
      - .offset:         112
        .size:           4
        .value_kind:     by_value
      - .offset:         116
        .size:           4
        .value_kind:     by_value
      - .offset:         120
        .size:           4
        .value_kind:     by_value
      - .offset:         124
        .size:           4
        .value_kind:     by_value
      - .offset:         128
        .size:           4
        .value_kind:     by_value
      - .offset:         132
        .size:           4
        .value_kind:     by_value
      - .offset:         136
        .size:           4
        .value_kind:     by_value
      - .offset:         140
        .size:           4
        .value_kind:     by_value
      - .offset:         144
        .size:           4
        .value_kind:     by_value
      - .offset:         152
        .size:           8
        .value_kind:     by_value
      - .offset:         160
        .size:           4
        .value_kind:     by_value
      - .offset:         164
        .size:           4
        .value_kind:     by_value
      - .offset:         168
        .size:           8
        .value_kind:     by_value
      - .offset:         176
        .size:           4
        .value_kind:     by_value
      - .offset:         180
        .size:           4
        .value_kind:     by_value
      - .offset:         184
        .size:           4
        .value_kind:     by_value
      - .offset:         188
        .size:           4
        .value_kind:     by_value
      - .offset:         192
        .size:           4
        .value_kind:     by_value
      - .offset:         200
        .size:           8
        .value_kind:     by_value
      - .offset:         208
        .size:           4
        .value_kind:     hidden_block_count_x
      - .offset:         212
        .size:           4
        .value_kind:     hidden_block_count_y
      - .offset:         216
        .size:           4
        .value_kind:     hidden_block_count_z
      - .offset:         220
        .size:           2
        .value_kind:     hidden_group_size_x
      - .offset:         222
        .size:           2
        .value_kind:     hidden_group_size_y
      - .offset:         224
        .size:           2
        .value_kind:     hidden_group_size_z
      - .offset:         226
        .size:           2
        .value_kind:     hidden_remainder_x
      - .offset:         228
        .size:           2
        .value_kind:     hidden_remainder_y
      - .offset:         230
        .size:           2
        .value_kind:     hidden_remainder_z
      - .offset:         248
        .size:           8
        .value_kind:     hidden_global_offset_x
      - .offset:         256
        .size:           8
        .value_kind:     hidden_global_offset_y
      - .offset:         264
        .size:           8
        .value_kind:     hidden_global_offset_z
      - .offset:         272
        .size:           2
        .value_kind:     hidden_grid_dims
    .group_segment_fixed_size: 20480
    .kernarg_segment_align: 8
    .kernarg_segment_size: 464
    .language:       OpenCL C
    .language_version:
      - 2
      - 0
    .max_flat_workgroup_size: 256
    .name:           _ZL15flash_attn_tileILi128ELi128ELi1ELi8ELb0EEvPKcS1_S1_S1_S1_PKiPfP15HIP_vector_typeIfLj2EEffffjfiS5_IjLj3EEiiiiiiiiiiiliiliiiiil
    .private_segment_fixed_size: 0
    .sgpr_count:     48
    .sgpr_spill_count: 0
    .symbol:         _ZL15flash_attn_tileILi128ELi128ELi1ELi8ELb0EEvPKcS1_S1_S1_S1_PKiPfP15HIP_vector_typeIfLj2EEffffjfiS5_IjLj3EEiiiiiiiiiiiliiliiiiil.kd
    .uniform_work_group_size: 1
    .uses_dynamic_stack: false
    .vgpr_count:     160
    .vgpr_spill_count: 0
    .wavefront_size: 64
  - .agpr_count:     0
    .args:
      - .actual_access:  read_only
        .address_space:  global
        .offset:         0
        .size:           8
        .value_kind:     global_buffer
      - .actual_access:  write_only
        .address_space:  global
        .offset:         8
        .size:           8
        .value_kind:     global_buffer
      - .offset:         16
        .size:           4
        .value_kind:     by_value
      - .offset:         20
        .size:           4
        .value_kind:     by_value
      - .offset:         24
        .size:           4
        .value_kind:     by_value
      - .offset:         32
        .size:           4
        .value_kind:     hidden_block_count_x
      - .offset:         36
        .size:           4
        .value_kind:     hidden_block_count_y
      - .offset:         40
        .size:           4
        .value_kind:     hidden_block_count_z
      - .offset:         44
        .size:           2
        .value_kind:     hidden_group_size_x
      - .offset:         46
        .size:           2
        .value_kind:     hidden_group_size_y
      - .offset:         48
        .size:           2
        .value_kind:     hidden_group_size_z
      - .offset:         50
        .size:           2
        .value_kind:     hidden_remainder_x
      - .offset:         52
        .size:           2
        .value_kind:     hidden_remainder_y
      - .offset:         54
        .size:           2
        .value_kind:     hidden_remainder_z
      - .offset:         72
        .size:           8
        .value_kind:     hidden_global_offset_x
      - .offset:         80
        .size:           8
        .value_kind:     hidden_global_offset_y
      - .offset:         88
        .size:           8
        .value_kind:     hidden_global_offset_z
      - .offset:         96
        .size:           2
        .value_kind:     hidden_grid_dims
    .group_segment_fixed_size: 128
    .kernarg_segment_align: 8
    .kernarg_segment_size: 288
    .language:       OpenCL C
    .language_version:
      - 2
      - 0
    .max_flat_workgroup_size: 128
    .name:           _ZL25flash_attn_mask_to_KV_maxILi1EEvPK7__half2Piiii
    .private_segment_fixed_size: 0
    .sgpr_count:     24
    .sgpr_spill_count: 0
    .symbol:         _ZL25flash_attn_mask_to_KV_maxILi1EEvPK7__half2Piiii.kd
    .uniform_work_group_size: 1
    .uses_dynamic_stack: false
    .vgpr_count:     18
    .vgpr_spill_count: 0
    .wavefront_size: 64
  - .agpr_count:     0
    .args:
      - .address_space:  global
        .offset:         0
        .size:           8
        .value_kind:     global_buffer
      - .address_space:  global
        .offset:         8
        .size:           8
        .value_kind:     global_buffer
      - .offset:         16
        .size:           4
        .value_kind:     by_value
      - .offset:         20
        .size:           4
        .value_kind:     by_value
      - .offset:         24
        .size:           4
        .value_kind:     by_value
      - .offset:         28
        .size:           4
        .value_kind:     by_value
      - .offset:         32
        .size:           4
        .value_kind:     by_value
      - .offset:         36
        .size:           4
        .value_kind:     by_value
      - .offset:         40
        .size:           12
        .value_kind:     by_value
      - .offset:         52
        .size:           12
        .value_kind:     by_value
      - .offset:         64
        .size:           12
        .value_kind:     by_value
    .group_segment_fixed_size: 0
    .kernarg_segment_align: 8
    .kernarg_segment_size: 76
    .language:       OpenCL C
    .language_version:
      - 2
      - 0
    .max_flat_workgroup_size: 128
    .name:           _ZL33flash_attn_stream_k_fixup_uniformILi128ELi1ELi8EEvPfPK15HIP_vector_typeIfLj2EEiiiiiiS1_IjLj3EES5_S5_
    .private_segment_fixed_size: 0
    .sgpr_count:     24
    .sgpr_spill_count: 0
    .symbol:         _ZL33flash_attn_stream_k_fixup_uniformILi128ELi1ELi8EEvPfPK15HIP_vector_typeIfLj2EEiiiiiiS1_IjLj3EES5_S5_.kd
    .uniform_work_group_size: 1
    .uses_dynamic_stack: false
    .vgpr_count:     17
    .vgpr_spill_count: 0
    .wavefront_size: 64
  - .agpr_count:     0
    .args:
      - .address_space:  global
        .offset:         0
        .size:           8
        .value_kind:     global_buffer
      - .address_space:  global
        .offset:         8
        .size:           8
        .value_kind:     global_buffer
      - .offset:         16
        .size:           4
        .value_kind:     by_value
      - .offset:         20
        .size:           4
        .value_kind:     by_value
      - .offset:         24
        .size:           4
        .value_kind:     by_value
      - .offset:         28
        .size:           4
        .value_kind:     by_value
      - .offset:         32
        .size:           12
        .value_kind:     by_value
      - .offset:         44
        .size:           12
        .value_kind:     by_value
      - .offset:         56
        .size:           12
        .value_kind:     by_value
      - .offset:         68
        .size:           12
        .value_kind:     by_value
      - .offset:         80
        .size:           4
        .value_kind:     hidden_block_count_x
      - .offset:         84
        .size:           4
        .value_kind:     hidden_block_count_y
      - .offset:         88
        .size:           4
        .value_kind:     hidden_block_count_z
      - .offset:         92
        .size:           2
        .value_kind:     hidden_group_size_x
      - .offset:         94
        .size:           2
        .value_kind:     hidden_group_size_y
      - .offset:         96
        .size:           2
        .value_kind:     hidden_group_size_z
      - .offset:         98
        .size:           2
        .value_kind:     hidden_remainder_x
      - .offset:         100
        .size:           2
        .value_kind:     hidden_remainder_y
      - .offset:         102
        .size:           2
        .value_kind:     hidden_remainder_z
      - .offset:         120
        .size:           8
        .value_kind:     hidden_global_offset_x
      - .offset:         128
        .size:           8
        .value_kind:     hidden_global_offset_y
      - .offset:         136
        .size:           8
        .value_kind:     hidden_global_offset_z
      - .offset:         144
        .size:           2
        .value_kind:     hidden_grid_dims
    .group_segment_fixed_size: 0
    .kernarg_segment_align: 8
    .kernarg_segment_size: 336
    .language:       OpenCL C
    .language_version:
      - 2
      - 0
    .max_flat_workgroup_size: 128
    .name:           _ZL33flash_attn_stream_k_fixup_generalILi128ELi1ELi8EEvPfPK15HIP_vector_typeIfLj2EEiiiiS1_IjLj3EES5_S5_S5_
    .private_segment_fixed_size: 0
    .sgpr_count:     36
    .sgpr_spill_count: 0
    .symbol:         _ZL33flash_attn_stream_k_fixup_generalILi128ELi1ELi8EEvPfPK15HIP_vector_typeIfLj2EEiiiiS1_IjLj3EES5_S5_S5_.kd
    .uniform_work_group_size: 1
    .uses_dynamic_stack: false
    .vgpr_count:     22
    .vgpr_spill_count: 0
    .wavefront_size: 64
  - .agpr_count:     0
    .args:
      - .address_space:  global
        .offset:         0
        .size:           8
        .value_kind:     global_buffer
      - .address_space:  global
        .offset:         8
        .size:           8
        .value_kind:     global_buffer
      - .address_space:  global
        .offset:         16
        .size:           8
        .value_kind:     global_buffer
      - .address_space:  global
        .offset:         24
        .size:           8
        .value_kind:     global_buffer
      - .address_space:  global
        .offset:         32
        .size:           8
        .value_kind:     global_buffer
      - .address_space:  global
        .offset:         40
        .size:           8
        .value_kind:     global_buffer
      - .address_space:  global
        .offset:         48
        .size:           8
        .value_kind:     global_buffer
      - .address_space:  global
        .offset:         56
        .size:           8
        .value_kind:     global_buffer
      - .offset:         64
        .size:           4
        .value_kind:     by_value
      - .offset:         68
        .size:           4
        .value_kind:     by_value
      - .offset:         72
        .size:           4
        .value_kind:     by_value
      - .offset:         76
        .size:           4
        .value_kind:     by_value
      - .offset:         80
        .size:           4
        .value_kind:     by_value
      - .offset:         84
        .size:           4
        .value_kind:     by_value
      - .offset:         88
        .size:           4
        .value_kind:     by_value
      - .offset:         92
        .size:           12
        .value_kind:     by_value
      - .offset:         104
        .size:           4
        .value_kind:     by_value
      - .offset:         108
        .size:           4
        .value_kind:     by_value
      - .offset:         112
        .size:           4
        .value_kind:     by_value
      - .offset:         116
        .size:           4
        .value_kind:     by_value
      - .offset:         120
        .size:           4
        .value_kind:     by_value
      - .offset:         124
        .size:           4
        .value_kind:     by_value
      - .offset:         128
        .size:           4
        .value_kind:     by_value
      - .offset:         132
        .size:           4
        .value_kind:     by_value
      - .offset:         136
        .size:           4
        .value_kind:     by_value
      - .offset:         140
        .size:           4
        .value_kind:     by_value
      - .offset:         144
        .size:           4
        .value_kind:     by_value
      - .offset:         152
        .size:           8
        .value_kind:     by_value
      - .offset:         160
        .size:           4
        .value_kind:     by_value
      - .offset:         164
        .size:           4
        .value_kind:     by_value
      - .offset:         168
        .size:           8
        .value_kind:     by_value
      - .offset:         176
        .size:           4
        .value_kind:     by_value
      - .offset:         180
        .size:           4
        .value_kind:     by_value
      - .offset:         184
        .size:           4
        .value_kind:     by_value
      - .offset:         188
        .size:           4
        .value_kind:     by_value
      - .offset:         192
        .size:           4
        .value_kind:     by_value
      - .offset:         200
        .size:           8
        .value_kind:     by_value
      - .offset:         208
        .size:           4
        .value_kind:     hidden_block_count_x
      - .offset:         212
        .size:           4
        .value_kind:     hidden_block_count_y
      - .offset:         216
        .size:           4
        .value_kind:     hidden_block_count_z
      - .offset:         220
        .size:           2
        .value_kind:     hidden_group_size_x
      - .offset:         222
        .size:           2
        .value_kind:     hidden_group_size_y
      - .offset:         224
        .size:           2
        .value_kind:     hidden_group_size_z
      - .offset:         226
        .size:           2
        .value_kind:     hidden_remainder_x
      - .offset:         228
        .size:           2
        .value_kind:     hidden_remainder_y
      - .offset:         230
        .size:           2
        .value_kind:     hidden_remainder_z
      - .offset:         248
        .size:           8
        .value_kind:     hidden_global_offset_x
      - .offset:         256
        .size:           8
        .value_kind:     hidden_global_offset_y
      - .offset:         264
        .size:           8
        .value_kind:     hidden_global_offset_z
      - .offset:         272
        .size:           2
        .value_kind:     hidden_grid_dims
    .group_segment_fixed_size: 29696
    .kernarg_segment_align: 8
    .kernarg_segment_size: 464
    .language:       OpenCL C
    .language_version:
      - 2
      - 0
    .max_flat_workgroup_size: 256
    .name:           _ZL15flash_attn_tileILi128ELi128ELi16ELi4ELb0EEvPKcS1_S1_S1_S1_PKiPfP15HIP_vector_typeIfLj2EEffffjfiS5_IjLj3EEiiiiiiiiiiiliiliiiiil
    .private_segment_fixed_size: 0
    .sgpr_count:     74
    .sgpr_spill_count: 0
    .symbol:         _ZL15flash_attn_tileILi128ELi128ELi16ELi4ELb0EEvPKcS1_S1_S1_S1_PKiPfP15HIP_vector_typeIfLj2EEffffjfiS5_IjLj3EEiiiiiiiiiiiliiliiiiil.kd
    .uniform_work_group_size: 1
    .uses_dynamic_stack: false
    .vgpr_count:     173
    .vgpr_spill_count: 0
    .wavefront_size: 64
  - .agpr_count:     0
    .args:
      - .actual_access:  read_only
        .address_space:  global
        .offset:         0
        .size:           8
        .value_kind:     global_buffer
      - .actual_access:  write_only
        .address_space:  global
        .offset:         8
        .size:           8
        .value_kind:     global_buffer
      - .offset:         16
        .size:           4
        .value_kind:     by_value
      - .offset:         20
        .size:           4
        .value_kind:     by_value
      - .offset:         24
        .size:           4
        .value_kind:     by_value
      - .offset:         32
        .size:           4
        .value_kind:     hidden_block_count_x
      - .offset:         36
        .size:           4
        .value_kind:     hidden_block_count_y
      - .offset:         40
        .size:           4
        .value_kind:     hidden_block_count_z
      - .offset:         44
        .size:           2
        .value_kind:     hidden_group_size_x
      - .offset:         46
        .size:           2
        .value_kind:     hidden_group_size_y
      - .offset:         48
        .size:           2
        .value_kind:     hidden_group_size_z
      - .offset:         50
        .size:           2
        .value_kind:     hidden_remainder_x
      - .offset:         52
        .size:           2
        .value_kind:     hidden_remainder_y
      - .offset:         54
        .size:           2
        .value_kind:     hidden_remainder_z
      - .offset:         72
        .size:           8
        .value_kind:     hidden_global_offset_x
      - .offset:         80
        .size:           8
        .value_kind:     hidden_global_offset_y
      - .offset:         88
        .size:           8
        .value_kind:     hidden_global_offset_z
      - .offset:         96
        .size:           2
        .value_kind:     hidden_grid_dims
    .group_segment_fixed_size: 128
    .kernarg_segment_align: 8
    .kernarg_segment_size: 288
    .language:       OpenCL C
    .language_version:
      - 2
      - 0
    .max_flat_workgroup_size: 128
    .name:           _ZL25flash_attn_mask_to_KV_maxILi16EEvPK7__half2Piiii
    .private_segment_fixed_size: 0
    .sgpr_count:     86
    .sgpr_spill_count: 0
    .symbol:         _ZL25flash_attn_mask_to_KV_maxILi16EEvPK7__half2Piiii.kd
    .uniform_work_group_size: 1
    .uses_dynamic_stack: false
    .vgpr_count:     12
    .vgpr_spill_count: 0
    .wavefront_size: 64
  - .agpr_count:     0
    .args:
      - .address_space:  global
        .offset:         0
        .size:           8
        .value_kind:     global_buffer
      - .address_space:  global
        .offset:         8
        .size:           8
        .value_kind:     global_buffer
      - .offset:         16
        .size:           4
        .value_kind:     by_value
      - .offset:         20
        .size:           4
        .value_kind:     by_value
      - .offset:         24
        .size:           4
        .value_kind:     by_value
      - .offset:         28
        .size:           4
        .value_kind:     by_value
      - .offset:         32
        .size:           4
        .value_kind:     by_value
      - .offset:         36
        .size:           4
        .value_kind:     by_value
      - .offset:         40
        .size:           12
        .value_kind:     by_value
      - .offset:         52
        .size:           12
        .value_kind:     by_value
      - .offset:         64
        .size:           12
        .value_kind:     by_value
    .group_segment_fixed_size: 0
    .kernarg_segment_align: 8
    .kernarg_segment_size: 76
    .language:       OpenCL C
    .language_version:
      - 2
      - 0
    .max_flat_workgroup_size: 128
    .name:           _ZL33flash_attn_stream_k_fixup_uniformILi128ELi16ELi4EEvPfPK15HIP_vector_typeIfLj2EEiiiiiiS1_IjLj3EES5_S5_
    .private_segment_fixed_size: 0
    .sgpr_count:     24
    .sgpr_spill_count: 0
    .symbol:         _ZL33flash_attn_stream_k_fixup_uniformILi128ELi16ELi4EEvPfPK15HIP_vector_typeIfLj2EEiiiiiiS1_IjLj3EES5_S5_.kd
    .uniform_work_group_size: 1
    .uses_dynamic_stack: false
    .vgpr_count:     17
    .vgpr_spill_count: 0
    .wavefront_size: 64
  - .agpr_count:     0
    .args:
      - .address_space:  global
        .offset:         0
        .size:           8
        .value_kind:     global_buffer
      - .address_space:  global
        .offset:         8
        .size:           8
        .value_kind:     global_buffer
      - .offset:         16
        .size:           4
        .value_kind:     by_value
      - .offset:         20
        .size:           4
        .value_kind:     by_value
      - .offset:         24
        .size:           4
        .value_kind:     by_value
      - .offset:         28
        .size:           4
        .value_kind:     by_value
      - .offset:         32
        .size:           12
        .value_kind:     by_value
      - .offset:         44
        .size:           12
        .value_kind:     by_value
      - .offset:         56
        .size:           12
        .value_kind:     by_value
      - .offset:         68
        .size:           12
        .value_kind:     by_value
      - .offset:         80
        .size:           4
        .value_kind:     hidden_block_count_x
      - .offset:         84
        .size:           4
        .value_kind:     hidden_block_count_y
      - .offset:         88
        .size:           4
        .value_kind:     hidden_block_count_z
      - .offset:         92
        .size:           2
        .value_kind:     hidden_group_size_x
      - .offset:         94
        .size:           2
        .value_kind:     hidden_group_size_y
      - .offset:         96
        .size:           2
        .value_kind:     hidden_group_size_z
      - .offset:         98
        .size:           2
        .value_kind:     hidden_remainder_x
      - .offset:         100
        .size:           2
        .value_kind:     hidden_remainder_y
      - .offset:         102
        .size:           2
        .value_kind:     hidden_remainder_z
      - .offset:         120
        .size:           8
        .value_kind:     hidden_global_offset_x
      - .offset:         128
        .size:           8
        .value_kind:     hidden_global_offset_y
      - .offset:         136
        .size:           8
        .value_kind:     hidden_global_offset_z
      - .offset:         144
        .size:           2
        .value_kind:     hidden_grid_dims
    .group_segment_fixed_size: 0
    .kernarg_segment_align: 8
    .kernarg_segment_size: 336
    .language:       OpenCL C
    .language_version:
      - 2
      - 0
    .max_flat_workgroup_size: 128
    .name:           _ZL33flash_attn_stream_k_fixup_generalILi128ELi16ELi4EEvPfPK15HIP_vector_typeIfLj2EEiiiiS1_IjLj3EES5_S5_S5_
    .private_segment_fixed_size: 0
    .sgpr_count:     36
    .sgpr_spill_count: 0
    .symbol:         _ZL33flash_attn_stream_k_fixup_generalILi128ELi16ELi4EEvPfPK15HIP_vector_typeIfLj2EEiiiiS1_IjLj3EES5_S5_S5_.kd
    .uniform_work_group_size: 1
    .uses_dynamic_stack: false
    .vgpr_count:     22
    .vgpr_spill_count: 0
    .wavefront_size: 64
  - .agpr_count:     0
    .args:
      - .address_space:  global
        .offset:         0
        .size:           8
        .value_kind:     global_buffer
      - .address_space:  global
        .offset:         8
        .size:           8
        .value_kind:     global_buffer
      - .address_space:  global
        .offset:         16
        .size:           8
        .value_kind:     global_buffer
      - .address_space:  global
        .offset:         24
        .size:           8
        .value_kind:     global_buffer
      - .address_space:  global
        .offset:         32
        .size:           8
        .value_kind:     global_buffer
      - .address_space:  global
        .offset:         40
        .size:           8
        .value_kind:     global_buffer
      - .address_space:  global
        .offset:         48
        .size:           8
        .value_kind:     global_buffer
      - .address_space:  global
        .offset:         56
        .size:           8
        .value_kind:     global_buffer
      - .offset:         64
        .size:           4
        .value_kind:     by_value
      - .offset:         68
        .size:           4
        .value_kind:     by_value
      - .offset:         72
        .size:           4
        .value_kind:     by_value
      - .offset:         76
        .size:           4
        .value_kind:     by_value
      - .offset:         80
        .size:           4
        .value_kind:     by_value
      - .offset:         84
        .size:           4
        .value_kind:     by_value
      - .offset:         88
        .size:           4
        .value_kind:     by_value
      - .offset:         92
        .size:           12
        .value_kind:     by_value
      - .offset:         104
        .size:           4
        .value_kind:     by_value
      - .offset:         108
        .size:           4
        .value_kind:     by_value
      - .offset:         112
        .size:           4
        .value_kind:     by_value
      - .offset:         116
        .size:           4
        .value_kind:     by_value
      - .offset:         120
        .size:           4
        .value_kind:     by_value
      - .offset:         124
        .size:           4
        .value_kind:     by_value
      - .offset:         128
        .size:           4
        .value_kind:     by_value
      - .offset:         132
        .size:           4
        .value_kind:     by_value
      - .offset:         136
        .size:           4
        .value_kind:     by_value
      - .offset:         140
        .size:           4
        .value_kind:     by_value
      - .offset:         144
        .size:           4
        .value_kind:     by_value
      - .offset:         152
        .size:           8
        .value_kind:     by_value
      - .offset:         160
        .size:           4
        .value_kind:     by_value
      - .offset:         164
        .size:           4
        .value_kind:     by_value
      - .offset:         168
        .size:           8
        .value_kind:     by_value
      - .offset:         176
        .size:           4
        .value_kind:     by_value
      - .offset:         180
        .size:           4
        .value_kind:     by_value
      - .offset:         184
        .size:           4
        .value_kind:     by_value
      - .offset:         188
        .size:           4
        .value_kind:     by_value
      - .offset:         192
        .size:           4
        .value_kind:     by_value
      - .offset:         200
        .size:           8
        .value_kind:     by_value
      - .offset:         208
        .size:           4
        .value_kind:     hidden_block_count_x
      - .offset:         212
        .size:           4
        .value_kind:     hidden_block_count_y
      - .offset:         216
        .size:           4
        .value_kind:     hidden_block_count_z
      - .offset:         220
        .size:           2
        .value_kind:     hidden_group_size_x
      - .offset:         222
        .size:           2
        .value_kind:     hidden_group_size_y
      - .offset:         224
        .size:           2
        .value_kind:     hidden_group_size_z
      - .offset:         226
        .size:           2
        .value_kind:     hidden_remainder_x
      - .offset:         228
        .size:           2
        .value_kind:     hidden_remainder_y
      - .offset:         230
        .size:           2
        .value_kind:     hidden_remainder_z
      - .offset:         248
        .size:           8
        .value_kind:     hidden_global_offset_x
      - .offset:         256
        .size:           8
        .value_kind:     hidden_global_offset_y
      - .offset:         264
        .size:           8
        .value_kind:     hidden_global_offset_z
      - .offset:         272
        .size:           2
        .value_kind:     hidden_grid_dims
    .group_segment_fixed_size: 21504
    .kernarg_segment_align: 8
    .kernarg_segment_size: 464
    .language:       OpenCL C
    .language_version:
      - 2
      - 0
    .max_flat_workgroup_size: 256
    .name:           _ZL15flash_attn_tileILi128ELi128ELi8ELi4ELb0EEvPKcS1_S1_S1_S1_PKiPfP15HIP_vector_typeIfLj2EEffffjfiS5_IjLj3EEiiiiiiiiiiiliiliiiiil
    .private_segment_fixed_size: 0
    .sgpr_count:     79
    .sgpr_spill_count: 0
    .symbol:         _ZL15flash_attn_tileILi128ELi128ELi8ELi4ELb0EEvPKcS1_S1_S1_S1_PKiPfP15HIP_vector_typeIfLj2EEffffjfiS5_IjLj3EEiiiiiiiiiiiliiliiiiil.kd
    .uniform_work_group_size: 1
    .uses_dynamic_stack: false
    .vgpr_count:     164
    .vgpr_spill_count: 0
    .wavefront_size: 64
  - .agpr_count:     0
    .args:
      - .address_space:  global
        .offset:         0
        .size:           8
        .value_kind:     global_buffer
      - .address_space:  global
        .offset:         8
        .size:           8
        .value_kind:     global_buffer
      - .offset:         16
        .size:           4
        .value_kind:     by_value
      - .offset:         20
        .size:           4
        .value_kind:     by_value
      - .offset:         24
        .size:           4
        .value_kind:     by_value
      - .offset:         28
        .size:           4
        .value_kind:     by_value
      - .offset:         32
        .size:           4
        .value_kind:     by_value
      - .offset:         36
        .size:           4
        .value_kind:     by_value
      - .offset:         40
        .size:           12
        .value_kind:     by_value
      - .offset:         52
        .size:           12
        .value_kind:     by_value
      - .offset:         64
        .size:           12
        .value_kind:     by_value
    .group_segment_fixed_size: 0
    .kernarg_segment_align: 8
    .kernarg_segment_size: 76
    .language:       OpenCL C
    .language_version:
      - 2
      - 0
    .max_flat_workgroup_size: 128
    .name:           _ZL33flash_attn_stream_k_fixup_uniformILi128ELi8ELi4EEvPfPK15HIP_vector_typeIfLj2EEiiiiiiS1_IjLj3EES5_S5_
    .private_segment_fixed_size: 0
    .sgpr_count:     24
    .sgpr_spill_count: 0
    .symbol:         _ZL33flash_attn_stream_k_fixup_uniformILi128ELi8ELi4EEvPfPK15HIP_vector_typeIfLj2EEiiiiiiS1_IjLj3EES5_S5_.kd
    .uniform_work_group_size: 1
    .uses_dynamic_stack: false
    .vgpr_count:     17
    .vgpr_spill_count: 0
    .wavefront_size: 64
  - .agpr_count:     0
    .args:
      - .address_space:  global
        .offset:         0
        .size:           8
        .value_kind:     global_buffer
      - .address_space:  global
        .offset:         8
        .size:           8
        .value_kind:     global_buffer
      - .offset:         16
        .size:           4
        .value_kind:     by_value
      - .offset:         20
        .size:           4
        .value_kind:     by_value
      - .offset:         24
        .size:           4
        .value_kind:     by_value
      - .offset:         28
        .size:           4
        .value_kind:     by_value
      - .offset:         32
        .size:           12
        .value_kind:     by_value
      - .offset:         44
        .size:           12
        .value_kind:     by_value
      - .offset:         56
        .size:           12
        .value_kind:     by_value
      - .offset:         68
        .size:           12
        .value_kind:     by_value
      - .offset:         80
        .size:           4
        .value_kind:     hidden_block_count_x
      - .offset:         84
        .size:           4
        .value_kind:     hidden_block_count_y
      - .offset:         88
        .size:           4
        .value_kind:     hidden_block_count_z
      - .offset:         92
        .size:           2
        .value_kind:     hidden_group_size_x
      - .offset:         94
        .size:           2
        .value_kind:     hidden_group_size_y
      - .offset:         96
        .size:           2
        .value_kind:     hidden_group_size_z
      - .offset:         98
        .size:           2
        .value_kind:     hidden_remainder_x
      - .offset:         100
        .size:           2
        .value_kind:     hidden_remainder_y
      - .offset:         102
        .size:           2
        .value_kind:     hidden_remainder_z
      - .offset:         120
        .size:           8
        .value_kind:     hidden_global_offset_x
      - .offset:         128
        .size:           8
        .value_kind:     hidden_global_offset_y
      - .offset:         136
        .size:           8
        .value_kind:     hidden_global_offset_z
      - .offset:         144
        .size:           2
        .value_kind:     hidden_grid_dims
    .group_segment_fixed_size: 0
    .kernarg_segment_align: 8
    .kernarg_segment_size: 336
    .language:       OpenCL C
    .language_version:
      - 2
      - 0
    .max_flat_workgroup_size: 128
    .name:           _ZL33flash_attn_stream_k_fixup_generalILi128ELi8ELi4EEvPfPK15HIP_vector_typeIfLj2EEiiiiS1_IjLj3EES5_S5_S5_
    .private_segment_fixed_size: 0
    .sgpr_count:     36
    .sgpr_spill_count: 0
    .symbol:         _ZL33flash_attn_stream_k_fixup_generalILi128ELi8ELi4EEvPfPK15HIP_vector_typeIfLj2EEiiiiS1_IjLj3EES5_S5_S5_.kd
    .uniform_work_group_size: 1
    .uses_dynamic_stack: false
    .vgpr_count:     22
    .vgpr_spill_count: 0
    .wavefront_size: 64
  - .agpr_count:     0
    .args:
      - .address_space:  global
        .offset:         0
        .size:           8
        .value_kind:     global_buffer
      - .address_space:  global
        .offset:         8
        .size:           8
        .value_kind:     global_buffer
      - .address_space:  global
        .offset:         16
        .size:           8
        .value_kind:     global_buffer
      - .address_space:  global
        .offset:         24
        .size:           8
        .value_kind:     global_buffer
      - .address_space:  global
        .offset:         32
        .size:           8
        .value_kind:     global_buffer
      - .address_space:  global
        .offset:         40
        .size:           8
        .value_kind:     global_buffer
      - .address_space:  global
        .offset:         48
        .size:           8
        .value_kind:     global_buffer
      - .address_space:  global
        .offset:         56
        .size:           8
        .value_kind:     global_buffer
      - .offset:         64
        .size:           4
        .value_kind:     by_value
      - .offset:         68
        .size:           4
        .value_kind:     by_value
      - .offset:         72
        .size:           4
        .value_kind:     by_value
      - .offset:         76
        .size:           4
        .value_kind:     by_value
      - .offset:         80
        .size:           4
        .value_kind:     by_value
      - .offset:         84
        .size:           4
        .value_kind:     by_value
      - .offset:         88
        .size:           4
        .value_kind:     by_value
      - .offset:         92
        .size:           12
        .value_kind:     by_value
      - .offset:         104
        .size:           4
        .value_kind:     by_value
      - .offset:         108
        .size:           4
        .value_kind:     by_value
      - .offset:         112
        .size:           4
        .value_kind:     by_value
      - .offset:         116
        .size:           4
        .value_kind:     by_value
      - .offset:         120
        .size:           4
        .value_kind:     by_value
      - .offset:         124
        .size:           4
        .value_kind:     by_value
      - .offset:         128
        .size:           4
        .value_kind:     by_value
      - .offset:         132
        .size:           4
        .value_kind:     by_value
      - .offset:         136
        .size:           4
        .value_kind:     by_value
      - .offset:         140
        .size:           4
        .value_kind:     by_value
      - .offset:         144
        .size:           4
        .value_kind:     by_value
      - .offset:         152
        .size:           8
        .value_kind:     by_value
      - .offset:         160
        .size:           4
        .value_kind:     by_value
      - .offset:         164
        .size:           4
        .value_kind:     by_value
      - .offset:         168
        .size:           8
        .value_kind:     by_value
      - .offset:         176
        .size:           4
        .value_kind:     by_value
      - .offset:         180
        .size:           4
        .value_kind:     by_value
      - .offset:         184
        .size:           4
        .value_kind:     by_value
      - .offset:         188
        .size:           4
        .value_kind:     by_value
      - .offset:         192
        .size:           4
        .value_kind:     by_value
      - .offset:         200
        .size:           8
        .value_kind:     by_value
      - .offset:         208
        .size:           4
        .value_kind:     hidden_block_count_x
      - .offset:         212
        .size:           4
        .value_kind:     hidden_block_count_y
      - .offset:         216
        .size:           4
        .value_kind:     hidden_block_count_z
      - .offset:         220
        .size:           2
        .value_kind:     hidden_group_size_x
      - .offset:         222
        .size:           2
        .value_kind:     hidden_group_size_y
      - .offset:         224
        .size:           2
        .value_kind:     hidden_group_size_z
      - .offset:         226
        .size:           2
        .value_kind:     hidden_remainder_x
      - .offset:         228
        .size:           2
        .value_kind:     hidden_remainder_y
      - .offset:         230
        .size:           2
        .value_kind:     hidden_remainder_z
      - .offset:         248
        .size:           8
        .value_kind:     hidden_global_offset_x
      - .offset:         256
        .size:           8
        .value_kind:     hidden_global_offset_y
      - .offset:         264
        .size:           8
        .value_kind:     hidden_global_offset_z
      - .offset:         272
        .size:           2
        .value_kind:     hidden_grid_dims
    .group_segment_fixed_size: 23552
    .kernarg_segment_align: 8
    .kernarg_segment_size: 464
    .language:       OpenCL C
    .language_version:
      - 2
      - 0
    .max_flat_workgroup_size: 256
    .name:           _ZL15flash_attn_tileILi128ELi128ELi4ELi4ELb0EEvPKcS1_S1_S1_S1_PKiPfP15HIP_vector_typeIfLj2EEffffjfiS5_IjLj3EEiiiiiiiiiiiliiliiiiil
    .private_segment_fixed_size: 0
    .sgpr_count:     56
    .sgpr_spill_count: 0
    .symbol:         _ZL15flash_attn_tileILi128ELi128ELi4ELi4ELb0EEvPKcS1_S1_S1_S1_PKiPfP15HIP_vector_typeIfLj2EEffffjfiS5_IjLj3EEiiiiiiiiiiiliiliiiiil.kd
    .uniform_work_group_size: 1
    .uses_dynamic_stack: false
    .vgpr_count:     249
    .vgpr_spill_count: 0
    .wavefront_size: 64
  - .agpr_count:     0
    .args:
      - .address_space:  global
        .offset:         0
        .size:           8
        .value_kind:     global_buffer
      - .address_space:  global
        .offset:         8
        .size:           8
        .value_kind:     global_buffer
      - .offset:         16
        .size:           4
        .value_kind:     by_value
      - .offset:         20
        .size:           4
        .value_kind:     by_value
      - .offset:         24
        .size:           4
        .value_kind:     by_value
      - .offset:         28
        .size:           4
        .value_kind:     by_value
      - .offset:         32
        .size:           4
        .value_kind:     by_value
      - .offset:         36
        .size:           4
        .value_kind:     by_value
      - .offset:         40
        .size:           12
        .value_kind:     by_value
      - .offset:         52
        .size:           12
        .value_kind:     by_value
      - .offset:         64
        .size:           12
        .value_kind:     by_value
    .group_segment_fixed_size: 0
    .kernarg_segment_align: 8
    .kernarg_segment_size: 76
    .language:       OpenCL C
    .language_version:
      - 2
      - 0
    .max_flat_workgroup_size: 128
    .name:           _ZL33flash_attn_stream_k_fixup_uniformILi128ELi4ELi4EEvPfPK15HIP_vector_typeIfLj2EEiiiiiiS1_IjLj3EES5_S5_
    .private_segment_fixed_size: 0
    .sgpr_count:     24
    .sgpr_spill_count: 0
    .symbol:         _ZL33flash_attn_stream_k_fixup_uniformILi128ELi4ELi4EEvPfPK15HIP_vector_typeIfLj2EEiiiiiiS1_IjLj3EES5_S5_.kd
    .uniform_work_group_size: 1
    .uses_dynamic_stack: false
    .vgpr_count:     17
    .vgpr_spill_count: 0
    .wavefront_size: 64
  - .agpr_count:     0
    .args:
      - .address_space:  global
        .offset:         0
        .size:           8
        .value_kind:     global_buffer
      - .address_space:  global
        .offset:         8
        .size:           8
        .value_kind:     global_buffer
      - .offset:         16
        .size:           4
        .value_kind:     by_value
      - .offset:         20
        .size:           4
        .value_kind:     by_value
      - .offset:         24
        .size:           4
        .value_kind:     by_value
      - .offset:         28
        .size:           4
        .value_kind:     by_value
      - .offset:         32
        .size:           12
        .value_kind:     by_value
      - .offset:         44
        .size:           12
        .value_kind:     by_value
      - .offset:         56
        .size:           12
        .value_kind:     by_value
      - .offset:         68
        .size:           12
        .value_kind:     by_value
      - .offset:         80
        .size:           4
        .value_kind:     hidden_block_count_x
      - .offset:         84
        .size:           4
        .value_kind:     hidden_block_count_y
      - .offset:         88
        .size:           4
        .value_kind:     hidden_block_count_z
      - .offset:         92
        .size:           2
        .value_kind:     hidden_group_size_x
      - .offset:         94
        .size:           2
        .value_kind:     hidden_group_size_y
      - .offset:         96
        .size:           2
        .value_kind:     hidden_group_size_z
      - .offset:         98
        .size:           2
        .value_kind:     hidden_remainder_x
      - .offset:         100
        .size:           2
        .value_kind:     hidden_remainder_y
      - .offset:         102
        .size:           2
        .value_kind:     hidden_remainder_z
      - .offset:         120
        .size:           8
        .value_kind:     hidden_global_offset_x
      - .offset:         128
        .size:           8
        .value_kind:     hidden_global_offset_y
      - .offset:         136
        .size:           8
        .value_kind:     hidden_global_offset_z
      - .offset:         144
        .size:           2
        .value_kind:     hidden_grid_dims
    .group_segment_fixed_size: 0
    .kernarg_segment_align: 8
    .kernarg_segment_size: 336
    .language:       OpenCL C
    .language_version:
      - 2
      - 0
    .max_flat_workgroup_size: 128
    .name:           _ZL33flash_attn_stream_k_fixup_generalILi128ELi4ELi4EEvPfPK15HIP_vector_typeIfLj2EEiiiiS1_IjLj3EES5_S5_S5_
    .private_segment_fixed_size: 0
    .sgpr_count:     36
    .sgpr_spill_count: 0
    .symbol:         _ZL33flash_attn_stream_k_fixup_generalILi128ELi4ELi4EEvPfPK15HIP_vector_typeIfLj2EEiiiiS1_IjLj3EES5_S5_S5_.kd
    .uniform_work_group_size: 1
    .uses_dynamic_stack: false
    .vgpr_count:     22
    .vgpr_spill_count: 0
    .wavefront_size: 64
  - .agpr_count:     0
    .args:
      - .address_space:  global
        .offset:         0
        .size:           8
        .value_kind:     global_buffer
      - .address_space:  global
        .offset:         8
        .size:           8
        .value_kind:     global_buffer
      - .address_space:  global
        .offset:         16
        .size:           8
        .value_kind:     global_buffer
      - .address_space:  global
        .offset:         24
        .size:           8
        .value_kind:     global_buffer
      - .address_space:  global
        .offset:         32
        .size:           8
        .value_kind:     global_buffer
      - .address_space:  global
        .offset:         40
        .size:           8
        .value_kind:     global_buffer
      - .address_space:  global
        .offset:         48
        .size:           8
        .value_kind:     global_buffer
      - .address_space:  global
        .offset:         56
        .size:           8
        .value_kind:     global_buffer
      - .offset:         64
        .size:           4
        .value_kind:     by_value
      - .offset:         68
        .size:           4
        .value_kind:     by_value
      - .offset:         72
        .size:           4
        .value_kind:     by_value
      - .offset:         76
        .size:           4
        .value_kind:     by_value
      - .offset:         80
        .size:           4
        .value_kind:     by_value
      - .offset:         84
        .size:           4
        .value_kind:     by_value
      - .offset:         88
        .size:           4
        .value_kind:     by_value
      - .offset:         92
        .size:           12
        .value_kind:     by_value
      - .offset:         104
        .size:           4
        .value_kind:     by_value
      - .offset:         108
        .size:           4
        .value_kind:     by_value
      - .offset:         112
        .size:           4
        .value_kind:     by_value
      - .offset:         116
        .size:           4
        .value_kind:     by_value
      - .offset:         120
        .size:           4
        .value_kind:     by_value
      - .offset:         124
        .size:           4
        .value_kind:     by_value
      - .offset:         128
        .size:           4
        .value_kind:     by_value
      - .offset:         132
        .size:           4
        .value_kind:     by_value
      - .offset:         136
        .size:           4
        .value_kind:     by_value
      - .offset:         140
        .size:           4
        .value_kind:     by_value
      - .offset:         144
        .size:           4
        .value_kind:     by_value
      - .offset:         152
        .size:           8
        .value_kind:     by_value
      - .offset:         160
        .size:           4
        .value_kind:     by_value
      - .offset:         164
        .size:           4
        .value_kind:     by_value
      - .offset:         168
        .size:           8
        .value_kind:     by_value
      - .offset:         176
        .size:           4
        .value_kind:     by_value
      - .offset:         180
        .size:           4
        .value_kind:     by_value
      - .offset:         184
        .size:           4
        .value_kind:     by_value
      - .offset:         188
        .size:           4
        .value_kind:     by_value
      - .offset:         192
        .size:           4
        .value_kind:     by_value
      - .offset:         200
        .size:           8
        .value_kind:     by_value
      - .offset:         208
        .size:           4
        .value_kind:     hidden_block_count_x
      - .offset:         212
        .size:           4
        .value_kind:     hidden_block_count_y
      - .offset:         216
        .size:           4
        .value_kind:     hidden_block_count_z
      - .offset:         220
        .size:           2
        .value_kind:     hidden_group_size_x
      - .offset:         222
        .size:           2
        .value_kind:     hidden_group_size_y
      - .offset:         224
        .size:           2
        .value_kind:     hidden_group_size_z
      - .offset:         226
        .size:           2
        .value_kind:     hidden_remainder_x
      - .offset:         228
        .size:           2
        .value_kind:     hidden_remainder_y
      - .offset:         230
        .size:           2
        .value_kind:     hidden_remainder_z
      - .offset:         248
        .size:           8
        .value_kind:     hidden_global_offset_x
      - .offset:         256
        .size:           8
        .value_kind:     hidden_global_offset_y
      - .offset:         264
        .size:           8
        .value_kind:     hidden_global_offset_z
      - .offset:         272
        .size:           2
        .value_kind:     hidden_grid_dims
    .group_segment_fixed_size: 20480
    .kernarg_segment_align: 8
    .kernarg_segment_size: 464
    .language:       OpenCL C
    .language_version:
      - 2
      - 0
    .max_flat_workgroup_size: 256
    .name:           _ZL15flash_attn_tileILi128ELi128ELi2ELi4ELb0EEvPKcS1_S1_S1_S1_PKiPfP15HIP_vector_typeIfLj2EEffffjfiS5_IjLj3EEiiiiiiiiiiiliiliiiiil
    .private_segment_fixed_size: 0
    .sgpr_count:     48
    .sgpr_spill_count: 0
    .symbol:         _ZL15flash_attn_tileILi128ELi128ELi2ELi4ELb0EEvPKcS1_S1_S1_S1_PKiPfP15HIP_vector_typeIfLj2EEffffjfiS5_IjLj3EEiiiiiiiiiiiliiliiiiil.kd
    .uniform_work_group_size: 1
    .uses_dynamic_stack: false
    .vgpr_count:     160
    .vgpr_spill_count: 0
    .wavefront_size: 64
  - .agpr_count:     0
    .args:
      - .address_space:  global
        .offset:         0
        .size:           8
        .value_kind:     global_buffer
      - .address_space:  global
        .offset:         8
        .size:           8
        .value_kind:     global_buffer
      - .offset:         16
        .size:           4
        .value_kind:     by_value
      - .offset:         20
        .size:           4
        .value_kind:     by_value
      - .offset:         24
        .size:           4
        .value_kind:     by_value
      - .offset:         28
        .size:           4
        .value_kind:     by_value
      - .offset:         32
        .size:           4
        .value_kind:     by_value
      - .offset:         36
        .size:           4
        .value_kind:     by_value
      - .offset:         40
        .size:           12
        .value_kind:     by_value
      - .offset:         52
        .size:           12
        .value_kind:     by_value
      - .offset:         64
        .size:           12
        .value_kind:     by_value
    .group_segment_fixed_size: 0
    .kernarg_segment_align: 8
    .kernarg_segment_size: 76
    .language:       OpenCL C
    .language_version:
      - 2
      - 0
    .max_flat_workgroup_size: 128
    .name:           _ZL33flash_attn_stream_k_fixup_uniformILi128ELi2ELi4EEvPfPK15HIP_vector_typeIfLj2EEiiiiiiS1_IjLj3EES5_S5_
    .private_segment_fixed_size: 0
    .sgpr_count:     24
    .sgpr_spill_count: 0
    .symbol:         _ZL33flash_attn_stream_k_fixup_uniformILi128ELi2ELi4EEvPfPK15HIP_vector_typeIfLj2EEiiiiiiS1_IjLj3EES5_S5_.kd
    .uniform_work_group_size: 1
    .uses_dynamic_stack: false
    .vgpr_count:     17
    .vgpr_spill_count: 0
    .wavefront_size: 64
  - .agpr_count:     0
    .args:
      - .address_space:  global
        .offset:         0
        .size:           8
        .value_kind:     global_buffer
      - .address_space:  global
        .offset:         8
        .size:           8
        .value_kind:     global_buffer
      - .offset:         16
        .size:           4
        .value_kind:     by_value
      - .offset:         20
        .size:           4
        .value_kind:     by_value
      - .offset:         24
        .size:           4
        .value_kind:     by_value
      - .offset:         28
        .size:           4
        .value_kind:     by_value
      - .offset:         32
        .size:           12
        .value_kind:     by_value
      - .offset:         44
        .size:           12
        .value_kind:     by_value
      - .offset:         56
        .size:           12
        .value_kind:     by_value
      - .offset:         68
        .size:           12
        .value_kind:     by_value
      - .offset:         80
        .size:           4
        .value_kind:     hidden_block_count_x
      - .offset:         84
        .size:           4
        .value_kind:     hidden_block_count_y
      - .offset:         88
        .size:           4
        .value_kind:     hidden_block_count_z
      - .offset:         92
        .size:           2
        .value_kind:     hidden_group_size_x
      - .offset:         94
        .size:           2
        .value_kind:     hidden_group_size_y
      - .offset:         96
        .size:           2
        .value_kind:     hidden_group_size_z
      - .offset:         98
        .size:           2
        .value_kind:     hidden_remainder_x
      - .offset:         100
        .size:           2
        .value_kind:     hidden_remainder_y
      - .offset:         102
        .size:           2
        .value_kind:     hidden_remainder_z
      - .offset:         120
        .size:           8
        .value_kind:     hidden_global_offset_x
      - .offset:         128
        .size:           8
        .value_kind:     hidden_global_offset_y
      - .offset:         136
        .size:           8
        .value_kind:     hidden_global_offset_z
      - .offset:         144
        .size:           2
        .value_kind:     hidden_grid_dims
    .group_segment_fixed_size: 0
    .kernarg_segment_align: 8
    .kernarg_segment_size: 336
    .language:       OpenCL C
    .language_version:
      - 2
      - 0
    .max_flat_workgroup_size: 128
    .name:           _ZL33flash_attn_stream_k_fixup_generalILi128ELi2ELi4EEvPfPK15HIP_vector_typeIfLj2EEiiiiS1_IjLj3EES5_S5_S5_
    .private_segment_fixed_size: 0
    .sgpr_count:     36
    .sgpr_spill_count: 0
    .symbol:         _ZL33flash_attn_stream_k_fixup_generalILi128ELi2ELi4EEvPfPK15HIP_vector_typeIfLj2EEiiiiS1_IjLj3EES5_S5_S5_.kd
    .uniform_work_group_size: 1
    .uses_dynamic_stack: false
    .vgpr_count:     22
    .vgpr_spill_count: 0
    .wavefront_size: 64
  - .agpr_count:     0
    .args:
      - .address_space:  global
        .offset:         0
        .size:           8
        .value_kind:     global_buffer
      - .address_space:  global
        .offset:         8
        .size:           8
        .value_kind:     global_buffer
      - .address_space:  global
        .offset:         16
        .size:           8
        .value_kind:     global_buffer
      - .address_space:  global
        .offset:         24
        .size:           8
        .value_kind:     global_buffer
      - .address_space:  global
        .offset:         32
        .size:           8
        .value_kind:     global_buffer
      - .address_space:  global
        .offset:         40
        .size:           8
        .value_kind:     global_buffer
      - .address_space:  global
        .offset:         48
        .size:           8
        .value_kind:     global_buffer
      - .address_space:  global
        .offset:         56
        .size:           8
        .value_kind:     global_buffer
      - .offset:         64
        .size:           4
        .value_kind:     by_value
      - .offset:         68
        .size:           4
        .value_kind:     by_value
      - .offset:         72
        .size:           4
        .value_kind:     by_value
      - .offset:         76
        .size:           4
        .value_kind:     by_value
      - .offset:         80
        .size:           4
        .value_kind:     by_value
      - .offset:         84
        .size:           4
        .value_kind:     by_value
      - .offset:         88
        .size:           4
        .value_kind:     by_value
      - .offset:         92
        .size:           12
        .value_kind:     by_value
      - .offset:         104
        .size:           4
        .value_kind:     by_value
      - .offset:         108
        .size:           4
        .value_kind:     by_value
      - .offset:         112
        .size:           4
        .value_kind:     by_value
      - .offset:         116
        .size:           4
        .value_kind:     by_value
      - .offset:         120
        .size:           4
        .value_kind:     by_value
      - .offset:         124
        .size:           4
        .value_kind:     by_value
      - .offset:         128
        .size:           4
        .value_kind:     by_value
      - .offset:         132
        .size:           4
        .value_kind:     by_value
      - .offset:         136
        .size:           4
        .value_kind:     by_value
      - .offset:         140
        .size:           4
        .value_kind:     by_value
      - .offset:         144
        .size:           4
        .value_kind:     by_value
      - .offset:         152
        .size:           8
        .value_kind:     by_value
      - .offset:         160
        .size:           4
        .value_kind:     by_value
      - .offset:         164
        .size:           4
        .value_kind:     by_value
      - .offset:         168
        .size:           8
        .value_kind:     by_value
      - .offset:         176
        .size:           4
        .value_kind:     by_value
      - .offset:         180
        .size:           4
        .value_kind:     by_value
      - .offset:         184
        .size:           4
        .value_kind:     by_value
      - .offset:         188
        .size:           4
        .value_kind:     by_value
      - .offset:         192
        .size:           4
        .value_kind:     by_value
      - .offset:         200
        .size:           8
        .value_kind:     by_value
      - .offset:         208
        .size:           4
        .value_kind:     hidden_block_count_x
      - .offset:         212
        .size:           4
        .value_kind:     hidden_block_count_y
      - .offset:         216
        .size:           4
        .value_kind:     hidden_block_count_z
      - .offset:         220
        .size:           2
        .value_kind:     hidden_group_size_x
      - .offset:         222
        .size:           2
        .value_kind:     hidden_group_size_y
      - .offset:         224
        .size:           2
        .value_kind:     hidden_group_size_z
      - .offset:         226
        .size:           2
        .value_kind:     hidden_remainder_x
      - .offset:         228
        .size:           2
        .value_kind:     hidden_remainder_y
      - .offset:         230
        .size:           2
        .value_kind:     hidden_remainder_z
      - .offset:         248
        .size:           8
        .value_kind:     hidden_global_offset_x
      - .offset:         256
        .size:           8
        .value_kind:     hidden_global_offset_y
      - .offset:         264
        .size:           8
        .value_kind:     hidden_global_offset_z
      - .offset:         272
        .size:           2
        .value_kind:     hidden_grid_dims
    .group_segment_fixed_size: 18944
    .kernarg_segment_align: 8
    .kernarg_segment_size: 464
    .language:       OpenCL C
    .language_version:
      - 2
      - 0
    .max_flat_workgroup_size: 128
    .name:           _ZL15flash_attn_tileILi128ELi128ELi1ELi4ELb0EEvPKcS1_S1_S1_S1_PKiPfP15HIP_vector_typeIfLj2EEffffjfiS5_IjLj3EEiiiiiiiiiiiliiliiiiil
    .private_segment_fixed_size: 0
    .sgpr_count:     48
    .sgpr_spill_count: 0
    .symbol:         _ZL15flash_attn_tileILi128ELi128ELi1ELi4ELb0EEvPKcS1_S1_S1_S1_PKiPfP15HIP_vector_typeIfLj2EEffffjfiS5_IjLj3EEiiiiiiiiiiiliiliiiiil.kd
    .uniform_work_group_size: 1
    .uses_dynamic_stack: false
    .vgpr_count:     240
    .vgpr_spill_count: 0
    .wavefront_size: 64
  - .agpr_count:     0
    .args:
      - .address_space:  global
        .offset:         0
        .size:           8
        .value_kind:     global_buffer
      - .address_space:  global
        .offset:         8
        .size:           8
        .value_kind:     global_buffer
      - .offset:         16
        .size:           4
        .value_kind:     by_value
      - .offset:         20
        .size:           4
        .value_kind:     by_value
      - .offset:         24
        .size:           4
        .value_kind:     by_value
      - .offset:         28
        .size:           4
        .value_kind:     by_value
      - .offset:         32
        .size:           4
        .value_kind:     by_value
      - .offset:         36
        .size:           4
        .value_kind:     by_value
      - .offset:         40
        .size:           12
        .value_kind:     by_value
      - .offset:         52
        .size:           12
        .value_kind:     by_value
      - .offset:         64
        .size:           12
        .value_kind:     by_value
    .group_segment_fixed_size: 0
    .kernarg_segment_align: 8
    .kernarg_segment_size: 76
    .language:       OpenCL C
    .language_version:
      - 2
      - 0
    .max_flat_workgroup_size: 128
    .name:           _ZL33flash_attn_stream_k_fixup_uniformILi128ELi1ELi4EEvPfPK15HIP_vector_typeIfLj2EEiiiiiiS1_IjLj3EES5_S5_
    .private_segment_fixed_size: 0
    .sgpr_count:     24
    .sgpr_spill_count: 0
    .symbol:         _ZL33flash_attn_stream_k_fixup_uniformILi128ELi1ELi4EEvPfPK15HIP_vector_typeIfLj2EEiiiiiiS1_IjLj3EES5_S5_.kd
    .uniform_work_group_size: 1
    .uses_dynamic_stack: false
    .vgpr_count:     17
    .vgpr_spill_count: 0
    .wavefront_size: 64
  - .agpr_count:     0
    .args:
      - .address_space:  global
        .offset:         0
        .size:           8
        .value_kind:     global_buffer
      - .address_space:  global
        .offset:         8
        .size:           8
        .value_kind:     global_buffer
      - .offset:         16
        .size:           4
        .value_kind:     by_value
      - .offset:         20
        .size:           4
        .value_kind:     by_value
      - .offset:         24
        .size:           4
        .value_kind:     by_value
      - .offset:         28
        .size:           4
        .value_kind:     by_value
      - .offset:         32
        .size:           12
        .value_kind:     by_value
      - .offset:         44
        .size:           12
        .value_kind:     by_value
      - .offset:         56
        .size:           12
        .value_kind:     by_value
      - .offset:         68
        .size:           12
        .value_kind:     by_value
      - .offset:         80
        .size:           4
        .value_kind:     hidden_block_count_x
      - .offset:         84
        .size:           4
        .value_kind:     hidden_block_count_y
      - .offset:         88
        .size:           4
        .value_kind:     hidden_block_count_z
      - .offset:         92
        .size:           2
        .value_kind:     hidden_group_size_x
      - .offset:         94
        .size:           2
        .value_kind:     hidden_group_size_y
      - .offset:         96
        .size:           2
        .value_kind:     hidden_group_size_z
      - .offset:         98
        .size:           2
        .value_kind:     hidden_remainder_x
      - .offset:         100
        .size:           2
        .value_kind:     hidden_remainder_y
      - .offset:         102
        .size:           2
        .value_kind:     hidden_remainder_z
      - .offset:         120
        .size:           8
        .value_kind:     hidden_global_offset_x
      - .offset:         128
        .size:           8
        .value_kind:     hidden_global_offset_y
      - .offset:         136
        .size:           8
        .value_kind:     hidden_global_offset_z
      - .offset:         144
        .size:           2
        .value_kind:     hidden_grid_dims
    .group_segment_fixed_size: 0
    .kernarg_segment_align: 8
    .kernarg_segment_size: 336
    .language:       OpenCL C
    .language_version:
      - 2
      - 0
    .max_flat_workgroup_size: 128
    .name:           _ZL33flash_attn_stream_k_fixup_generalILi128ELi1ELi4EEvPfPK15HIP_vector_typeIfLj2EEiiiiS1_IjLj3EES5_S5_S5_
    .private_segment_fixed_size: 0
    .sgpr_count:     36
    .sgpr_spill_count: 0
    .symbol:         _ZL33flash_attn_stream_k_fixup_generalILi128ELi1ELi4EEvPfPK15HIP_vector_typeIfLj2EEiiiiS1_IjLj3EES5_S5_S5_.kd
    .uniform_work_group_size: 1
    .uses_dynamic_stack: false
    .vgpr_count:     22
    .vgpr_spill_count: 0
    .wavefront_size: 64
  - .agpr_count:     0
    .args:
      - .address_space:  global
        .offset:         0
        .size:           8
        .value_kind:     global_buffer
      - .address_space:  global
        .offset:         8
        .size:           8
        .value_kind:     global_buffer
      - .address_space:  global
        .offset:         16
        .size:           8
        .value_kind:     global_buffer
      - .address_space:  global
        .offset:         24
        .size:           8
        .value_kind:     global_buffer
      - .address_space:  global
        .offset:         32
        .size:           8
        .value_kind:     global_buffer
      - .address_space:  global
        .offset:         40
        .size:           8
        .value_kind:     global_buffer
      - .address_space:  global
        .offset:         48
        .size:           8
        .value_kind:     global_buffer
      - .address_space:  global
        .offset:         56
        .size:           8
        .value_kind:     global_buffer
      - .offset:         64
        .size:           4
        .value_kind:     by_value
      - .offset:         68
        .size:           4
        .value_kind:     by_value
      - .offset:         72
        .size:           4
        .value_kind:     by_value
      - .offset:         76
        .size:           4
        .value_kind:     by_value
      - .offset:         80
        .size:           4
        .value_kind:     by_value
      - .offset:         84
        .size:           4
        .value_kind:     by_value
      - .offset:         88
        .size:           4
        .value_kind:     by_value
      - .offset:         92
        .size:           12
        .value_kind:     by_value
      - .offset:         104
        .size:           4
        .value_kind:     by_value
      - .offset:         108
        .size:           4
        .value_kind:     by_value
      - .offset:         112
        .size:           4
        .value_kind:     by_value
      - .offset:         116
        .size:           4
        .value_kind:     by_value
      - .offset:         120
        .size:           4
        .value_kind:     by_value
      - .offset:         124
        .size:           4
        .value_kind:     by_value
      - .offset:         128
        .size:           4
        .value_kind:     by_value
      - .offset:         132
        .size:           4
        .value_kind:     by_value
      - .offset:         136
        .size:           4
        .value_kind:     by_value
      - .offset:         140
        .size:           4
        .value_kind:     by_value
      - .offset:         144
        .size:           4
        .value_kind:     by_value
      - .offset:         152
        .size:           8
        .value_kind:     by_value
      - .offset:         160
        .size:           4
        .value_kind:     by_value
      - .offset:         164
        .size:           4
        .value_kind:     by_value
      - .offset:         168
        .size:           8
        .value_kind:     by_value
      - .offset:         176
        .size:           4
        .value_kind:     by_value
      - .offset:         180
        .size:           4
        .value_kind:     by_value
      - .offset:         184
        .size:           4
        .value_kind:     by_value
      - .offset:         188
        .size:           4
        .value_kind:     by_value
      - .offset:         192
        .size:           4
        .value_kind:     by_value
      - .offset:         200
        .size:           8
        .value_kind:     by_value
      - .offset:         208
        .size:           4
        .value_kind:     hidden_block_count_x
      - .offset:         212
        .size:           4
        .value_kind:     hidden_block_count_y
      - .offset:         216
        .size:           4
        .value_kind:     hidden_block_count_z
      - .offset:         220
        .size:           2
        .value_kind:     hidden_group_size_x
      - .offset:         222
        .size:           2
        .value_kind:     hidden_group_size_y
      - .offset:         224
        .size:           2
        .value_kind:     hidden_group_size_z
      - .offset:         226
        .size:           2
        .value_kind:     hidden_remainder_x
      - .offset:         228
        .size:           2
        .value_kind:     hidden_remainder_y
      - .offset:         230
        .size:           2
        .value_kind:     hidden_remainder_z
      - .offset:         248
        .size:           8
        .value_kind:     hidden_global_offset_x
      - .offset:         256
        .size:           8
        .value_kind:     hidden_global_offset_y
      - .offset:         264
        .size:           8
        .value_kind:     hidden_global_offset_z
      - .offset:         272
        .size:           2
        .value_kind:     hidden_grid_dims
    .group_segment_fixed_size: 29696
    .kernarg_segment_align: 8
    .kernarg_segment_size: 464
    .language:       OpenCL C
    .language_version:
      - 2
      - 0
    .max_flat_workgroup_size: 256
    .name:           _ZL15flash_attn_tileILi128ELi128ELi32ELi2ELb0EEvPKcS1_S1_S1_S1_PKiPfP15HIP_vector_typeIfLj2EEffffjfiS5_IjLj3EEiiiiiiiiiiiliiliiiiil
    .private_segment_fixed_size: 0
    .sgpr_count:     74
    .sgpr_spill_count: 0
    .symbol:         _ZL15flash_attn_tileILi128ELi128ELi32ELi2ELb0EEvPKcS1_S1_S1_S1_PKiPfP15HIP_vector_typeIfLj2EEffffjfiS5_IjLj3EEiiiiiiiiiiiliiliiiiil.kd
    .uniform_work_group_size: 1
    .uses_dynamic_stack: false
    .vgpr_count:     181
    .vgpr_spill_count: 0
    .wavefront_size: 64
  - .agpr_count:     0
    .args:
      - .actual_access:  read_only
        .address_space:  global
        .offset:         0
        .size:           8
        .value_kind:     global_buffer
      - .actual_access:  write_only
        .address_space:  global
        .offset:         8
        .size:           8
        .value_kind:     global_buffer
      - .offset:         16
        .size:           4
        .value_kind:     by_value
      - .offset:         20
        .size:           4
        .value_kind:     by_value
      - .offset:         24
        .size:           4
        .value_kind:     by_value
      - .offset:         32
        .size:           4
        .value_kind:     hidden_block_count_x
      - .offset:         36
        .size:           4
        .value_kind:     hidden_block_count_y
      - .offset:         40
        .size:           4
        .value_kind:     hidden_block_count_z
      - .offset:         44
        .size:           2
        .value_kind:     hidden_group_size_x
      - .offset:         46
        .size:           2
        .value_kind:     hidden_group_size_y
      - .offset:         48
        .size:           2
        .value_kind:     hidden_group_size_z
      - .offset:         50
        .size:           2
        .value_kind:     hidden_remainder_x
      - .offset:         52
        .size:           2
        .value_kind:     hidden_remainder_y
      - .offset:         54
        .size:           2
        .value_kind:     hidden_remainder_z
      - .offset:         72
        .size:           8
        .value_kind:     hidden_global_offset_x
      - .offset:         80
        .size:           8
        .value_kind:     hidden_global_offset_y
      - .offset:         88
        .size:           8
        .value_kind:     hidden_global_offset_z
      - .offset:         96
        .size:           2
        .value_kind:     hidden_grid_dims
    .group_segment_fixed_size: 128
    .kernarg_segment_align: 8
    .kernarg_segment_size: 288
    .language:       OpenCL C
    .language_version:
      - 2
      - 0
    .max_flat_workgroup_size: 128
    .name:           _ZL25flash_attn_mask_to_KV_maxILi32EEvPK7__half2Piiii
    .private_segment_fixed_size: 0
    .sgpr_count:     100
    .sgpr_spill_count: 48
    .symbol:         _ZL25flash_attn_mask_to_KV_maxILi32EEvPK7__half2Piiii.kd
    .uniform_work_group_size: 1
    .uses_dynamic_stack: false
    .vgpr_count:     13
    .vgpr_spill_count: 0
    .wavefront_size: 64
  - .agpr_count:     0
    .args:
      - .address_space:  global
        .offset:         0
        .size:           8
        .value_kind:     global_buffer
      - .address_space:  global
        .offset:         8
        .size:           8
        .value_kind:     global_buffer
      - .offset:         16
        .size:           4
        .value_kind:     by_value
      - .offset:         20
        .size:           4
        .value_kind:     by_value
      - .offset:         24
        .size:           4
        .value_kind:     by_value
      - .offset:         28
        .size:           4
        .value_kind:     by_value
      - .offset:         32
        .size:           4
        .value_kind:     by_value
      - .offset:         36
        .size:           4
        .value_kind:     by_value
      - .offset:         40
        .size:           12
        .value_kind:     by_value
      - .offset:         52
        .size:           12
        .value_kind:     by_value
      - .offset:         64
        .size:           12
        .value_kind:     by_value
    .group_segment_fixed_size: 0
    .kernarg_segment_align: 8
    .kernarg_segment_size: 76
    .language:       OpenCL C
    .language_version:
      - 2
      - 0
    .max_flat_workgroup_size: 128
    .name:           _ZL33flash_attn_stream_k_fixup_uniformILi128ELi32ELi2EEvPfPK15HIP_vector_typeIfLj2EEiiiiiiS1_IjLj3EES5_S5_
    .private_segment_fixed_size: 0
    .sgpr_count:     24
    .sgpr_spill_count: 0
    .symbol:         _ZL33flash_attn_stream_k_fixup_uniformILi128ELi32ELi2EEvPfPK15HIP_vector_typeIfLj2EEiiiiiiS1_IjLj3EES5_S5_.kd
    .uniform_work_group_size: 1
    .uses_dynamic_stack: false
    .vgpr_count:     17
    .vgpr_spill_count: 0
    .wavefront_size: 64
  - .agpr_count:     0
    .args:
      - .address_space:  global
        .offset:         0
        .size:           8
        .value_kind:     global_buffer
      - .address_space:  global
        .offset:         8
        .size:           8
        .value_kind:     global_buffer
      - .offset:         16
        .size:           4
        .value_kind:     by_value
      - .offset:         20
        .size:           4
        .value_kind:     by_value
      - .offset:         24
        .size:           4
        .value_kind:     by_value
      - .offset:         28
        .size:           4
        .value_kind:     by_value
      - .offset:         32
        .size:           12
        .value_kind:     by_value
      - .offset:         44
        .size:           12
        .value_kind:     by_value
      - .offset:         56
        .size:           12
        .value_kind:     by_value
      - .offset:         68
        .size:           12
        .value_kind:     by_value
      - .offset:         80
        .size:           4
        .value_kind:     hidden_block_count_x
      - .offset:         84
        .size:           4
        .value_kind:     hidden_block_count_y
      - .offset:         88
        .size:           4
        .value_kind:     hidden_block_count_z
      - .offset:         92
        .size:           2
        .value_kind:     hidden_group_size_x
      - .offset:         94
        .size:           2
        .value_kind:     hidden_group_size_y
      - .offset:         96
        .size:           2
        .value_kind:     hidden_group_size_z
      - .offset:         98
        .size:           2
        .value_kind:     hidden_remainder_x
      - .offset:         100
        .size:           2
        .value_kind:     hidden_remainder_y
      - .offset:         102
        .size:           2
        .value_kind:     hidden_remainder_z
      - .offset:         120
        .size:           8
        .value_kind:     hidden_global_offset_x
      - .offset:         128
        .size:           8
        .value_kind:     hidden_global_offset_y
      - .offset:         136
        .size:           8
        .value_kind:     hidden_global_offset_z
      - .offset:         144
        .size:           2
        .value_kind:     hidden_grid_dims
    .group_segment_fixed_size: 0
    .kernarg_segment_align: 8
    .kernarg_segment_size: 336
    .language:       OpenCL C
    .language_version:
      - 2
      - 0
    .max_flat_workgroup_size: 128
    .name:           _ZL33flash_attn_stream_k_fixup_generalILi128ELi32ELi2EEvPfPK15HIP_vector_typeIfLj2EEiiiiS1_IjLj3EES5_S5_S5_
    .private_segment_fixed_size: 0
    .sgpr_count:     36
    .sgpr_spill_count: 0
    .symbol:         _ZL33flash_attn_stream_k_fixup_generalILi128ELi32ELi2EEvPfPK15HIP_vector_typeIfLj2EEiiiiS1_IjLj3EES5_S5_S5_.kd
    .uniform_work_group_size: 1
    .uses_dynamic_stack: false
    .vgpr_count:     22
    .vgpr_spill_count: 0
    .wavefront_size: 64
  - .agpr_count:     0
    .args:
      - .address_space:  global
        .offset:         0
        .size:           8
        .value_kind:     global_buffer
      - .address_space:  global
        .offset:         8
        .size:           8
        .value_kind:     global_buffer
      - .address_space:  global
        .offset:         16
        .size:           8
        .value_kind:     global_buffer
      - .address_space:  global
        .offset:         24
        .size:           8
        .value_kind:     global_buffer
      - .address_space:  global
        .offset:         32
        .size:           8
        .value_kind:     global_buffer
      - .address_space:  global
        .offset:         40
        .size:           8
        .value_kind:     global_buffer
      - .address_space:  global
        .offset:         48
        .size:           8
        .value_kind:     global_buffer
      - .address_space:  global
        .offset:         56
        .size:           8
        .value_kind:     global_buffer
      - .offset:         64
        .size:           4
        .value_kind:     by_value
      - .offset:         68
        .size:           4
        .value_kind:     by_value
      - .offset:         72
        .size:           4
        .value_kind:     by_value
      - .offset:         76
        .size:           4
        .value_kind:     by_value
      - .offset:         80
        .size:           4
        .value_kind:     by_value
      - .offset:         84
        .size:           4
        .value_kind:     by_value
      - .offset:         88
        .size:           4
        .value_kind:     by_value
      - .offset:         92
        .size:           12
        .value_kind:     by_value
      - .offset:         104
        .size:           4
        .value_kind:     by_value
      - .offset:         108
        .size:           4
        .value_kind:     by_value
      - .offset:         112
        .size:           4
        .value_kind:     by_value
      - .offset:         116
        .size:           4
        .value_kind:     by_value
      - .offset:         120
        .size:           4
        .value_kind:     by_value
      - .offset:         124
        .size:           4
        .value_kind:     by_value
      - .offset:         128
        .size:           4
        .value_kind:     by_value
      - .offset:         132
        .size:           4
        .value_kind:     by_value
      - .offset:         136
        .size:           4
        .value_kind:     by_value
      - .offset:         140
        .size:           4
        .value_kind:     by_value
      - .offset:         144
        .size:           4
        .value_kind:     by_value
      - .offset:         152
        .size:           8
        .value_kind:     by_value
      - .offset:         160
        .size:           4
        .value_kind:     by_value
      - .offset:         164
        .size:           4
        .value_kind:     by_value
      - .offset:         168
        .size:           8
        .value_kind:     by_value
      - .offset:         176
        .size:           4
        .value_kind:     by_value
      - .offset:         180
        .size:           4
        .value_kind:     by_value
      - .offset:         184
        .size:           4
        .value_kind:     by_value
      - .offset:         188
        .size:           4
        .value_kind:     by_value
      - .offset:         192
        .size:           4
        .value_kind:     by_value
      - .offset:         200
        .size:           8
        .value_kind:     by_value
      - .offset:         208
        .size:           4
        .value_kind:     hidden_block_count_x
      - .offset:         212
        .size:           4
        .value_kind:     hidden_block_count_y
      - .offset:         216
        .size:           4
        .value_kind:     hidden_block_count_z
      - .offset:         220
        .size:           2
        .value_kind:     hidden_group_size_x
      - .offset:         222
        .size:           2
        .value_kind:     hidden_group_size_y
      - .offset:         224
        .size:           2
        .value_kind:     hidden_group_size_z
      - .offset:         226
        .size:           2
        .value_kind:     hidden_remainder_x
      - .offset:         228
        .size:           2
        .value_kind:     hidden_remainder_y
      - .offset:         230
        .size:           2
        .value_kind:     hidden_remainder_z
      - .offset:         248
        .size:           8
        .value_kind:     hidden_global_offset_x
      - .offset:         256
        .size:           8
        .value_kind:     hidden_global_offset_y
      - .offset:         264
        .size:           8
        .value_kind:     hidden_global_offset_z
      - .offset:         272
        .size:           2
        .value_kind:     hidden_grid_dims
    .group_segment_fixed_size: 21504
    .kernarg_segment_align: 8
    .kernarg_segment_size: 464
    .language:       OpenCL C
    .language_version:
      - 2
      - 0
    .max_flat_workgroup_size: 256
    .name:           _ZL15flash_attn_tileILi128ELi128ELi16ELi2ELb0EEvPKcS1_S1_S1_S1_PKiPfP15HIP_vector_typeIfLj2EEffffjfiS5_IjLj3EEiiiiiiiiiiiliiliiiiil
    .private_segment_fixed_size: 0
    .sgpr_count:     45
    .sgpr_spill_count: 0
    .symbol:         _ZL15flash_attn_tileILi128ELi128ELi16ELi2ELb0EEvPKcS1_S1_S1_S1_PKiPfP15HIP_vector_typeIfLj2EEffffjfiS5_IjLj3EEiiiiiiiiiiiliiliiiiil.kd
    .uniform_work_group_size: 1
    .uses_dynamic_stack: false
    .vgpr_count:     94
    .vgpr_spill_count: 0
    .wavefront_size: 64
  - .agpr_count:     0
    .args:
      - .address_space:  global
        .offset:         0
        .size:           8
        .value_kind:     global_buffer
      - .address_space:  global
        .offset:         8
        .size:           8
        .value_kind:     global_buffer
      - .offset:         16
        .size:           4
        .value_kind:     by_value
      - .offset:         20
        .size:           4
        .value_kind:     by_value
      - .offset:         24
        .size:           4
        .value_kind:     by_value
      - .offset:         28
        .size:           4
        .value_kind:     by_value
      - .offset:         32
        .size:           4
        .value_kind:     by_value
      - .offset:         36
        .size:           4
        .value_kind:     by_value
      - .offset:         40
        .size:           12
        .value_kind:     by_value
      - .offset:         52
        .size:           12
        .value_kind:     by_value
      - .offset:         64
        .size:           12
        .value_kind:     by_value
    .group_segment_fixed_size: 0
    .kernarg_segment_align: 8
    .kernarg_segment_size: 76
    .language:       OpenCL C
    .language_version:
      - 2
      - 0
    .max_flat_workgroup_size: 128
    .name:           _ZL33flash_attn_stream_k_fixup_uniformILi128ELi16ELi2EEvPfPK15HIP_vector_typeIfLj2EEiiiiiiS1_IjLj3EES5_S5_
    .private_segment_fixed_size: 0
    .sgpr_count:     24
    .sgpr_spill_count: 0
    .symbol:         _ZL33flash_attn_stream_k_fixup_uniformILi128ELi16ELi2EEvPfPK15HIP_vector_typeIfLj2EEiiiiiiS1_IjLj3EES5_S5_.kd
    .uniform_work_group_size: 1
    .uses_dynamic_stack: false
    .vgpr_count:     17
    .vgpr_spill_count: 0
    .wavefront_size: 64
  - .agpr_count:     0
    .args:
      - .address_space:  global
        .offset:         0
        .size:           8
        .value_kind:     global_buffer
      - .address_space:  global
        .offset:         8
        .size:           8
        .value_kind:     global_buffer
      - .offset:         16
        .size:           4
        .value_kind:     by_value
      - .offset:         20
        .size:           4
        .value_kind:     by_value
      - .offset:         24
        .size:           4
        .value_kind:     by_value
      - .offset:         28
        .size:           4
        .value_kind:     by_value
      - .offset:         32
        .size:           12
        .value_kind:     by_value
      - .offset:         44
        .size:           12
        .value_kind:     by_value
      - .offset:         56
        .size:           12
        .value_kind:     by_value
      - .offset:         68
        .size:           12
        .value_kind:     by_value
      - .offset:         80
        .size:           4
        .value_kind:     hidden_block_count_x
      - .offset:         84
        .size:           4
        .value_kind:     hidden_block_count_y
      - .offset:         88
        .size:           4
        .value_kind:     hidden_block_count_z
      - .offset:         92
        .size:           2
        .value_kind:     hidden_group_size_x
      - .offset:         94
        .size:           2
        .value_kind:     hidden_group_size_y
      - .offset:         96
        .size:           2
        .value_kind:     hidden_group_size_z
      - .offset:         98
        .size:           2
        .value_kind:     hidden_remainder_x
      - .offset:         100
        .size:           2
        .value_kind:     hidden_remainder_y
      - .offset:         102
        .size:           2
        .value_kind:     hidden_remainder_z
      - .offset:         120
        .size:           8
        .value_kind:     hidden_global_offset_x
      - .offset:         128
        .size:           8
        .value_kind:     hidden_global_offset_y
      - .offset:         136
        .size:           8
        .value_kind:     hidden_global_offset_z
      - .offset:         144
        .size:           2
        .value_kind:     hidden_grid_dims
    .group_segment_fixed_size: 0
    .kernarg_segment_align: 8
    .kernarg_segment_size: 336
    .language:       OpenCL C
    .language_version:
      - 2
      - 0
    .max_flat_workgroup_size: 128
    .name:           _ZL33flash_attn_stream_k_fixup_generalILi128ELi16ELi2EEvPfPK15HIP_vector_typeIfLj2EEiiiiS1_IjLj3EES5_S5_S5_
    .private_segment_fixed_size: 0
    .sgpr_count:     36
    .sgpr_spill_count: 0
    .symbol:         _ZL33flash_attn_stream_k_fixup_generalILi128ELi16ELi2EEvPfPK15HIP_vector_typeIfLj2EEiiiiS1_IjLj3EES5_S5_S5_.kd
    .uniform_work_group_size: 1
    .uses_dynamic_stack: false
    .vgpr_count:     22
    .vgpr_spill_count: 0
    .wavefront_size: 64
  - .agpr_count:     0
    .args:
      - .address_space:  global
        .offset:         0
        .size:           8
        .value_kind:     global_buffer
      - .address_space:  global
        .offset:         8
        .size:           8
        .value_kind:     global_buffer
      - .address_space:  global
        .offset:         16
        .size:           8
        .value_kind:     global_buffer
      - .address_space:  global
        .offset:         24
        .size:           8
        .value_kind:     global_buffer
      - .address_space:  global
        .offset:         32
        .size:           8
        .value_kind:     global_buffer
      - .address_space:  global
        .offset:         40
        .size:           8
        .value_kind:     global_buffer
      - .address_space:  global
        .offset:         48
        .size:           8
        .value_kind:     global_buffer
      - .address_space:  global
        .offset:         56
        .size:           8
        .value_kind:     global_buffer
      - .offset:         64
        .size:           4
        .value_kind:     by_value
      - .offset:         68
        .size:           4
        .value_kind:     by_value
      - .offset:         72
        .size:           4
        .value_kind:     by_value
      - .offset:         76
        .size:           4
        .value_kind:     by_value
      - .offset:         80
        .size:           4
        .value_kind:     by_value
      - .offset:         84
        .size:           4
        .value_kind:     by_value
      - .offset:         88
        .size:           4
        .value_kind:     by_value
      - .offset:         92
        .size:           12
        .value_kind:     by_value
      - .offset:         104
        .size:           4
        .value_kind:     by_value
      - .offset:         108
        .size:           4
        .value_kind:     by_value
      - .offset:         112
        .size:           4
        .value_kind:     by_value
      - .offset:         116
        .size:           4
        .value_kind:     by_value
      - .offset:         120
        .size:           4
        .value_kind:     by_value
      - .offset:         124
        .size:           4
        .value_kind:     by_value
      - .offset:         128
        .size:           4
        .value_kind:     by_value
      - .offset:         132
        .size:           4
        .value_kind:     by_value
      - .offset:         136
        .size:           4
        .value_kind:     by_value
      - .offset:         140
        .size:           4
        .value_kind:     by_value
      - .offset:         144
        .size:           4
        .value_kind:     by_value
      - .offset:         152
        .size:           8
        .value_kind:     by_value
      - .offset:         160
        .size:           4
        .value_kind:     by_value
      - .offset:         164
        .size:           4
        .value_kind:     by_value
      - .offset:         168
        .size:           8
        .value_kind:     by_value
      - .offset:         176
        .size:           4
        .value_kind:     by_value
      - .offset:         180
        .size:           4
        .value_kind:     by_value
      - .offset:         184
        .size:           4
        .value_kind:     by_value
      - .offset:         188
        .size:           4
        .value_kind:     by_value
      - .offset:         192
        .size:           4
        .value_kind:     by_value
      - .offset:         200
        .size:           8
        .value_kind:     by_value
      - .offset:         208
        .size:           4
        .value_kind:     hidden_block_count_x
      - .offset:         212
        .size:           4
        .value_kind:     hidden_block_count_y
      - .offset:         216
        .size:           4
        .value_kind:     hidden_block_count_z
      - .offset:         220
        .size:           2
        .value_kind:     hidden_group_size_x
      - .offset:         222
        .size:           2
        .value_kind:     hidden_group_size_y
      - .offset:         224
        .size:           2
        .value_kind:     hidden_group_size_z
      - .offset:         226
        .size:           2
        .value_kind:     hidden_remainder_x
      - .offset:         228
        .size:           2
        .value_kind:     hidden_remainder_y
      - .offset:         230
        .size:           2
        .value_kind:     hidden_remainder_z
      - .offset:         248
        .size:           8
        .value_kind:     hidden_global_offset_x
      - .offset:         256
        .size:           8
        .value_kind:     hidden_global_offset_y
      - .offset:         264
        .size:           8
        .value_kind:     hidden_global_offset_z
      - .offset:         272
        .size:           2
        .value_kind:     hidden_grid_dims
    .group_segment_fixed_size: 23552
    .kernarg_segment_align: 8
    .kernarg_segment_size: 464
    .language:       OpenCL C
    .language_version:
      - 2
      - 0
    .max_flat_workgroup_size: 256
    .name:           _ZL15flash_attn_tileILi128ELi128ELi8ELi2ELb0EEvPKcS1_S1_S1_S1_PKiPfP15HIP_vector_typeIfLj2EEffffjfiS5_IjLj3EEiiiiiiiiiiiliiliiiiil
    .private_segment_fixed_size: 0
    .sgpr_count:     56
    .sgpr_spill_count: 0
    .symbol:         _ZL15flash_attn_tileILi128ELi128ELi8ELi2ELb0EEvPKcS1_S1_S1_S1_PKiPfP15HIP_vector_typeIfLj2EEffffjfiS5_IjLj3EEiiiiiiiiiiiliiliiiiil.kd
    .uniform_work_group_size: 1
    .uses_dynamic_stack: false
    .vgpr_count:     248
    .vgpr_spill_count: 0
    .wavefront_size: 64
  - .agpr_count:     0
    .args:
      - .address_space:  global
        .offset:         0
        .size:           8
        .value_kind:     global_buffer
      - .address_space:  global
        .offset:         8
        .size:           8
        .value_kind:     global_buffer
      - .offset:         16
        .size:           4
        .value_kind:     by_value
      - .offset:         20
        .size:           4
        .value_kind:     by_value
      - .offset:         24
        .size:           4
        .value_kind:     by_value
      - .offset:         28
        .size:           4
        .value_kind:     by_value
      - .offset:         32
        .size:           4
        .value_kind:     by_value
      - .offset:         36
        .size:           4
        .value_kind:     by_value
      - .offset:         40
        .size:           12
        .value_kind:     by_value
      - .offset:         52
        .size:           12
        .value_kind:     by_value
      - .offset:         64
        .size:           12
        .value_kind:     by_value
    .group_segment_fixed_size: 0
    .kernarg_segment_align: 8
    .kernarg_segment_size: 76
    .language:       OpenCL C
    .language_version:
      - 2
      - 0
    .max_flat_workgroup_size: 128
    .name:           _ZL33flash_attn_stream_k_fixup_uniformILi128ELi8ELi2EEvPfPK15HIP_vector_typeIfLj2EEiiiiiiS1_IjLj3EES5_S5_
    .private_segment_fixed_size: 0
    .sgpr_count:     24
    .sgpr_spill_count: 0
    .symbol:         _ZL33flash_attn_stream_k_fixup_uniformILi128ELi8ELi2EEvPfPK15HIP_vector_typeIfLj2EEiiiiiiS1_IjLj3EES5_S5_.kd
    .uniform_work_group_size: 1
    .uses_dynamic_stack: false
    .vgpr_count:     17
    .vgpr_spill_count: 0
    .wavefront_size: 64
  - .agpr_count:     0
    .args:
      - .address_space:  global
        .offset:         0
        .size:           8
        .value_kind:     global_buffer
      - .address_space:  global
        .offset:         8
        .size:           8
        .value_kind:     global_buffer
      - .offset:         16
        .size:           4
        .value_kind:     by_value
      - .offset:         20
        .size:           4
        .value_kind:     by_value
      - .offset:         24
        .size:           4
        .value_kind:     by_value
      - .offset:         28
        .size:           4
        .value_kind:     by_value
      - .offset:         32
        .size:           12
        .value_kind:     by_value
      - .offset:         44
        .size:           12
        .value_kind:     by_value
      - .offset:         56
        .size:           12
        .value_kind:     by_value
      - .offset:         68
        .size:           12
        .value_kind:     by_value
      - .offset:         80
        .size:           4
        .value_kind:     hidden_block_count_x
      - .offset:         84
        .size:           4
        .value_kind:     hidden_block_count_y
      - .offset:         88
        .size:           4
        .value_kind:     hidden_block_count_z
      - .offset:         92
        .size:           2
        .value_kind:     hidden_group_size_x
      - .offset:         94
        .size:           2
        .value_kind:     hidden_group_size_y
      - .offset:         96
        .size:           2
        .value_kind:     hidden_group_size_z
      - .offset:         98
        .size:           2
        .value_kind:     hidden_remainder_x
      - .offset:         100
        .size:           2
        .value_kind:     hidden_remainder_y
      - .offset:         102
        .size:           2
        .value_kind:     hidden_remainder_z
      - .offset:         120
        .size:           8
        .value_kind:     hidden_global_offset_x
      - .offset:         128
        .size:           8
        .value_kind:     hidden_global_offset_y
      - .offset:         136
        .size:           8
        .value_kind:     hidden_global_offset_z
      - .offset:         144
        .size:           2
        .value_kind:     hidden_grid_dims
    .group_segment_fixed_size: 0
    .kernarg_segment_align: 8
    .kernarg_segment_size: 336
    .language:       OpenCL C
    .language_version:
      - 2
      - 0
    .max_flat_workgroup_size: 128
    .name:           _ZL33flash_attn_stream_k_fixup_generalILi128ELi8ELi2EEvPfPK15HIP_vector_typeIfLj2EEiiiiS1_IjLj3EES5_S5_S5_
    .private_segment_fixed_size: 0
    .sgpr_count:     36
    .sgpr_spill_count: 0
    .symbol:         _ZL33flash_attn_stream_k_fixup_generalILi128ELi8ELi2EEvPfPK15HIP_vector_typeIfLj2EEiiiiS1_IjLj3EES5_S5_S5_.kd
    .uniform_work_group_size: 1
    .uses_dynamic_stack: false
    .vgpr_count:     22
    .vgpr_spill_count: 0
    .wavefront_size: 64
  - .agpr_count:     0
    .args:
      - .address_space:  global
        .offset:         0
        .size:           8
        .value_kind:     global_buffer
      - .address_space:  global
        .offset:         8
        .size:           8
        .value_kind:     global_buffer
      - .address_space:  global
        .offset:         16
        .size:           8
        .value_kind:     global_buffer
      - .address_space:  global
        .offset:         24
        .size:           8
        .value_kind:     global_buffer
      - .address_space:  global
        .offset:         32
        .size:           8
        .value_kind:     global_buffer
      - .address_space:  global
        .offset:         40
        .size:           8
        .value_kind:     global_buffer
      - .address_space:  global
        .offset:         48
        .size:           8
        .value_kind:     global_buffer
      - .address_space:  global
        .offset:         56
        .size:           8
        .value_kind:     global_buffer
      - .offset:         64
        .size:           4
        .value_kind:     by_value
      - .offset:         68
        .size:           4
        .value_kind:     by_value
      - .offset:         72
        .size:           4
        .value_kind:     by_value
      - .offset:         76
        .size:           4
        .value_kind:     by_value
      - .offset:         80
        .size:           4
        .value_kind:     by_value
      - .offset:         84
        .size:           4
        .value_kind:     by_value
      - .offset:         88
        .size:           4
        .value_kind:     by_value
      - .offset:         92
        .size:           12
        .value_kind:     by_value
      - .offset:         104
        .size:           4
        .value_kind:     by_value
      - .offset:         108
        .size:           4
        .value_kind:     by_value
      - .offset:         112
        .size:           4
        .value_kind:     by_value
      - .offset:         116
        .size:           4
        .value_kind:     by_value
      - .offset:         120
        .size:           4
        .value_kind:     by_value
      - .offset:         124
        .size:           4
        .value_kind:     by_value
      - .offset:         128
        .size:           4
        .value_kind:     by_value
      - .offset:         132
        .size:           4
        .value_kind:     by_value
      - .offset:         136
        .size:           4
        .value_kind:     by_value
      - .offset:         140
        .size:           4
        .value_kind:     by_value
      - .offset:         144
        .size:           4
        .value_kind:     by_value
      - .offset:         152
        .size:           8
        .value_kind:     by_value
      - .offset:         160
        .size:           4
        .value_kind:     by_value
      - .offset:         164
        .size:           4
        .value_kind:     by_value
      - .offset:         168
        .size:           8
        .value_kind:     by_value
      - .offset:         176
        .size:           4
        .value_kind:     by_value
      - .offset:         180
        .size:           4
        .value_kind:     by_value
      - .offset:         184
        .size:           4
        .value_kind:     by_value
      - .offset:         188
        .size:           4
        .value_kind:     by_value
      - .offset:         192
        .size:           4
        .value_kind:     by_value
      - .offset:         200
        .size:           8
        .value_kind:     by_value
      - .offset:         208
        .size:           4
        .value_kind:     hidden_block_count_x
      - .offset:         212
        .size:           4
        .value_kind:     hidden_block_count_y
      - .offset:         216
        .size:           4
        .value_kind:     hidden_block_count_z
      - .offset:         220
        .size:           2
        .value_kind:     hidden_group_size_x
      - .offset:         222
        .size:           2
        .value_kind:     hidden_group_size_y
      - .offset:         224
        .size:           2
        .value_kind:     hidden_group_size_z
      - .offset:         226
        .size:           2
        .value_kind:     hidden_remainder_x
      - .offset:         228
        .size:           2
        .value_kind:     hidden_remainder_y
      - .offset:         230
        .size:           2
        .value_kind:     hidden_remainder_z
      - .offset:         248
        .size:           8
        .value_kind:     hidden_global_offset_x
      - .offset:         256
        .size:           8
        .value_kind:     hidden_global_offset_y
      - .offset:         264
        .size:           8
        .value_kind:     hidden_global_offset_z
      - .offset:         272
        .size:           2
        .value_kind:     hidden_grid_dims
    .group_segment_fixed_size: 20480
    .kernarg_segment_align: 8
    .kernarg_segment_size: 464
    .language:       OpenCL C
    .language_version:
      - 2
      - 0
    .max_flat_workgroup_size: 256
    .name:           _ZL15flash_attn_tileILi128ELi128ELi4ELi2ELb0EEvPKcS1_S1_S1_S1_PKiPfP15HIP_vector_typeIfLj2EEffffjfiS5_IjLj3EEiiiiiiiiiiiliiliiiiil
    .private_segment_fixed_size: 0
    .sgpr_count:     48
    .sgpr_spill_count: 0
    .symbol:         _ZL15flash_attn_tileILi128ELi128ELi4ELi2ELb0EEvPKcS1_S1_S1_S1_PKiPfP15HIP_vector_typeIfLj2EEffffjfiS5_IjLj3EEiiiiiiiiiiiliiliiiiil.kd
    .uniform_work_group_size: 1
    .uses_dynamic_stack: false
    .vgpr_count:     160
    .vgpr_spill_count: 0
    .wavefront_size: 64
  - .agpr_count:     0
    .args:
      - .address_space:  global
        .offset:         0
        .size:           8
        .value_kind:     global_buffer
      - .address_space:  global
        .offset:         8
        .size:           8
        .value_kind:     global_buffer
      - .offset:         16
        .size:           4
        .value_kind:     by_value
      - .offset:         20
        .size:           4
        .value_kind:     by_value
      - .offset:         24
        .size:           4
        .value_kind:     by_value
      - .offset:         28
        .size:           4
        .value_kind:     by_value
      - .offset:         32
        .size:           4
        .value_kind:     by_value
      - .offset:         36
        .size:           4
        .value_kind:     by_value
      - .offset:         40
        .size:           12
        .value_kind:     by_value
      - .offset:         52
        .size:           12
        .value_kind:     by_value
      - .offset:         64
        .size:           12
        .value_kind:     by_value
    .group_segment_fixed_size: 0
    .kernarg_segment_align: 8
    .kernarg_segment_size: 76
    .language:       OpenCL C
    .language_version:
      - 2
      - 0
    .max_flat_workgroup_size: 128
    .name:           _ZL33flash_attn_stream_k_fixup_uniformILi128ELi4ELi2EEvPfPK15HIP_vector_typeIfLj2EEiiiiiiS1_IjLj3EES5_S5_
    .private_segment_fixed_size: 0
    .sgpr_count:     24
    .sgpr_spill_count: 0
    .symbol:         _ZL33flash_attn_stream_k_fixup_uniformILi128ELi4ELi2EEvPfPK15HIP_vector_typeIfLj2EEiiiiiiS1_IjLj3EES5_S5_.kd
    .uniform_work_group_size: 1
    .uses_dynamic_stack: false
    .vgpr_count:     17
    .vgpr_spill_count: 0
    .wavefront_size: 64
  - .agpr_count:     0
    .args:
      - .address_space:  global
        .offset:         0
        .size:           8
        .value_kind:     global_buffer
      - .address_space:  global
        .offset:         8
        .size:           8
        .value_kind:     global_buffer
      - .offset:         16
        .size:           4
        .value_kind:     by_value
      - .offset:         20
        .size:           4
        .value_kind:     by_value
      - .offset:         24
        .size:           4
        .value_kind:     by_value
      - .offset:         28
        .size:           4
        .value_kind:     by_value
      - .offset:         32
        .size:           12
        .value_kind:     by_value
      - .offset:         44
        .size:           12
        .value_kind:     by_value
      - .offset:         56
        .size:           12
        .value_kind:     by_value
      - .offset:         68
        .size:           12
        .value_kind:     by_value
      - .offset:         80
        .size:           4
        .value_kind:     hidden_block_count_x
      - .offset:         84
        .size:           4
        .value_kind:     hidden_block_count_y
      - .offset:         88
        .size:           4
        .value_kind:     hidden_block_count_z
      - .offset:         92
        .size:           2
        .value_kind:     hidden_group_size_x
      - .offset:         94
        .size:           2
        .value_kind:     hidden_group_size_y
      - .offset:         96
        .size:           2
        .value_kind:     hidden_group_size_z
      - .offset:         98
        .size:           2
        .value_kind:     hidden_remainder_x
      - .offset:         100
        .size:           2
        .value_kind:     hidden_remainder_y
      - .offset:         102
        .size:           2
        .value_kind:     hidden_remainder_z
      - .offset:         120
        .size:           8
        .value_kind:     hidden_global_offset_x
      - .offset:         128
        .size:           8
        .value_kind:     hidden_global_offset_y
      - .offset:         136
        .size:           8
        .value_kind:     hidden_global_offset_z
      - .offset:         144
        .size:           2
        .value_kind:     hidden_grid_dims
    .group_segment_fixed_size: 0
    .kernarg_segment_align: 8
    .kernarg_segment_size: 336
    .language:       OpenCL C
    .language_version:
      - 2
      - 0
    .max_flat_workgroup_size: 128
    .name:           _ZL33flash_attn_stream_k_fixup_generalILi128ELi4ELi2EEvPfPK15HIP_vector_typeIfLj2EEiiiiS1_IjLj3EES5_S5_S5_
    .private_segment_fixed_size: 0
    .sgpr_count:     36
    .sgpr_spill_count: 0
    .symbol:         _ZL33flash_attn_stream_k_fixup_generalILi128ELi4ELi2EEvPfPK15HIP_vector_typeIfLj2EEiiiiS1_IjLj3EES5_S5_S5_.kd
    .uniform_work_group_size: 1
    .uses_dynamic_stack: false
    .vgpr_count:     22
    .vgpr_spill_count: 0
    .wavefront_size: 64
  - .agpr_count:     0
    .args:
      - .address_space:  global
        .offset:         0
        .size:           8
        .value_kind:     global_buffer
      - .address_space:  global
        .offset:         8
        .size:           8
        .value_kind:     global_buffer
      - .address_space:  global
        .offset:         16
        .size:           8
        .value_kind:     global_buffer
      - .address_space:  global
        .offset:         24
        .size:           8
        .value_kind:     global_buffer
      - .address_space:  global
        .offset:         32
        .size:           8
        .value_kind:     global_buffer
      - .address_space:  global
        .offset:         40
        .size:           8
        .value_kind:     global_buffer
      - .address_space:  global
        .offset:         48
        .size:           8
        .value_kind:     global_buffer
      - .address_space:  global
        .offset:         56
        .size:           8
        .value_kind:     global_buffer
      - .offset:         64
        .size:           4
        .value_kind:     by_value
      - .offset:         68
        .size:           4
        .value_kind:     by_value
      - .offset:         72
        .size:           4
        .value_kind:     by_value
      - .offset:         76
        .size:           4
        .value_kind:     by_value
      - .offset:         80
        .size:           4
        .value_kind:     by_value
      - .offset:         84
        .size:           4
        .value_kind:     by_value
      - .offset:         88
        .size:           4
        .value_kind:     by_value
      - .offset:         92
        .size:           12
        .value_kind:     by_value
      - .offset:         104
        .size:           4
        .value_kind:     by_value
      - .offset:         108
        .size:           4
        .value_kind:     by_value
      - .offset:         112
        .size:           4
        .value_kind:     by_value
      - .offset:         116
        .size:           4
        .value_kind:     by_value
      - .offset:         120
        .size:           4
        .value_kind:     by_value
      - .offset:         124
        .size:           4
        .value_kind:     by_value
      - .offset:         128
        .size:           4
        .value_kind:     by_value
      - .offset:         132
        .size:           4
        .value_kind:     by_value
      - .offset:         136
        .size:           4
        .value_kind:     by_value
      - .offset:         140
        .size:           4
        .value_kind:     by_value
      - .offset:         144
        .size:           4
        .value_kind:     by_value
      - .offset:         152
        .size:           8
        .value_kind:     by_value
      - .offset:         160
        .size:           4
        .value_kind:     by_value
      - .offset:         164
        .size:           4
        .value_kind:     by_value
      - .offset:         168
        .size:           8
        .value_kind:     by_value
      - .offset:         176
        .size:           4
        .value_kind:     by_value
      - .offset:         180
        .size:           4
        .value_kind:     by_value
      - .offset:         184
        .size:           4
        .value_kind:     by_value
      - .offset:         188
        .size:           4
        .value_kind:     by_value
      - .offset:         192
        .size:           4
        .value_kind:     by_value
      - .offset:         200
        .size:           8
        .value_kind:     by_value
      - .offset:         208
        .size:           4
        .value_kind:     hidden_block_count_x
      - .offset:         212
        .size:           4
        .value_kind:     hidden_block_count_y
      - .offset:         216
        .size:           4
        .value_kind:     hidden_block_count_z
      - .offset:         220
        .size:           2
        .value_kind:     hidden_group_size_x
      - .offset:         222
        .size:           2
        .value_kind:     hidden_group_size_y
      - .offset:         224
        .size:           2
        .value_kind:     hidden_group_size_z
      - .offset:         226
        .size:           2
        .value_kind:     hidden_remainder_x
      - .offset:         228
        .size:           2
        .value_kind:     hidden_remainder_y
      - .offset:         230
        .size:           2
        .value_kind:     hidden_remainder_z
      - .offset:         248
        .size:           8
        .value_kind:     hidden_global_offset_x
      - .offset:         256
        .size:           8
        .value_kind:     hidden_global_offset_y
      - .offset:         264
        .size:           8
        .value_kind:     hidden_global_offset_z
      - .offset:         272
        .size:           2
        .value_kind:     hidden_grid_dims
    .group_segment_fixed_size: 18944
    .kernarg_segment_align: 8
    .kernarg_segment_size: 464
    .language:       OpenCL C
    .language_version:
      - 2
      - 0
    .max_flat_workgroup_size: 128
    .name:           _ZL15flash_attn_tileILi128ELi128ELi2ELi2ELb0EEvPKcS1_S1_S1_S1_PKiPfP15HIP_vector_typeIfLj2EEffffjfiS5_IjLj3EEiiiiiiiiiiiliiliiiiil
    .private_segment_fixed_size: 0
    .sgpr_count:     48
    .sgpr_spill_count: 0
    .symbol:         _ZL15flash_attn_tileILi128ELi128ELi2ELi2ELb0EEvPKcS1_S1_S1_S1_PKiPfP15HIP_vector_typeIfLj2EEffffjfiS5_IjLj3EEiiiiiiiiiiiliiliiiiil.kd
    .uniform_work_group_size: 1
    .uses_dynamic_stack: false
    .vgpr_count:     240
    .vgpr_spill_count: 0
    .wavefront_size: 64
  - .agpr_count:     0
    .args:
      - .address_space:  global
        .offset:         0
        .size:           8
        .value_kind:     global_buffer
      - .address_space:  global
        .offset:         8
        .size:           8
        .value_kind:     global_buffer
      - .offset:         16
        .size:           4
        .value_kind:     by_value
      - .offset:         20
        .size:           4
        .value_kind:     by_value
      - .offset:         24
        .size:           4
        .value_kind:     by_value
      - .offset:         28
        .size:           4
        .value_kind:     by_value
      - .offset:         32
        .size:           4
        .value_kind:     by_value
      - .offset:         36
        .size:           4
        .value_kind:     by_value
      - .offset:         40
        .size:           12
        .value_kind:     by_value
      - .offset:         52
        .size:           12
        .value_kind:     by_value
      - .offset:         64
        .size:           12
        .value_kind:     by_value
    .group_segment_fixed_size: 0
    .kernarg_segment_align: 8
    .kernarg_segment_size: 76
    .language:       OpenCL C
    .language_version:
      - 2
      - 0
    .max_flat_workgroup_size: 128
    .name:           _ZL33flash_attn_stream_k_fixup_uniformILi128ELi2ELi2EEvPfPK15HIP_vector_typeIfLj2EEiiiiiiS1_IjLj3EES5_S5_
    .private_segment_fixed_size: 0
    .sgpr_count:     24
    .sgpr_spill_count: 0
    .symbol:         _ZL33flash_attn_stream_k_fixup_uniformILi128ELi2ELi2EEvPfPK15HIP_vector_typeIfLj2EEiiiiiiS1_IjLj3EES5_S5_.kd
    .uniform_work_group_size: 1
    .uses_dynamic_stack: false
    .vgpr_count:     17
    .vgpr_spill_count: 0
    .wavefront_size: 64
  - .agpr_count:     0
    .args:
      - .address_space:  global
        .offset:         0
        .size:           8
        .value_kind:     global_buffer
      - .address_space:  global
        .offset:         8
        .size:           8
        .value_kind:     global_buffer
      - .offset:         16
        .size:           4
        .value_kind:     by_value
      - .offset:         20
        .size:           4
        .value_kind:     by_value
      - .offset:         24
        .size:           4
        .value_kind:     by_value
      - .offset:         28
        .size:           4
        .value_kind:     by_value
      - .offset:         32
        .size:           12
        .value_kind:     by_value
      - .offset:         44
        .size:           12
        .value_kind:     by_value
      - .offset:         56
        .size:           12
        .value_kind:     by_value
      - .offset:         68
        .size:           12
        .value_kind:     by_value
      - .offset:         80
        .size:           4
        .value_kind:     hidden_block_count_x
      - .offset:         84
        .size:           4
        .value_kind:     hidden_block_count_y
      - .offset:         88
        .size:           4
        .value_kind:     hidden_block_count_z
      - .offset:         92
        .size:           2
        .value_kind:     hidden_group_size_x
      - .offset:         94
        .size:           2
        .value_kind:     hidden_group_size_y
      - .offset:         96
        .size:           2
        .value_kind:     hidden_group_size_z
      - .offset:         98
        .size:           2
        .value_kind:     hidden_remainder_x
      - .offset:         100
        .size:           2
        .value_kind:     hidden_remainder_y
      - .offset:         102
        .size:           2
        .value_kind:     hidden_remainder_z
      - .offset:         120
        .size:           8
        .value_kind:     hidden_global_offset_x
      - .offset:         128
        .size:           8
        .value_kind:     hidden_global_offset_y
      - .offset:         136
        .size:           8
        .value_kind:     hidden_global_offset_z
      - .offset:         144
        .size:           2
        .value_kind:     hidden_grid_dims
    .group_segment_fixed_size: 0
    .kernarg_segment_align: 8
    .kernarg_segment_size: 336
    .language:       OpenCL C
    .language_version:
      - 2
      - 0
    .max_flat_workgroup_size: 128
    .name:           _ZL33flash_attn_stream_k_fixup_generalILi128ELi2ELi2EEvPfPK15HIP_vector_typeIfLj2EEiiiiS1_IjLj3EES5_S5_S5_
    .private_segment_fixed_size: 0
    .sgpr_count:     36
    .sgpr_spill_count: 0
    .symbol:         _ZL33flash_attn_stream_k_fixup_generalILi128ELi2ELi2EEvPfPK15HIP_vector_typeIfLj2EEiiiiS1_IjLj3EES5_S5_S5_.kd
    .uniform_work_group_size: 1
    .uses_dynamic_stack: false
    .vgpr_count:     22
    .vgpr_spill_count: 0
    .wavefront_size: 64
  - .agpr_count:     0
    .args:
      - .address_space:  global
        .offset:         0
        .size:           8
        .value_kind:     global_buffer
      - .address_space:  global
        .offset:         8
        .size:           8
        .value_kind:     global_buffer
      - .address_space:  global
        .offset:         16
        .size:           8
        .value_kind:     global_buffer
      - .address_space:  global
        .offset:         24
        .size:           8
        .value_kind:     global_buffer
      - .address_space:  global
        .offset:         32
        .size:           8
        .value_kind:     global_buffer
      - .address_space:  global
        .offset:         40
        .size:           8
        .value_kind:     global_buffer
      - .address_space:  global
        .offset:         48
        .size:           8
        .value_kind:     global_buffer
      - .address_space:  global
        .offset:         56
        .size:           8
        .value_kind:     global_buffer
      - .offset:         64
        .size:           4
        .value_kind:     by_value
      - .offset:         68
        .size:           4
        .value_kind:     by_value
      - .offset:         72
        .size:           4
        .value_kind:     by_value
      - .offset:         76
        .size:           4
        .value_kind:     by_value
      - .offset:         80
        .size:           4
        .value_kind:     by_value
      - .offset:         84
        .size:           4
        .value_kind:     by_value
      - .offset:         88
        .size:           4
        .value_kind:     by_value
      - .offset:         92
        .size:           12
        .value_kind:     by_value
      - .offset:         104
        .size:           4
        .value_kind:     by_value
      - .offset:         108
        .size:           4
        .value_kind:     by_value
      - .offset:         112
        .size:           4
        .value_kind:     by_value
      - .offset:         116
        .size:           4
        .value_kind:     by_value
      - .offset:         120
        .size:           4
        .value_kind:     by_value
      - .offset:         124
        .size:           4
        .value_kind:     by_value
      - .offset:         128
        .size:           4
        .value_kind:     by_value
      - .offset:         132
        .size:           4
        .value_kind:     by_value
      - .offset:         136
        .size:           4
        .value_kind:     by_value
      - .offset:         140
        .size:           4
        .value_kind:     by_value
      - .offset:         144
        .size:           4
        .value_kind:     by_value
      - .offset:         152
        .size:           8
        .value_kind:     by_value
      - .offset:         160
        .size:           4
        .value_kind:     by_value
      - .offset:         164
        .size:           4
        .value_kind:     by_value
      - .offset:         168
        .size:           8
        .value_kind:     by_value
      - .offset:         176
        .size:           4
        .value_kind:     by_value
      - .offset:         180
        .size:           4
        .value_kind:     by_value
      - .offset:         184
        .size:           4
        .value_kind:     by_value
      - .offset:         188
        .size:           4
        .value_kind:     by_value
      - .offset:         192
        .size:           4
        .value_kind:     by_value
      - .offset:         200
        .size:           8
        .value_kind:     by_value
      - .offset:         208
        .size:           4
        .value_kind:     hidden_block_count_x
      - .offset:         212
        .size:           4
        .value_kind:     hidden_block_count_y
      - .offset:         216
        .size:           4
        .value_kind:     hidden_block_count_z
      - .offset:         220
        .size:           2
        .value_kind:     hidden_group_size_x
      - .offset:         222
        .size:           2
        .value_kind:     hidden_group_size_y
      - .offset:         224
        .size:           2
        .value_kind:     hidden_group_size_z
      - .offset:         226
        .size:           2
        .value_kind:     hidden_remainder_x
      - .offset:         228
        .size:           2
        .value_kind:     hidden_remainder_y
      - .offset:         230
        .size:           2
        .value_kind:     hidden_remainder_z
      - .offset:         248
        .size:           8
        .value_kind:     hidden_global_offset_x
      - .offset:         256
        .size:           8
        .value_kind:     hidden_global_offset_y
      - .offset:         264
        .size:           8
        .value_kind:     hidden_global_offset_z
      - .offset:         272
        .size:           2
        .value_kind:     hidden_grid_dims
    .group_segment_fixed_size: 19488
    .kernarg_segment_align: 8
    .kernarg_segment_size: 464
    .language:       OpenCL C
    .language_version:
      - 2
      - 0
    .max_flat_workgroup_size: 256
    .name:           _ZL15flash_attn_tileILi128ELi128ELi1ELi2ELb0EEvPKcS1_S1_S1_S1_PKiPfP15HIP_vector_typeIfLj2EEffffjfiS5_IjLj3EEiiiiiiiiiiiliiliiiiil
    .private_segment_fixed_size: 0
    .sgpr_count:     48
    .sgpr_spill_count: 0
    .symbol:         _ZL15flash_attn_tileILi128ELi128ELi1ELi2ELb0EEvPKcS1_S1_S1_S1_PKiPfP15HIP_vector_typeIfLj2EEffffjfiS5_IjLj3EEiiiiiiiiiiiliiliiiiil.kd
    .uniform_work_group_size: 1
    .uses_dynamic_stack: false
    .vgpr_count:     140
    .vgpr_spill_count: 0
    .wavefront_size: 64
  - .agpr_count:     0
    .args:
      - .address_space:  global
        .offset:         0
        .size:           8
        .value_kind:     global_buffer
      - .address_space:  global
        .offset:         8
        .size:           8
        .value_kind:     global_buffer
      - .offset:         16
        .size:           4
        .value_kind:     by_value
      - .offset:         20
        .size:           4
        .value_kind:     by_value
      - .offset:         24
        .size:           4
        .value_kind:     by_value
      - .offset:         28
        .size:           4
        .value_kind:     by_value
      - .offset:         32
        .size:           4
        .value_kind:     by_value
      - .offset:         36
        .size:           4
        .value_kind:     by_value
      - .offset:         40
        .size:           12
        .value_kind:     by_value
      - .offset:         52
        .size:           12
        .value_kind:     by_value
      - .offset:         64
        .size:           12
        .value_kind:     by_value
    .group_segment_fixed_size: 0
    .kernarg_segment_align: 8
    .kernarg_segment_size: 76
    .language:       OpenCL C
    .language_version:
      - 2
      - 0
    .max_flat_workgroup_size: 128
    .name:           _ZL33flash_attn_stream_k_fixup_uniformILi128ELi1ELi2EEvPfPK15HIP_vector_typeIfLj2EEiiiiiiS1_IjLj3EES5_S5_
    .private_segment_fixed_size: 0
    .sgpr_count:     24
    .sgpr_spill_count: 0
    .symbol:         _ZL33flash_attn_stream_k_fixup_uniformILi128ELi1ELi2EEvPfPK15HIP_vector_typeIfLj2EEiiiiiiS1_IjLj3EES5_S5_.kd
    .uniform_work_group_size: 1
    .uses_dynamic_stack: false
    .vgpr_count:     17
    .vgpr_spill_count: 0
    .wavefront_size: 64
  - .agpr_count:     0
    .args:
      - .address_space:  global
        .offset:         0
        .size:           8
        .value_kind:     global_buffer
      - .address_space:  global
        .offset:         8
        .size:           8
        .value_kind:     global_buffer
      - .offset:         16
        .size:           4
        .value_kind:     by_value
      - .offset:         20
        .size:           4
        .value_kind:     by_value
      - .offset:         24
        .size:           4
        .value_kind:     by_value
      - .offset:         28
        .size:           4
        .value_kind:     by_value
      - .offset:         32
        .size:           12
        .value_kind:     by_value
      - .offset:         44
        .size:           12
        .value_kind:     by_value
      - .offset:         56
        .size:           12
        .value_kind:     by_value
      - .offset:         68
        .size:           12
        .value_kind:     by_value
      - .offset:         80
        .size:           4
        .value_kind:     hidden_block_count_x
      - .offset:         84
        .size:           4
        .value_kind:     hidden_block_count_y
      - .offset:         88
        .size:           4
        .value_kind:     hidden_block_count_z
      - .offset:         92
        .size:           2
        .value_kind:     hidden_group_size_x
      - .offset:         94
        .size:           2
        .value_kind:     hidden_group_size_y
      - .offset:         96
        .size:           2
        .value_kind:     hidden_group_size_z
      - .offset:         98
        .size:           2
        .value_kind:     hidden_remainder_x
      - .offset:         100
        .size:           2
        .value_kind:     hidden_remainder_y
      - .offset:         102
        .size:           2
        .value_kind:     hidden_remainder_z
      - .offset:         120
        .size:           8
        .value_kind:     hidden_global_offset_x
      - .offset:         128
        .size:           8
        .value_kind:     hidden_global_offset_y
      - .offset:         136
        .size:           8
        .value_kind:     hidden_global_offset_z
      - .offset:         144
        .size:           2
        .value_kind:     hidden_grid_dims
    .group_segment_fixed_size: 0
    .kernarg_segment_align: 8
    .kernarg_segment_size: 336
    .language:       OpenCL C
    .language_version:
      - 2
      - 0
    .max_flat_workgroup_size: 128
    .name:           _ZL33flash_attn_stream_k_fixup_generalILi128ELi1ELi2EEvPfPK15HIP_vector_typeIfLj2EEiiiiS1_IjLj3EES5_S5_S5_
    .private_segment_fixed_size: 0
    .sgpr_count:     36
    .sgpr_spill_count: 0
    .symbol:         _ZL33flash_attn_stream_k_fixup_generalILi128ELi1ELi2EEvPfPK15HIP_vector_typeIfLj2EEiiiiS1_IjLj3EES5_S5_S5_.kd
    .uniform_work_group_size: 1
    .uses_dynamic_stack: false
    .vgpr_count:     22
    .vgpr_spill_count: 0
    .wavefront_size: 64
  - .agpr_count:     0
    .args:
      - .address_space:  global
        .offset:         0
        .size:           8
        .value_kind:     global_buffer
      - .address_space:  global
        .offset:         8
        .size:           8
        .value_kind:     global_buffer
      - .address_space:  global
        .offset:         16
        .size:           8
        .value_kind:     global_buffer
      - .address_space:  global
        .offset:         24
        .size:           8
        .value_kind:     global_buffer
      - .address_space:  global
        .offset:         32
        .size:           8
        .value_kind:     global_buffer
      - .address_space:  global
        .offset:         40
        .size:           8
        .value_kind:     global_buffer
      - .address_space:  global
        .offset:         48
        .size:           8
        .value_kind:     global_buffer
      - .address_space:  global
        .offset:         56
        .size:           8
        .value_kind:     global_buffer
      - .offset:         64
        .size:           4
        .value_kind:     by_value
      - .offset:         68
        .size:           4
        .value_kind:     by_value
      - .offset:         72
        .size:           4
        .value_kind:     by_value
      - .offset:         76
        .size:           4
        .value_kind:     by_value
      - .offset:         80
        .size:           4
        .value_kind:     by_value
      - .offset:         84
        .size:           4
        .value_kind:     by_value
      - .offset:         88
        .size:           4
        .value_kind:     by_value
      - .offset:         92
        .size:           12
        .value_kind:     by_value
      - .offset:         104
        .size:           4
        .value_kind:     by_value
      - .offset:         108
        .size:           4
        .value_kind:     by_value
      - .offset:         112
        .size:           4
        .value_kind:     by_value
      - .offset:         116
        .size:           4
        .value_kind:     by_value
      - .offset:         120
        .size:           4
        .value_kind:     by_value
      - .offset:         124
        .size:           4
        .value_kind:     by_value
      - .offset:         128
        .size:           4
        .value_kind:     by_value
      - .offset:         132
        .size:           4
        .value_kind:     by_value
      - .offset:         136
        .size:           4
        .value_kind:     by_value
      - .offset:         140
        .size:           4
        .value_kind:     by_value
      - .offset:         144
        .size:           4
        .value_kind:     by_value
      - .offset:         152
        .size:           8
        .value_kind:     by_value
      - .offset:         160
        .size:           4
        .value_kind:     by_value
      - .offset:         164
        .size:           4
        .value_kind:     by_value
      - .offset:         168
        .size:           8
        .value_kind:     by_value
      - .offset:         176
        .size:           4
        .value_kind:     by_value
      - .offset:         180
        .size:           4
        .value_kind:     by_value
      - .offset:         184
        .size:           4
        .value_kind:     by_value
      - .offset:         188
        .size:           4
        .value_kind:     by_value
      - .offset:         192
        .size:           4
        .value_kind:     by_value
      - .offset:         200
        .size:           8
        .value_kind:     by_value
      - .offset:         208
        .size:           4
        .value_kind:     hidden_block_count_x
      - .offset:         212
        .size:           4
        .value_kind:     hidden_block_count_y
      - .offset:         216
        .size:           4
        .value_kind:     hidden_block_count_z
      - .offset:         220
        .size:           2
        .value_kind:     hidden_group_size_x
      - .offset:         222
        .size:           2
        .value_kind:     hidden_group_size_y
      - .offset:         224
        .size:           2
        .value_kind:     hidden_group_size_z
      - .offset:         226
        .size:           2
        .value_kind:     hidden_remainder_x
      - .offset:         228
        .size:           2
        .value_kind:     hidden_remainder_y
      - .offset:         230
        .size:           2
        .value_kind:     hidden_remainder_z
      - .offset:         248
        .size:           8
        .value_kind:     hidden_global_offset_x
      - .offset:         256
        .size:           8
        .value_kind:     hidden_global_offset_y
      - .offset:         264
        .size:           8
        .value_kind:     hidden_global_offset_z
      - .offset:         272
        .size:           2
        .value_kind:     hidden_grid_dims
    .group_segment_fixed_size: 29696
    .kernarg_segment_align: 8
    .kernarg_segment_size: 464
    .language:       OpenCL C
    .language_version:
      - 2
      - 0
    .max_flat_workgroup_size: 256
    .name:           _ZL15flash_attn_tileILi128ELi128ELi64ELi1ELb0EEvPKcS1_S1_S1_S1_PKiPfP15HIP_vector_typeIfLj2EEffffjfiS5_IjLj3EEiiiiiiiiiiiliiliiiiil
    .private_segment_fixed_size: 32
    .sgpr_count:     62
    .sgpr_spill_count: 0
    .symbol:         _ZL15flash_attn_tileILi128ELi128ELi64ELi1ELb0EEvPKcS1_S1_S1_S1_PKiPfP15HIP_vector_typeIfLj2EEffffjfiS5_IjLj3EEiiiiiiiiiiiliiliiiiil.kd
    .uniform_work_group_size: 1
    .uses_dynamic_stack: false
    .vgpr_count:     144
    .vgpr_spill_count: 0
    .wavefront_size: 64
  - .agpr_count:     0
    .args:
      - .actual_access:  read_only
        .address_space:  global
        .offset:         0
        .size:           8
        .value_kind:     global_buffer
      - .actual_access:  write_only
        .address_space:  global
        .offset:         8
        .size:           8
        .value_kind:     global_buffer
      - .offset:         16
        .size:           4
        .value_kind:     by_value
      - .offset:         20
        .size:           4
        .value_kind:     by_value
      - .offset:         24
        .size:           4
        .value_kind:     by_value
      - .offset:         32
        .size:           4
        .value_kind:     hidden_block_count_x
      - .offset:         36
        .size:           4
        .value_kind:     hidden_block_count_y
      - .offset:         40
        .size:           4
        .value_kind:     hidden_block_count_z
      - .offset:         44
        .size:           2
        .value_kind:     hidden_group_size_x
      - .offset:         46
        .size:           2
        .value_kind:     hidden_group_size_y
      - .offset:         48
        .size:           2
        .value_kind:     hidden_group_size_z
      - .offset:         50
        .size:           2
        .value_kind:     hidden_remainder_x
      - .offset:         52
        .size:           2
        .value_kind:     hidden_remainder_y
      - .offset:         54
        .size:           2
        .value_kind:     hidden_remainder_z
      - .offset:         72
        .size:           8
        .value_kind:     hidden_global_offset_x
      - .offset:         80
        .size:           8
        .value_kind:     hidden_global_offset_y
      - .offset:         88
        .size:           8
        .value_kind:     hidden_global_offset_z
      - .offset:         96
        .size:           2
        .value_kind:     hidden_grid_dims
    .group_segment_fixed_size: 128
    .kernarg_segment_align: 8
    .kernarg_segment_size: 288
    .language:       OpenCL C
    .language_version:
      - 2
      - 0
    .max_flat_workgroup_size: 128
    .name:           _ZL25flash_attn_mask_to_KV_maxILi64EEvPK7__half2Piiii
    .private_segment_fixed_size: 0
    .sgpr_count:     100
    .sgpr_spill_count: 176
    .symbol:         _ZL25flash_attn_mask_to_KV_maxILi64EEvPK7__half2Piiii.kd
    .uniform_work_group_size: 1
    .uses_dynamic_stack: false
    .vgpr_count:     15
    .vgpr_spill_count: 0
    .wavefront_size: 64
  - .agpr_count:     0
    .args:
      - .address_space:  global
        .offset:         0
        .size:           8
        .value_kind:     global_buffer
      - .address_space:  global
        .offset:         8
        .size:           8
        .value_kind:     global_buffer
      - .offset:         16
        .size:           4
        .value_kind:     by_value
      - .offset:         20
        .size:           4
        .value_kind:     by_value
      - .offset:         24
        .size:           4
        .value_kind:     by_value
      - .offset:         28
        .size:           4
        .value_kind:     by_value
      - .offset:         32
        .size:           4
        .value_kind:     by_value
      - .offset:         36
        .size:           4
        .value_kind:     by_value
      - .offset:         40
        .size:           12
        .value_kind:     by_value
      - .offset:         52
        .size:           12
        .value_kind:     by_value
      - .offset:         64
        .size:           12
        .value_kind:     by_value
    .group_segment_fixed_size: 0
    .kernarg_segment_align: 8
    .kernarg_segment_size: 76
    .language:       OpenCL C
    .language_version:
      - 2
      - 0
    .max_flat_workgroup_size: 128
    .name:           _ZL33flash_attn_stream_k_fixup_uniformILi128ELi64ELi1EEvPfPK15HIP_vector_typeIfLj2EEiiiiiiS1_IjLj3EES5_S5_
    .private_segment_fixed_size: 0
    .sgpr_count:     24
    .sgpr_spill_count: 0
    .symbol:         _ZL33flash_attn_stream_k_fixup_uniformILi128ELi64ELi1EEvPfPK15HIP_vector_typeIfLj2EEiiiiiiS1_IjLj3EES5_S5_.kd
    .uniform_work_group_size: 1
    .uses_dynamic_stack: false
    .vgpr_count:     17
    .vgpr_spill_count: 0
    .wavefront_size: 64
  - .agpr_count:     0
    .args:
      - .address_space:  global
        .offset:         0
        .size:           8
        .value_kind:     global_buffer
      - .address_space:  global
        .offset:         8
        .size:           8
        .value_kind:     global_buffer
      - .offset:         16
        .size:           4
        .value_kind:     by_value
      - .offset:         20
        .size:           4
        .value_kind:     by_value
      - .offset:         24
        .size:           4
        .value_kind:     by_value
      - .offset:         28
        .size:           4
        .value_kind:     by_value
      - .offset:         32
        .size:           12
        .value_kind:     by_value
      - .offset:         44
        .size:           12
        .value_kind:     by_value
      - .offset:         56
        .size:           12
        .value_kind:     by_value
      - .offset:         68
        .size:           12
        .value_kind:     by_value
      - .offset:         80
        .size:           4
        .value_kind:     hidden_block_count_x
      - .offset:         84
        .size:           4
        .value_kind:     hidden_block_count_y
      - .offset:         88
        .size:           4
        .value_kind:     hidden_block_count_z
      - .offset:         92
        .size:           2
        .value_kind:     hidden_group_size_x
      - .offset:         94
        .size:           2
        .value_kind:     hidden_group_size_y
      - .offset:         96
        .size:           2
        .value_kind:     hidden_group_size_z
      - .offset:         98
        .size:           2
        .value_kind:     hidden_remainder_x
      - .offset:         100
        .size:           2
        .value_kind:     hidden_remainder_y
      - .offset:         102
        .size:           2
        .value_kind:     hidden_remainder_z
      - .offset:         120
        .size:           8
        .value_kind:     hidden_global_offset_x
      - .offset:         128
        .size:           8
        .value_kind:     hidden_global_offset_y
      - .offset:         136
        .size:           8
        .value_kind:     hidden_global_offset_z
      - .offset:         144
        .size:           2
        .value_kind:     hidden_grid_dims
    .group_segment_fixed_size: 0
    .kernarg_segment_align: 8
    .kernarg_segment_size: 336
    .language:       OpenCL C
    .language_version:
      - 2
      - 0
    .max_flat_workgroup_size: 128
    .name:           _ZL33flash_attn_stream_k_fixup_generalILi128ELi64ELi1EEvPfPK15HIP_vector_typeIfLj2EEiiiiS1_IjLj3EES5_S5_S5_
    .private_segment_fixed_size: 0
    .sgpr_count:     36
    .sgpr_spill_count: 0
    .symbol:         _ZL33flash_attn_stream_k_fixup_generalILi128ELi64ELi1EEvPfPK15HIP_vector_typeIfLj2EEiiiiS1_IjLj3EES5_S5_S5_.kd
    .uniform_work_group_size: 1
    .uses_dynamic_stack: false
    .vgpr_count:     22
    .vgpr_spill_count: 0
    .wavefront_size: 64
  - .agpr_count:     0
    .args:
      - .address_space:  global
        .offset:         0
        .size:           8
        .value_kind:     global_buffer
      - .address_space:  global
        .offset:         8
        .size:           8
        .value_kind:     global_buffer
      - .address_space:  global
        .offset:         16
        .size:           8
        .value_kind:     global_buffer
      - .address_space:  global
        .offset:         24
        .size:           8
        .value_kind:     global_buffer
      - .address_space:  global
        .offset:         32
        .size:           8
        .value_kind:     global_buffer
      - .address_space:  global
        .offset:         40
        .size:           8
        .value_kind:     global_buffer
      - .address_space:  global
        .offset:         48
        .size:           8
        .value_kind:     global_buffer
      - .address_space:  global
        .offset:         56
        .size:           8
        .value_kind:     global_buffer
      - .offset:         64
        .size:           4
        .value_kind:     by_value
      - .offset:         68
        .size:           4
        .value_kind:     by_value
      - .offset:         72
        .size:           4
        .value_kind:     by_value
      - .offset:         76
        .size:           4
        .value_kind:     by_value
      - .offset:         80
        .size:           4
        .value_kind:     by_value
      - .offset:         84
        .size:           4
        .value_kind:     by_value
      - .offset:         88
        .size:           4
        .value_kind:     by_value
      - .offset:         92
        .size:           12
        .value_kind:     by_value
      - .offset:         104
        .size:           4
        .value_kind:     by_value
      - .offset:         108
        .size:           4
        .value_kind:     by_value
      - .offset:         112
        .size:           4
        .value_kind:     by_value
      - .offset:         116
        .size:           4
        .value_kind:     by_value
      - .offset:         120
        .size:           4
        .value_kind:     by_value
      - .offset:         124
        .size:           4
        .value_kind:     by_value
      - .offset:         128
        .size:           4
        .value_kind:     by_value
      - .offset:         132
        .size:           4
        .value_kind:     by_value
      - .offset:         136
        .size:           4
        .value_kind:     by_value
      - .offset:         140
        .size:           4
        .value_kind:     by_value
      - .offset:         144
        .size:           4
        .value_kind:     by_value
      - .offset:         152
        .size:           8
        .value_kind:     by_value
      - .offset:         160
        .size:           4
        .value_kind:     by_value
      - .offset:         164
        .size:           4
        .value_kind:     by_value
      - .offset:         168
        .size:           8
        .value_kind:     by_value
      - .offset:         176
        .size:           4
        .value_kind:     by_value
      - .offset:         180
        .size:           4
        .value_kind:     by_value
      - .offset:         184
        .size:           4
        .value_kind:     by_value
      - .offset:         188
        .size:           4
        .value_kind:     by_value
      - .offset:         192
        .size:           4
        .value_kind:     by_value
      - .offset:         200
        .size:           8
        .value_kind:     by_value
      - .offset:         208
        .size:           4
        .value_kind:     hidden_block_count_x
      - .offset:         212
        .size:           4
        .value_kind:     hidden_block_count_y
      - .offset:         216
        .size:           4
        .value_kind:     hidden_block_count_z
      - .offset:         220
        .size:           2
        .value_kind:     hidden_group_size_x
      - .offset:         222
        .size:           2
        .value_kind:     hidden_group_size_y
      - .offset:         224
        .size:           2
        .value_kind:     hidden_group_size_z
      - .offset:         226
        .size:           2
        .value_kind:     hidden_remainder_x
      - .offset:         228
        .size:           2
        .value_kind:     hidden_remainder_y
      - .offset:         230
        .size:           2
        .value_kind:     hidden_remainder_z
      - .offset:         248
        .size:           8
        .value_kind:     hidden_global_offset_x
      - .offset:         256
        .size:           8
        .value_kind:     hidden_global_offset_y
      - .offset:         264
        .size:           8
        .value_kind:     hidden_global_offset_z
      - .offset:         272
        .size:           2
        .value_kind:     hidden_grid_dims
    .group_segment_fixed_size: 21504
    .kernarg_segment_align: 8
    .kernarg_segment_size: 464
    .language:       OpenCL C
    .language_version:
      - 2
      - 0
    .max_flat_workgroup_size: 256
    .name:           _ZL15flash_attn_tileILi128ELi128ELi32ELi1ELb0EEvPKcS1_S1_S1_S1_PKiPfP15HIP_vector_typeIfLj2EEffffjfiS5_IjLj3EEiiiiiiiiiiiliiliiiiil
    .private_segment_fixed_size: 32
    .sgpr_count:     62
    .sgpr_spill_count: 0
    .symbol:         _ZL15flash_attn_tileILi128ELi128ELi32ELi1ELb0EEvPKcS1_S1_S1_S1_PKiPfP15HIP_vector_typeIfLj2EEffffjfiS5_IjLj3EEiiiiiiiiiiiliiliiiiil.kd
    .uniform_work_group_size: 1
    .uses_dynamic_stack: false
    .vgpr_count:     134
    .vgpr_spill_count: 0
    .wavefront_size: 64
  - .agpr_count:     0
    .args:
      - .address_space:  global
        .offset:         0
        .size:           8
        .value_kind:     global_buffer
      - .address_space:  global
        .offset:         8
        .size:           8
        .value_kind:     global_buffer
      - .offset:         16
        .size:           4
        .value_kind:     by_value
      - .offset:         20
        .size:           4
        .value_kind:     by_value
      - .offset:         24
        .size:           4
        .value_kind:     by_value
      - .offset:         28
        .size:           4
        .value_kind:     by_value
      - .offset:         32
        .size:           4
        .value_kind:     by_value
      - .offset:         36
        .size:           4
        .value_kind:     by_value
      - .offset:         40
        .size:           12
        .value_kind:     by_value
      - .offset:         52
        .size:           12
        .value_kind:     by_value
      - .offset:         64
        .size:           12
        .value_kind:     by_value
    .group_segment_fixed_size: 0
    .kernarg_segment_align: 8
    .kernarg_segment_size: 76
    .language:       OpenCL C
    .language_version:
      - 2
      - 0
    .max_flat_workgroup_size: 128
    .name:           _ZL33flash_attn_stream_k_fixup_uniformILi128ELi32ELi1EEvPfPK15HIP_vector_typeIfLj2EEiiiiiiS1_IjLj3EES5_S5_
    .private_segment_fixed_size: 0
    .sgpr_count:     24
    .sgpr_spill_count: 0
    .symbol:         _ZL33flash_attn_stream_k_fixup_uniformILi128ELi32ELi1EEvPfPK15HIP_vector_typeIfLj2EEiiiiiiS1_IjLj3EES5_S5_.kd
    .uniform_work_group_size: 1
    .uses_dynamic_stack: false
    .vgpr_count:     17
    .vgpr_spill_count: 0
    .wavefront_size: 64
  - .agpr_count:     0
    .args:
      - .address_space:  global
        .offset:         0
        .size:           8
        .value_kind:     global_buffer
      - .address_space:  global
        .offset:         8
        .size:           8
        .value_kind:     global_buffer
      - .offset:         16
        .size:           4
        .value_kind:     by_value
      - .offset:         20
        .size:           4
        .value_kind:     by_value
      - .offset:         24
        .size:           4
        .value_kind:     by_value
      - .offset:         28
        .size:           4
        .value_kind:     by_value
      - .offset:         32
        .size:           12
        .value_kind:     by_value
      - .offset:         44
        .size:           12
        .value_kind:     by_value
      - .offset:         56
        .size:           12
        .value_kind:     by_value
      - .offset:         68
        .size:           12
        .value_kind:     by_value
      - .offset:         80
        .size:           4
        .value_kind:     hidden_block_count_x
      - .offset:         84
        .size:           4
        .value_kind:     hidden_block_count_y
      - .offset:         88
        .size:           4
        .value_kind:     hidden_block_count_z
      - .offset:         92
        .size:           2
        .value_kind:     hidden_group_size_x
      - .offset:         94
        .size:           2
        .value_kind:     hidden_group_size_y
      - .offset:         96
        .size:           2
        .value_kind:     hidden_group_size_z
      - .offset:         98
        .size:           2
        .value_kind:     hidden_remainder_x
      - .offset:         100
        .size:           2
        .value_kind:     hidden_remainder_y
      - .offset:         102
        .size:           2
        .value_kind:     hidden_remainder_z
      - .offset:         120
        .size:           8
        .value_kind:     hidden_global_offset_x
      - .offset:         128
        .size:           8
        .value_kind:     hidden_global_offset_y
      - .offset:         136
        .size:           8
        .value_kind:     hidden_global_offset_z
      - .offset:         144
        .size:           2
        .value_kind:     hidden_grid_dims
    .group_segment_fixed_size: 0
    .kernarg_segment_align: 8
    .kernarg_segment_size: 336
    .language:       OpenCL C
    .language_version:
      - 2
      - 0
    .max_flat_workgroup_size: 128
    .name:           _ZL33flash_attn_stream_k_fixup_generalILi128ELi32ELi1EEvPfPK15HIP_vector_typeIfLj2EEiiiiS1_IjLj3EES5_S5_S5_
    .private_segment_fixed_size: 0
    .sgpr_count:     36
    .sgpr_spill_count: 0
    .symbol:         _ZL33flash_attn_stream_k_fixup_generalILi128ELi32ELi1EEvPfPK15HIP_vector_typeIfLj2EEiiiiS1_IjLj3EES5_S5_S5_.kd
    .uniform_work_group_size: 1
    .uses_dynamic_stack: false
    .vgpr_count:     22
    .vgpr_spill_count: 0
    .wavefront_size: 64
  - .agpr_count:     0
    .args:
      - .address_space:  global
        .offset:         0
        .size:           8
        .value_kind:     global_buffer
      - .address_space:  global
        .offset:         8
        .size:           8
        .value_kind:     global_buffer
      - .address_space:  global
        .offset:         16
        .size:           8
        .value_kind:     global_buffer
      - .address_space:  global
        .offset:         24
        .size:           8
        .value_kind:     global_buffer
      - .address_space:  global
        .offset:         32
        .size:           8
        .value_kind:     global_buffer
      - .address_space:  global
        .offset:         40
        .size:           8
        .value_kind:     global_buffer
      - .address_space:  global
        .offset:         48
        .size:           8
        .value_kind:     global_buffer
      - .address_space:  global
        .offset:         56
        .size:           8
        .value_kind:     global_buffer
      - .offset:         64
        .size:           4
        .value_kind:     by_value
      - .offset:         68
        .size:           4
        .value_kind:     by_value
      - .offset:         72
        .size:           4
        .value_kind:     by_value
      - .offset:         76
        .size:           4
        .value_kind:     by_value
      - .offset:         80
        .size:           4
        .value_kind:     by_value
      - .offset:         84
        .size:           4
        .value_kind:     by_value
      - .offset:         88
        .size:           4
        .value_kind:     by_value
      - .offset:         92
        .size:           12
        .value_kind:     by_value
      - .offset:         104
        .size:           4
        .value_kind:     by_value
      - .offset:         108
        .size:           4
        .value_kind:     by_value
      - .offset:         112
        .size:           4
        .value_kind:     by_value
      - .offset:         116
        .size:           4
        .value_kind:     by_value
      - .offset:         120
        .size:           4
        .value_kind:     by_value
      - .offset:         124
        .size:           4
        .value_kind:     by_value
      - .offset:         128
        .size:           4
        .value_kind:     by_value
      - .offset:         132
        .size:           4
        .value_kind:     by_value
      - .offset:         136
        .size:           4
        .value_kind:     by_value
      - .offset:         140
        .size:           4
        .value_kind:     by_value
      - .offset:         144
        .size:           4
        .value_kind:     by_value
      - .offset:         152
        .size:           8
        .value_kind:     by_value
      - .offset:         160
        .size:           4
        .value_kind:     by_value
      - .offset:         164
        .size:           4
        .value_kind:     by_value
      - .offset:         168
        .size:           8
        .value_kind:     by_value
      - .offset:         176
        .size:           4
        .value_kind:     by_value
      - .offset:         180
        .size:           4
        .value_kind:     by_value
      - .offset:         184
        .size:           4
        .value_kind:     by_value
      - .offset:         188
        .size:           4
        .value_kind:     by_value
      - .offset:         192
        .size:           4
        .value_kind:     by_value
      - .offset:         200
        .size:           8
        .value_kind:     by_value
      - .offset:         208
        .size:           4
        .value_kind:     hidden_block_count_x
      - .offset:         212
        .size:           4
        .value_kind:     hidden_block_count_y
      - .offset:         216
        .size:           4
        .value_kind:     hidden_block_count_z
      - .offset:         220
        .size:           2
        .value_kind:     hidden_group_size_x
      - .offset:         222
        .size:           2
        .value_kind:     hidden_group_size_y
      - .offset:         224
        .size:           2
        .value_kind:     hidden_group_size_z
      - .offset:         226
        .size:           2
        .value_kind:     hidden_remainder_x
      - .offset:         228
        .size:           2
        .value_kind:     hidden_remainder_y
      - .offset:         230
        .size:           2
        .value_kind:     hidden_remainder_z
      - .offset:         248
        .size:           8
        .value_kind:     hidden_global_offset_x
      - .offset:         256
        .size:           8
        .value_kind:     hidden_global_offset_y
      - .offset:         264
        .size:           8
        .value_kind:     hidden_global_offset_z
      - .offset:         272
        .size:           2
        .value_kind:     hidden_grid_dims
    .group_segment_fixed_size: 31744
    .kernarg_segment_align: 8
    .kernarg_segment_size: 464
    .language:       OpenCL C
    .language_version:
      - 2
      - 0
    .max_flat_workgroup_size: 256
    .name:           _ZL15flash_attn_tileILi128ELi128ELi16ELi1ELb0EEvPKcS1_S1_S1_S1_PKiPfP15HIP_vector_typeIfLj2EEffffjfiS5_IjLj3EEiiiiiiiiiiiliiliiiiil
    .private_segment_fixed_size: 0
    .sgpr_count:     56
    .sgpr_spill_count: 0
    .symbol:         _ZL15flash_attn_tileILi128ELi128ELi16ELi1ELb0EEvPKcS1_S1_S1_S1_PKiPfP15HIP_vector_typeIfLj2EEffffjfiS5_IjLj3EEiiiiiiiiiiiliiliiiiil.kd
    .uniform_work_group_size: 1
    .uses_dynamic_stack: false
    .vgpr_count:     153
    .vgpr_spill_count: 0
    .wavefront_size: 64
  - .agpr_count:     0
    .args:
      - .address_space:  global
        .offset:         0
        .size:           8
        .value_kind:     global_buffer
      - .address_space:  global
        .offset:         8
        .size:           8
        .value_kind:     global_buffer
      - .offset:         16
        .size:           4
        .value_kind:     by_value
      - .offset:         20
        .size:           4
        .value_kind:     by_value
      - .offset:         24
        .size:           4
        .value_kind:     by_value
      - .offset:         28
        .size:           4
        .value_kind:     by_value
      - .offset:         32
        .size:           4
        .value_kind:     by_value
      - .offset:         36
        .size:           4
        .value_kind:     by_value
      - .offset:         40
        .size:           12
        .value_kind:     by_value
      - .offset:         52
        .size:           12
        .value_kind:     by_value
      - .offset:         64
        .size:           12
        .value_kind:     by_value
    .group_segment_fixed_size: 0
    .kernarg_segment_align: 8
    .kernarg_segment_size: 76
    .language:       OpenCL C
    .language_version:
      - 2
      - 0
    .max_flat_workgroup_size: 128
    .name:           _ZL33flash_attn_stream_k_fixup_uniformILi128ELi16ELi1EEvPfPK15HIP_vector_typeIfLj2EEiiiiiiS1_IjLj3EES5_S5_
    .private_segment_fixed_size: 0
    .sgpr_count:     24
    .sgpr_spill_count: 0
    .symbol:         _ZL33flash_attn_stream_k_fixup_uniformILi128ELi16ELi1EEvPfPK15HIP_vector_typeIfLj2EEiiiiiiS1_IjLj3EES5_S5_.kd
    .uniform_work_group_size: 1
    .uses_dynamic_stack: false
    .vgpr_count:     17
    .vgpr_spill_count: 0
    .wavefront_size: 64
  - .agpr_count:     0
    .args:
      - .address_space:  global
        .offset:         0
        .size:           8
        .value_kind:     global_buffer
      - .address_space:  global
        .offset:         8
        .size:           8
        .value_kind:     global_buffer
      - .offset:         16
        .size:           4
        .value_kind:     by_value
      - .offset:         20
        .size:           4
        .value_kind:     by_value
      - .offset:         24
        .size:           4
        .value_kind:     by_value
      - .offset:         28
        .size:           4
        .value_kind:     by_value
      - .offset:         32
        .size:           12
        .value_kind:     by_value
      - .offset:         44
        .size:           12
        .value_kind:     by_value
      - .offset:         56
        .size:           12
        .value_kind:     by_value
      - .offset:         68
        .size:           12
        .value_kind:     by_value
      - .offset:         80
        .size:           4
        .value_kind:     hidden_block_count_x
      - .offset:         84
        .size:           4
        .value_kind:     hidden_block_count_y
      - .offset:         88
        .size:           4
        .value_kind:     hidden_block_count_z
      - .offset:         92
        .size:           2
        .value_kind:     hidden_group_size_x
      - .offset:         94
        .size:           2
        .value_kind:     hidden_group_size_y
      - .offset:         96
        .size:           2
        .value_kind:     hidden_group_size_z
      - .offset:         98
        .size:           2
        .value_kind:     hidden_remainder_x
      - .offset:         100
        .size:           2
        .value_kind:     hidden_remainder_y
      - .offset:         102
        .size:           2
        .value_kind:     hidden_remainder_z
      - .offset:         120
        .size:           8
        .value_kind:     hidden_global_offset_x
      - .offset:         128
        .size:           8
        .value_kind:     hidden_global_offset_y
      - .offset:         136
        .size:           8
        .value_kind:     hidden_global_offset_z
      - .offset:         144
        .size:           2
        .value_kind:     hidden_grid_dims
    .group_segment_fixed_size: 0
    .kernarg_segment_align: 8
    .kernarg_segment_size: 336
    .language:       OpenCL C
    .language_version:
      - 2
      - 0
    .max_flat_workgroup_size: 128
    .name:           _ZL33flash_attn_stream_k_fixup_generalILi128ELi16ELi1EEvPfPK15HIP_vector_typeIfLj2EEiiiiS1_IjLj3EES5_S5_S5_
    .private_segment_fixed_size: 0
    .sgpr_count:     36
    .sgpr_spill_count: 0
    .symbol:         _ZL33flash_attn_stream_k_fixup_generalILi128ELi16ELi1EEvPfPK15HIP_vector_typeIfLj2EEiiiiS1_IjLj3EES5_S5_S5_.kd
    .uniform_work_group_size: 1
    .uses_dynamic_stack: false
    .vgpr_count:     22
    .vgpr_spill_count: 0
    .wavefront_size: 64
  - .agpr_count:     0
    .args:
      - .address_space:  global
        .offset:         0
        .size:           8
        .value_kind:     global_buffer
      - .address_space:  global
        .offset:         8
        .size:           8
        .value_kind:     global_buffer
      - .address_space:  global
        .offset:         16
        .size:           8
        .value_kind:     global_buffer
      - .address_space:  global
        .offset:         24
        .size:           8
        .value_kind:     global_buffer
      - .address_space:  global
        .offset:         32
        .size:           8
        .value_kind:     global_buffer
      - .address_space:  global
        .offset:         40
        .size:           8
        .value_kind:     global_buffer
      - .address_space:  global
        .offset:         48
        .size:           8
        .value_kind:     global_buffer
      - .address_space:  global
        .offset:         56
        .size:           8
        .value_kind:     global_buffer
      - .offset:         64
        .size:           4
        .value_kind:     by_value
      - .offset:         68
        .size:           4
        .value_kind:     by_value
      - .offset:         72
        .size:           4
        .value_kind:     by_value
      - .offset:         76
        .size:           4
        .value_kind:     by_value
      - .offset:         80
        .size:           4
        .value_kind:     by_value
      - .offset:         84
        .size:           4
        .value_kind:     by_value
      - .offset:         88
        .size:           4
        .value_kind:     by_value
      - .offset:         92
        .size:           12
        .value_kind:     by_value
      - .offset:         104
        .size:           4
        .value_kind:     by_value
      - .offset:         108
        .size:           4
        .value_kind:     by_value
      - .offset:         112
        .size:           4
        .value_kind:     by_value
      - .offset:         116
        .size:           4
        .value_kind:     by_value
      - .offset:         120
        .size:           4
        .value_kind:     by_value
      - .offset:         124
        .size:           4
        .value_kind:     by_value
      - .offset:         128
        .size:           4
        .value_kind:     by_value
      - .offset:         132
        .size:           4
        .value_kind:     by_value
      - .offset:         136
        .size:           4
        .value_kind:     by_value
      - .offset:         140
        .size:           4
        .value_kind:     by_value
      - .offset:         144
        .size:           4
        .value_kind:     by_value
      - .offset:         152
        .size:           8
        .value_kind:     by_value
      - .offset:         160
        .size:           4
        .value_kind:     by_value
      - .offset:         164
        .size:           4
        .value_kind:     by_value
      - .offset:         168
        .size:           8
        .value_kind:     by_value
      - .offset:         176
        .size:           4
        .value_kind:     by_value
      - .offset:         180
        .size:           4
        .value_kind:     by_value
      - .offset:         184
        .size:           4
        .value_kind:     by_value
      - .offset:         188
        .size:           4
        .value_kind:     by_value
      - .offset:         192
        .size:           4
        .value_kind:     by_value
      - .offset:         200
        .size:           8
        .value_kind:     by_value
      - .offset:         208
        .size:           4
        .value_kind:     hidden_block_count_x
      - .offset:         212
        .size:           4
        .value_kind:     hidden_block_count_y
      - .offset:         216
        .size:           4
        .value_kind:     hidden_block_count_z
      - .offset:         220
        .size:           2
        .value_kind:     hidden_group_size_x
      - .offset:         222
        .size:           2
        .value_kind:     hidden_group_size_y
      - .offset:         224
        .size:           2
        .value_kind:     hidden_group_size_z
      - .offset:         226
        .size:           2
        .value_kind:     hidden_remainder_x
      - .offset:         228
        .size:           2
        .value_kind:     hidden_remainder_y
      - .offset:         230
        .size:           2
        .value_kind:     hidden_remainder_z
      - .offset:         248
        .size:           8
        .value_kind:     hidden_global_offset_x
      - .offset:         256
        .size:           8
        .value_kind:     hidden_global_offset_y
      - .offset:         264
        .size:           8
        .value_kind:     hidden_global_offset_z
      - .offset:         272
        .size:           2
        .value_kind:     hidden_grid_dims
    .group_segment_fixed_size: 20480
    .kernarg_segment_align: 8
    .kernarg_segment_size: 464
    .language:       OpenCL C
    .language_version:
      - 2
      - 0
    .max_flat_workgroup_size: 256
    .name:           _ZL15flash_attn_tileILi128ELi128ELi8ELi1ELb0EEvPKcS1_S1_S1_S1_PKiPfP15HIP_vector_typeIfLj2EEffffjfiS5_IjLj3EEiiiiiiiiiiiliiliiiiil
    .private_segment_fixed_size: 32
    .sgpr_count:     62
    .sgpr_spill_count: 0
    .symbol:         _ZL15flash_attn_tileILi128ELi128ELi8ELi1ELb0EEvPKcS1_S1_S1_S1_PKiPfP15HIP_vector_typeIfLj2EEffffjfiS5_IjLj3EEiiiiiiiiiiiliiliiiiil.kd
    .uniform_work_group_size: 1
    .uses_dynamic_stack: false
    .vgpr_count:     161
    .vgpr_spill_count: 0
    .wavefront_size: 64
  - .agpr_count:     0
    .args:
      - .address_space:  global
        .offset:         0
        .size:           8
        .value_kind:     global_buffer
      - .address_space:  global
        .offset:         8
        .size:           8
        .value_kind:     global_buffer
      - .offset:         16
        .size:           4
        .value_kind:     by_value
      - .offset:         20
        .size:           4
        .value_kind:     by_value
      - .offset:         24
        .size:           4
        .value_kind:     by_value
      - .offset:         28
        .size:           4
        .value_kind:     by_value
      - .offset:         32
        .size:           4
        .value_kind:     by_value
      - .offset:         36
        .size:           4
        .value_kind:     by_value
      - .offset:         40
        .size:           12
        .value_kind:     by_value
      - .offset:         52
        .size:           12
        .value_kind:     by_value
      - .offset:         64
        .size:           12
        .value_kind:     by_value
    .group_segment_fixed_size: 0
    .kernarg_segment_align: 8
    .kernarg_segment_size: 76
    .language:       OpenCL C
    .language_version:
      - 2
      - 0
    .max_flat_workgroup_size: 128
    .name:           _ZL33flash_attn_stream_k_fixup_uniformILi128ELi8ELi1EEvPfPK15HIP_vector_typeIfLj2EEiiiiiiS1_IjLj3EES5_S5_
    .private_segment_fixed_size: 0
    .sgpr_count:     24
    .sgpr_spill_count: 0
    .symbol:         _ZL33flash_attn_stream_k_fixup_uniformILi128ELi8ELi1EEvPfPK15HIP_vector_typeIfLj2EEiiiiiiS1_IjLj3EES5_S5_.kd
    .uniform_work_group_size: 1
    .uses_dynamic_stack: false
    .vgpr_count:     17
    .vgpr_spill_count: 0
    .wavefront_size: 64
  - .agpr_count:     0
    .args:
      - .address_space:  global
        .offset:         0
        .size:           8
        .value_kind:     global_buffer
      - .address_space:  global
        .offset:         8
        .size:           8
        .value_kind:     global_buffer
      - .offset:         16
        .size:           4
        .value_kind:     by_value
      - .offset:         20
        .size:           4
        .value_kind:     by_value
      - .offset:         24
        .size:           4
        .value_kind:     by_value
      - .offset:         28
        .size:           4
        .value_kind:     by_value
      - .offset:         32
        .size:           12
        .value_kind:     by_value
      - .offset:         44
        .size:           12
        .value_kind:     by_value
      - .offset:         56
        .size:           12
        .value_kind:     by_value
      - .offset:         68
        .size:           12
        .value_kind:     by_value
      - .offset:         80
        .size:           4
        .value_kind:     hidden_block_count_x
      - .offset:         84
        .size:           4
        .value_kind:     hidden_block_count_y
      - .offset:         88
        .size:           4
        .value_kind:     hidden_block_count_z
      - .offset:         92
        .size:           2
        .value_kind:     hidden_group_size_x
      - .offset:         94
        .size:           2
        .value_kind:     hidden_group_size_y
      - .offset:         96
        .size:           2
        .value_kind:     hidden_group_size_z
      - .offset:         98
        .size:           2
        .value_kind:     hidden_remainder_x
      - .offset:         100
        .size:           2
        .value_kind:     hidden_remainder_y
      - .offset:         102
        .size:           2
        .value_kind:     hidden_remainder_z
      - .offset:         120
        .size:           8
        .value_kind:     hidden_global_offset_x
      - .offset:         128
        .size:           8
        .value_kind:     hidden_global_offset_y
      - .offset:         136
        .size:           8
        .value_kind:     hidden_global_offset_z
      - .offset:         144
        .size:           2
        .value_kind:     hidden_grid_dims
    .group_segment_fixed_size: 0
    .kernarg_segment_align: 8
    .kernarg_segment_size: 336
    .language:       OpenCL C
    .language_version:
      - 2
      - 0
    .max_flat_workgroup_size: 128
    .name:           _ZL33flash_attn_stream_k_fixup_generalILi128ELi8ELi1EEvPfPK15HIP_vector_typeIfLj2EEiiiiS1_IjLj3EES5_S5_S5_
    .private_segment_fixed_size: 0
    .sgpr_count:     36
    .sgpr_spill_count: 0
    .symbol:         _ZL33flash_attn_stream_k_fixup_generalILi128ELi8ELi1EEvPfPK15HIP_vector_typeIfLj2EEiiiiS1_IjLj3EES5_S5_S5_.kd
    .uniform_work_group_size: 1
    .uses_dynamic_stack: false
    .vgpr_count:     22
    .vgpr_spill_count: 0
    .wavefront_size: 64
  - .agpr_count:     0
    .args:
      - .address_space:  global
        .offset:         0
        .size:           8
        .value_kind:     global_buffer
      - .address_space:  global
        .offset:         8
        .size:           8
        .value_kind:     global_buffer
      - .address_space:  global
        .offset:         16
        .size:           8
        .value_kind:     global_buffer
      - .address_space:  global
        .offset:         24
        .size:           8
        .value_kind:     global_buffer
      - .address_space:  global
        .offset:         32
        .size:           8
        .value_kind:     global_buffer
      - .address_space:  global
        .offset:         40
        .size:           8
        .value_kind:     global_buffer
      - .address_space:  global
        .offset:         48
        .size:           8
        .value_kind:     global_buffer
      - .address_space:  global
        .offset:         56
        .size:           8
        .value_kind:     global_buffer
      - .offset:         64
        .size:           4
        .value_kind:     by_value
      - .offset:         68
        .size:           4
        .value_kind:     by_value
      - .offset:         72
        .size:           4
        .value_kind:     by_value
      - .offset:         76
        .size:           4
        .value_kind:     by_value
      - .offset:         80
        .size:           4
        .value_kind:     by_value
      - .offset:         84
        .size:           4
        .value_kind:     by_value
      - .offset:         88
        .size:           4
        .value_kind:     by_value
      - .offset:         92
        .size:           12
        .value_kind:     by_value
      - .offset:         104
        .size:           4
        .value_kind:     by_value
      - .offset:         108
        .size:           4
        .value_kind:     by_value
      - .offset:         112
        .size:           4
        .value_kind:     by_value
      - .offset:         116
        .size:           4
        .value_kind:     by_value
      - .offset:         120
        .size:           4
        .value_kind:     by_value
      - .offset:         124
        .size:           4
        .value_kind:     by_value
      - .offset:         128
        .size:           4
        .value_kind:     by_value
      - .offset:         132
        .size:           4
        .value_kind:     by_value
      - .offset:         136
        .size:           4
        .value_kind:     by_value
      - .offset:         140
        .size:           4
        .value_kind:     by_value
      - .offset:         144
        .size:           4
        .value_kind:     by_value
      - .offset:         152
        .size:           8
        .value_kind:     by_value
      - .offset:         160
        .size:           4
        .value_kind:     by_value
      - .offset:         164
        .size:           4
        .value_kind:     by_value
      - .offset:         168
        .size:           8
        .value_kind:     by_value
      - .offset:         176
        .size:           4
        .value_kind:     by_value
      - .offset:         180
        .size:           4
        .value_kind:     by_value
      - .offset:         184
        .size:           4
        .value_kind:     by_value
      - .offset:         188
        .size:           4
        .value_kind:     by_value
      - .offset:         192
        .size:           4
        .value_kind:     by_value
      - .offset:         200
        .size:           8
        .value_kind:     by_value
      - .offset:         208
        .size:           4
        .value_kind:     hidden_block_count_x
      - .offset:         212
        .size:           4
        .value_kind:     hidden_block_count_y
      - .offset:         216
        .size:           4
        .value_kind:     hidden_block_count_z
      - .offset:         220
        .size:           2
        .value_kind:     hidden_group_size_x
      - .offset:         222
        .size:           2
        .value_kind:     hidden_group_size_y
      - .offset:         224
        .size:           2
        .value_kind:     hidden_group_size_z
      - .offset:         226
        .size:           2
        .value_kind:     hidden_remainder_x
      - .offset:         228
        .size:           2
        .value_kind:     hidden_remainder_y
      - .offset:         230
        .size:           2
        .value_kind:     hidden_remainder_z
      - .offset:         248
        .size:           8
        .value_kind:     hidden_global_offset_x
      - .offset:         256
        .size:           8
        .value_kind:     hidden_global_offset_y
      - .offset:         264
        .size:           8
        .value_kind:     hidden_global_offset_z
      - .offset:         272
        .size:           2
        .value_kind:     hidden_grid_dims
    .group_segment_fixed_size: 18944
    .kernarg_segment_align: 8
    .kernarg_segment_size: 464
    .language:       OpenCL C
    .language_version:
      - 2
      - 0
    .max_flat_workgroup_size: 128
    .name:           _ZL15flash_attn_tileILi128ELi128ELi4ELi1ELb0EEvPKcS1_S1_S1_S1_PKiPfP15HIP_vector_typeIfLj2EEffffjfiS5_IjLj3EEiiiiiiiiiiiliiliiiiil
    .private_segment_fixed_size: 32
    .sgpr_count:     62
    .sgpr_spill_count: 0
    .symbol:         _ZL15flash_attn_tileILi128ELi128ELi4ELi1ELb0EEvPKcS1_S1_S1_S1_PKiPfP15HIP_vector_typeIfLj2EEffffjfiS5_IjLj3EEiiiiiiiiiiiliiliiiiil.kd
    .uniform_work_group_size: 1
    .uses_dynamic_stack: false
    .vgpr_count:     182
    .vgpr_spill_count: 0
    .wavefront_size: 64
  - .agpr_count:     0
    .args:
      - .address_space:  global
        .offset:         0
        .size:           8
        .value_kind:     global_buffer
      - .address_space:  global
        .offset:         8
        .size:           8
        .value_kind:     global_buffer
      - .offset:         16
        .size:           4
        .value_kind:     by_value
      - .offset:         20
        .size:           4
        .value_kind:     by_value
      - .offset:         24
        .size:           4
        .value_kind:     by_value
      - .offset:         28
        .size:           4
        .value_kind:     by_value
      - .offset:         32
        .size:           4
        .value_kind:     by_value
      - .offset:         36
        .size:           4
        .value_kind:     by_value
      - .offset:         40
        .size:           12
        .value_kind:     by_value
      - .offset:         52
        .size:           12
        .value_kind:     by_value
      - .offset:         64
        .size:           12
        .value_kind:     by_value
    .group_segment_fixed_size: 0
    .kernarg_segment_align: 8
    .kernarg_segment_size: 76
    .language:       OpenCL C
    .language_version:
      - 2
      - 0
    .max_flat_workgroup_size: 128
    .name:           _ZL33flash_attn_stream_k_fixup_uniformILi128ELi4ELi1EEvPfPK15HIP_vector_typeIfLj2EEiiiiiiS1_IjLj3EES5_S5_
    .private_segment_fixed_size: 0
    .sgpr_count:     24
    .sgpr_spill_count: 0
    .symbol:         _ZL33flash_attn_stream_k_fixup_uniformILi128ELi4ELi1EEvPfPK15HIP_vector_typeIfLj2EEiiiiiiS1_IjLj3EES5_S5_.kd
    .uniform_work_group_size: 1
    .uses_dynamic_stack: false
    .vgpr_count:     17
    .vgpr_spill_count: 0
    .wavefront_size: 64
  - .agpr_count:     0
    .args:
      - .address_space:  global
        .offset:         0
        .size:           8
        .value_kind:     global_buffer
      - .address_space:  global
        .offset:         8
        .size:           8
        .value_kind:     global_buffer
      - .offset:         16
        .size:           4
        .value_kind:     by_value
      - .offset:         20
        .size:           4
        .value_kind:     by_value
      - .offset:         24
        .size:           4
        .value_kind:     by_value
      - .offset:         28
        .size:           4
        .value_kind:     by_value
      - .offset:         32
        .size:           12
        .value_kind:     by_value
      - .offset:         44
        .size:           12
        .value_kind:     by_value
      - .offset:         56
        .size:           12
        .value_kind:     by_value
      - .offset:         68
        .size:           12
        .value_kind:     by_value
      - .offset:         80
        .size:           4
        .value_kind:     hidden_block_count_x
      - .offset:         84
        .size:           4
        .value_kind:     hidden_block_count_y
      - .offset:         88
        .size:           4
        .value_kind:     hidden_block_count_z
      - .offset:         92
        .size:           2
        .value_kind:     hidden_group_size_x
      - .offset:         94
        .size:           2
        .value_kind:     hidden_group_size_y
      - .offset:         96
        .size:           2
        .value_kind:     hidden_group_size_z
      - .offset:         98
        .size:           2
        .value_kind:     hidden_remainder_x
      - .offset:         100
        .size:           2
        .value_kind:     hidden_remainder_y
      - .offset:         102
        .size:           2
        .value_kind:     hidden_remainder_z
      - .offset:         120
        .size:           8
        .value_kind:     hidden_global_offset_x
      - .offset:         128
        .size:           8
        .value_kind:     hidden_global_offset_y
      - .offset:         136
        .size:           8
        .value_kind:     hidden_global_offset_z
      - .offset:         144
        .size:           2
        .value_kind:     hidden_grid_dims
    .group_segment_fixed_size: 0
    .kernarg_segment_align: 8
    .kernarg_segment_size: 336
    .language:       OpenCL C
    .language_version:
      - 2
      - 0
    .max_flat_workgroup_size: 128
    .name:           _ZL33flash_attn_stream_k_fixup_generalILi128ELi4ELi1EEvPfPK15HIP_vector_typeIfLj2EEiiiiS1_IjLj3EES5_S5_S5_
    .private_segment_fixed_size: 0
    .sgpr_count:     36
    .sgpr_spill_count: 0
    .symbol:         _ZL33flash_attn_stream_k_fixup_generalILi128ELi4ELi1EEvPfPK15HIP_vector_typeIfLj2EEiiiiS1_IjLj3EES5_S5_S5_.kd
    .uniform_work_group_size: 1
    .uses_dynamic_stack: false
    .vgpr_count:     22
    .vgpr_spill_count: 0
    .wavefront_size: 64
  - .agpr_count:     0
    .args:
      - .address_space:  global
        .offset:         0
        .size:           8
        .value_kind:     global_buffer
      - .address_space:  global
        .offset:         8
        .size:           8
        .value_kind:     global_buffer
      - .address_space:  global
        .offset:         16
        .size:           8
        .value_kind:     global_buffer
      - .address_space:  global
        .offset:         24
        .size:           8
        .value_kind:     global_buffer
      - .address_space:  global
        .offset:         32
        .size:           8
        .value_kind:     global_buffer
      - .address_space:  global
        .offset:         40
        .size:           8
        .value_kind:     global_buffer
      - .address_space:  global
        .offset:         48
        .size:           8
        .value_kind:     global_buffer
      - .address_space:  global
        .offset:         56
        .size:           8
        .value_kind:     global_buffer
      - .offset:         64
        .size:           4
        .value_kind:     by_value
      - .offset:         68
        .size:           4
        .value_kind:     by_value
      - .offset:         72
        .size:           4
        .value_kind:     by_value
      - .offset:         76
        .size:           4
        .value_kind:     by_value
      - .offset:         80
        .size:           4
        .value_kind:     by_value
      - .offset:         84
        .size:           4
        .value_kind:     by_value
      - .offset:         88
        .size:           4
        .value_kind:     by_value
      - .offset:         92
        .size:           12
        .value_kind:     by_value
      - .offset:         104
        .size:           4
        .value_kind:     by_value
      - .offset:         108
        .size:           4
        .value_kind:     by_value
      - .offset:         112
        .size:           4
        .value_kind:     by_value
      - .offset:         116
        .size:           4
        .value_kind:     by_value
      - .offset:         120
        .size:           4
        .value_kind:     by_value
      - .offset:         124
        .size:           4
        .value_kind:     by_value
      - .offset:         128
        .size:           4
        .value_kind:     by_value
      - .offset:         132
        .size:           4
        .value_kind:     by_value
      - .offset:         136
        .size:           4
        .value_kind:     by_value
      - .offset:         140
        .size:           4
        .value_kind:     by_value
      - .offset:         144
        .size:           4
        .value_kind:     by_value
      - .offset:         152
        .size:           8
        .value_kind:     by_value
      - .offset:         160
        .size:           4
        .value_kind:     by_value
      - .offset:         164
        .size:           4
        .value_kind:     by_value
      - .offset:         168
        .size:           8
        .value_kind:     by_value
      - .offset:         176
        .size:           4
        .value_kind:     by_value
      - .offset:         180
        .size:           4
        .value_kind:     by_value
      - .offset:         184
        .size:           4
        .value_kind:     by_value
      - .offset:         188
        .size:           4
        .value_kind:     by_value
      - .offset:         192
        .size:           4
        .value_kind:     by_value
      - .offset:         200
        .size:           8
        .value_kind:     by_value
      - .offset:         208
        .size:           4
        .value_kind:     hidden_block_count_x
      - .offset:         212
        .size:           4
        .value_kind:     hidden_block_count_y
      - .offset:         216
        .size:           4
        .value_kind:     hidden_block_count_z
      - .offset:         220
        .size:           2
        .value_kind:     hidden_group_size_x
      - .offset:         222
        .size:           2
        .value_kind:     hidden_group_size_y
      - .offset:         224
        .size:           2
        .value_kind:     hidden_group_size_z
      - .offset:         226
        .size:           2
        .value_kind:     hidden_remainder_x
      - .offset:         228
        .size:           2
        .value_kind:     hidden_remainder_y
      - .offset:         230
        .size:           2
        .value_kind:     hidden_remainder_z
      - .offset:         248
        .size:           8
        .value_kind:     hidden_global_offset_x
      - .offset:         256
        .size:           8
        .value_kind:     hidden_global_offset_y
      - .offset:         264
        .size:           8
        .value_kind:     hidden_global_offset_z
      - .offset:         272
        .size:           2
        .value_kind:     hidden_grid_dims
    .group_segment_fixed_size: 19520
    .kernarg_segment_align: 8
    .kernarg_segment_size: 464
    .language:       OpenCL C
    .language_version:
      - 2
      - 0
    .max_flat_workgroup_size: 256
    .name:           _ZL15flash_attn_tileILi128ELi128ELi2ELi1ELb0EEvPKcS1_S1_S1_S1_PKiPfP15HIP_vector_typeIfLj2EEffffjfiS5_IjLj3EEiiiiiiiiiiiliiliiiiil
    .private_segment_fixed_size: 32
    .sgpr_count:     62
    .sgpr_spill_count: 0
    .symbol:         _ZL15flash_attn_tileILi128ELi128ELi2ELi1ELb0EEvPKcS1_S1_S1_S1_PKiPfP15HIP_vector_typeIfLj2EEffffjfiS5_IjLj3EEiiiiiiiiiiiliiliiiiil.kd
    .uniform_work_group_size: 1
    .uses_dynamic_stack: false
    .vgpr_count:     141
    .vgpr_spill_count: 0
    .wavefront_size: 64
  - .agpr_count:     0
    .args:
      - .address_space:  global
        .offset:         0
        .size:           8
        .value_kind:     global_buffer
      - .address_space:  global
        .offset:         8
        .size:           8
        .value_kind:     global_buffer
      - .offset:         16
        .size:           4
        .value_kind:     by_value
      - .offset:         20
        .size:           4
        .value_kind:     by_value
      - .offset:         24
        .size:           4
        .value_kind:     by_value
      - .offset:         28
        .size:           4
        .value_kind:     by_value
      - .offset:         32
        .size:           4
        .value_kind:     by_value
      - .offset:         36
        .size:           4
        .value_kind:     by_value
      - .offset:         40
        .size:           12
        .value_kind:     by_value
      - .offset:         52
        .size:           12
        .value_kind:     by_value
      - .offset:         64
        .size:           12
        .value_kind:     by_value
    .group_segment_fixed_size: 0
    .kernarg_segment_align: 8
    .kernarg_segment_size: 76
    .language:       OpenCL C
    .language_version:
      - 2
      - 0
    .max_flat_workgroup_size: 128
    .name:           _ZL33flash_attn_stream_k_fixup_uniformILi128ELi2ELi1EEvPfPK15HIP_vector_typeIfLj2EEiiiiiiS1_IjLj3EES5_S5_
    .private_segment_fixed_size: 0
    .sgpr_count:     24
    .sgpr_spill_count: 0
    .symbol:         _ZL33flash_attn_stream_k_fixup_uniformILi128ELi2ELi1EEvPfPK15HIP_vector_typeIfLj2EEiiiiiiS1_IjLj3EES5_S5_.kd
    .uniform_work_group_size: 1
    .uses_dynamic_stack: false
    .vgpr_count:     17
    .vgpr_spill_count: 0
    .wavefront_size: 64
  - .agpr_count:     0
    .args:
      - .address_space:  global
        .offset:         0
        .size:           8
        .value_kind:     global_buffer
      - .address_space:  global
        .offset:         8
        .size:           8
        .value_kind:     global_buffer
      - .offset:         16
        .size:           4
        .value_kind:     by_value
      - .offset:         20
        .size:           4
        .value_kind:     by_value
      - .offset:         24
        .size:           4
        .value_kind:     by_value
      - .offset:         28
        .size:           4
        .value_kind:     by_value
      - .offset:         32
        .size:           12
        .value_kind:     by_value
      - .offset:         44
        .size:           12
        .value_kind:     by_value
      - .offset:         56
        .size:           12
        .value_kind:     by_value
      - .offset:         68
        .size:           12
        .value_kind:     by_value
      - .offset:         80
        .size:           4
        .value_kind:     hidden_block_count_x
      - .offset:         84
        .size:           4
        .value_kind:     hidden_block_count_y
      - .offset:         88
        .size:           4
        .value_kind:     hidden_block_count_z
      - .offset:         92
        .size:           2
        .value_kind:     hidden_group_size_x
      - .offset:         94
        .size:           2
        .value_kind:     hidden_group_size_y
      - .offset:         96
        .size:           2
        .value_kind:     hidden_group_size_z
      - .offset:         98
        .size:           2
        .value_kind:     hidden_remainder_x
      - .offset:         100
        .size:           2
        .value_kind:     hidden_remainder_y
      - .offset:         102
        .size:           2
        .value_kind:     hidden_remainder_z
      - .offset:         120
        .size:           8
        .value_kind:     hidden_global_offset_x
      - .offset:         128
        .size:           8
        .value_kind:     hidden_global_offset_y
      - .offset:         136
        .size:           8
        .value_kind:     hidden_global_offset_z
      - .offset:         144
        .size:           2
        .value_kind:     hidden_grid_dims
    .group_segment_fixed_size: 0
    .kernarg_segment_align: 8
    .kernarg_segment_size: 336
    .language:       OpenCL C
    .language_version:
      - 2
      - 0
    .max_flat_workgroup_size: 128
    .name:           _ZL33flash_attn_stream_k_fixup_generalILi128ELi2ELi1EEvPfPK15HIP_vector_typeIfLj2EEiiiiS1_IjLj3EES5_S5_S5_
    .private_segment_fixed_size: 0
    .sgpr_count:     36
    .sgpr_spill_count: 0
    .symbol:         _ZL33flash_attn_stream_k_fixup_generalILi128ELi2ELi1EEvPfPK15HIP_vector_typeIfLj2EEiiiiS1_IjLj3EES5_S5_S5_.kd
    .uniform_work_group_size: 1
    .uses_dynamic_stack: false
    .vgpr_count:     22
    .vgpr_spill_count: 0
    .wavefront_size: 64
  - .agpr_count:     0
    .args:
      - .address_space:  global
        .offset:         0
        .size:           8
        .value_kind:     global_buffer
      - .address_space:  global
        .offset:         8
        .size:           8
        .value_kind:     global_buffer
      - .address_space:  global
        .offset:         16
        .size:           8
        .value_kind:     global_buffer
      - .address_space:  global
        .offset:         24
        .size:           8
        .value_kind:     global_buffer
      - .address_space:  global
        .offset:         32
        .size:           8
        .value_kind:     global_buffer
      - .address_space:  global
        .offset:         40
        .size:           8
        .value_kind:     global_buffer
      - .address_space:  global
        .offset:         48
        .size:           8
        .value_kind:     global_buffer
      - .address_space:  global
        .offset:         56
        .size:           8
        .value_kind:     global_buffer
      - .offset:         64
        .size:           4
        .value_kind:     by_value
      - .offset:         68
        .size:           4
        .value_kind:     by_value
      - .offset:         72
        .size:           4
        .value_kind:     by_value
      - .offset:         76
        .size:           4
        .value_kind:     by_value
      - .offset:         80
        .size:           4
        .value_kind:     by_value
      - .offset:         84
        .size:           4
        .value_kind:     by_value
      - .offset:         88
        .size:           4
        .value_kind:     by_value
      - .offset:         92
        .size:           12
        .value_kind:     by_value
      - .offset:         104
        .size:           4
        .value_kind:     by_value
      - .offset:         108
        .size:           4
        .value_kind:     by_value
      - .offset:         112
        .size:           4
        .value_kind:     by_value
      - .offset:         116
        .size:           4
        .value_kind:     by_value
      - .offset:         120
        .size:           4
        .value_kind:     by_value
      - .offset:         124
        .size:           4
        .value_kind:     by_value
      - .offset:         128
        .size:           4
        .value_kind:     by_value
      - .offset:         132
        .size:           4
        .value_kind:     by_value
      - .offset:         136
        .size:           4
        .value_kind:     by_value
      - .offset:         140
        .size:           4
        .value_kind:     by_value
      - .offset:         144
        .size:           4
        .value_kind:     by_value
      - .offset:         152
        .size:           8
        .value_kind:     by_value
      - .offset:         160
        .size:           4
        .value_kind:     by_value
      - .offset:         164
        .size:           4
        .value_kind:     by_value
      - .offset:         168
        .size:           8
        .value_kind:     by_value
      - .offset:         176
        .size:           4
        .value_kind:     by_value
      - .offset:         180
        .size:           4
        .value_kind:     by_value
      - .offset:         184
        .size:           4
        .value_kind:     by_value
      - .offset:         188
        .size:           4
        .value_kind:     by_value
      - .offset:         192
        .size:           4
        .value_kind:     by_value
      - .offset:         200
        .size:           8
        .value_kind:     by_value
      - .offset:         208
        .size:           4
        .value_kind:     hidden_block_count_x
      - .offset:         212
        .size:           4
        .value_kind:     hidden_block_count_y
      - .offset:         216
        .size:           4
        .value_kind:     hidden_block_count_z
      - .offset:         220
        .size:           2
        .value_kind:     hidden_group_size_x
      - .offset:         222
        .size:           2
        .value_kind:     hidden_group_size_y
      - .offset:         224
        .size:           2
        .value_kind:     hidden_group_size_z
      - .offset:         226
        .size:           2
        .value_kind:     hidden_remainder_x
      - .offset:         228
        .size:           2
        .value_kind:     hidden_remainder_y
      - .offset:         230
        .size:           2
        .value_kind:     hidden_remainder_z
      - .offset:         248
        .size:           8
        .value_kind:     hidden_global_offset_x
      - .offset:         256
        .size:           8
        .value_kind:     hidden_global_offset_y
      - .offset:         264
        .size:           8
        .value_kind:     hidden_global_offset_z
      - .offset:         272
        .size:           2
        .value_kind:     hidden_grid_dims
    .group_segment_fixed_size: 29696
    .kernarg_segment_align: 8
    .kernarg_segment_size: 464
    .language:       OpenCL C
    .language_version:
      - 2
      - 0
    .max_flat_workgroup_size: 256
    .name:           _ZL15flash_attn_tileILi128ELi128ELi8ELi8ELb1EEvPKcS1_S1_S1_S1_PKiPfP15HIP_vector_typeIfLj2EEffffjfiS5_IjLj3EEiiiiiiiiiiiliiliiiiil
    .private_segment_fixed_size: 0
    .sgpr_count:     43
    .sgpr_spill_count: 0
    .symbol:         _ZL15flash_attn_tileILi128ELi128ELi8ELi8ELb1EEvPKcS1_S1_S1_S1_PKiPfP15HIP_vector_typeIfLj2EEffffjfiS5_IjLj3EEiiiiiiiiiiiliiliiiiil.kd
    .uniform_work_group_size: 1
    .uses_dynamic_stack: false
    .vgpr_count:     112
    .vgpr_spill_count: 0
    .wavefront_size: 64
  - .agpr_count:     0
    .args:
      - .address_space:  global
        .offset:         0
        .size:           8
        .value_kind:     global_buffer
      - .address_space:  global
        .offset:         8
        .size:           8
        .value_kind:     global_buffer
      - .address_space:  global
        .offset:         16
        .size:           8
        .value_kind:     global_buffer
      - .address_space:  global
        .offset:         24
        .size:           8
        .value_kind:     global_buffer
      - .address_space:  global
        .offset:         32
        .size:           8
        .value_kind:     global_buffer
      - .address_space:  global
        .offset:         40
        .size:           8
        .value_kind:     global_buffer
      - .address_space:  global
        .offset:         48
        .size:           8
        .value_kind:     global_buffer
      - .address_space:  global
        .offset:         56
        .size:           8
        .value_kind:     global_buffer
      - .offset:         64
        .size:           4
        .value_kind:     by_value
      - .offset:         68
        .size:           4
        .value_kind:     by_value
      - .offset:         72
        .size:           4
        .value_kind:     by_value
      - .offset:         76
        .size:           4
        .value_kind:     by_value
      - .offset:         80
        .size:           4
        .value_kind:     by_value
      - .offset:         84
        .size:           4
        .value_kind:     by_value
      - .offset:         88
        .size:           4
        .value_kind:     by_value
      - .offset:         92
        .size:           12
        .value_kind:     by_value
      - .offset:         104
        .size:           4
        .value_kind:     by_value
      - .offset:         108
        .size:           4
        .value_kind:     by_value
      - .offset:         112
        .size:           4
        .value_kind:     by_value
      - .offset:         116
        .size:           4
        .value_kind:     by_value
      - .offset:         120
        .size:           4
        .value_kind:     by_value
      - .offset:         124
        .size:           4
        .value_kind:     by_value
      - .offset:         128
        .size:           4
        .value_kind:     by_value
      - .offset:         132
        .size:           4
        .value_kind:     by_value
      - .offset:         136
        .size:           4
        .value_kind:     by_value
      - .offset:         140
        .size:           4
        .value_kind:     by_value
      - .offset:         144
        .size:           4
        .value_kind:     by_value
      - .offset:         152
        .size:           8
        .value_kind:     by_value
      - .offset:         160
        .size:           4
        .value_kind:     by_value
      - .offset:         164
        .size:           4
        .value_kind:     by_value
      - .offset:         168
        .size:           8
        .value_kind:     by_value
      - .offset:         176
        .size:           4
        .value_kind:     by_value
      - .offset:         180
        .size:           4
        .value_kind:     by_value
      - .offset:         184
        .size:           4
        .value_kind:     by_value
      - .offset:         188
        .size:           4
        .value_kind:     by_value
      - .offset:         192
        .size:           4
        .value_kind:     by_value
      - .offset:         200
        .size:           8
        .value_kind:     by_value
      - .offset:         208
        .size:           4
        .value_kind:     hidden_block_count_x
      - .offset:         212
        .size:           4
        .value_kind:     hidden_block_count_y
      - .offset:         216
        .size:           4
        .value_kind:     hidden_block_count_z
      - .offset:         220
        .size:           2
        .value_kind:     hidden_group_size_x
      - .offset:         222
        .size:           2
        .value_kind:     hidden_group_size_y
      - .offset:         224
        .size:           2
        .value_kind:     hidden_group_size_z
      - .offset:         226
        .size:           2
        .value_kind:     hidden_remainder_x
      - .offset:         228
        .size:           2
        .value_kind:     hidden_remainder_y
      - .offset:         230
        .size:           2
        .value_kind:     hidden_remainder_z
      - .offset:         248
        .size:           8
        .value_kind:     hidden_global_offset_x
      - .offset:         256
        .size:           8
        .value_kind:     hidden_global_offset_y
      - .offset:         264
        .size:           8
        .value_kind:     hidden_global_offset_z
      - .offset:         272
        .size:           2
        .value_kind:     hidden_grid_dims
    .group_segment_fixed_size: 21504
    .kernarg_segment_align: 8
    .kernarg_segment_size: 464
    .language:       OpenCL C
    .language_version:
      - 2
      - 0
    .max_flat_workgroup_size: 256
    .name:           _ZL15flash_attn_tileILi128ELi128ELi4ELi8ELb1EEvPKcS1_S1_S1_S1_PKiPfP15HIP_vector_typeIfLj2EEffffjfiS5_IjLj3EEiiiiiiiiiiiliiliiiiil
    .private_segment_fixed_size: 0
    .sgpr_count:     44
    .sgpr_spill_count: 0
    .symbol:         _ZL15flash_attn_tileILi128ELi128ELi4ELi8ELb1EEvPKcS1_S1_S1_S1_PKiPfP15HIP_vector_typeIfLj2EEffffjfiS5_IjLj3EEiiiiiiiiiiiliiliiiiil.kd
    .uniform_work_group_size: 1
    .uses_dynamic_stack: false
    .vgpr_count:     105
    .vgpr_spill_count: 0
    .wavefront_size: 64
  - .agpr_count:     0
    .args:
      - .address_space:  global
        .offset:         0
        .size:           8
        .value_kind:     global_buffer
      - .address_space:  global
        .offset:         8
        .size:           8
        .value_kind:     global_buffer
      - .address_space:  global
        .offset:         16
        .size:           8
        .value_kind:     global_buffer
      - .address_space:  global
        .offset:         24
        .size:           8
        .value_kind:     global_buffer
      - .address_space:  global
        .offset:         32
        .size:           8
        .value_kind:     global_buffer
      - .address_space:  global
        .offset:         40
        .size:           8
        .value_kind:     global_buffer
      - .address_space:  global
        .offset:         48
        .size:           8
        .value_kind:     global_buffer
      - .address_space:  global
        .offset:         56
        .size:           8
        .value_kind:     global_buffer
      - .offset:         64
        .size:           4
        .value_kind:     by_value
      - .offset:         68
        .size:           4
        .value_kind:     by_value
      - .offset:         72
        .size:           4
        .value_kind:     by_value
      - .offset:         76
        .size:           4
        .value_kind:     by_value
      - .offset:         80
        .size:           4
        .value_kind:     by_value
      - .offset:         84
        .size:           4
        .value_kind:     by_value
      - .offset:         88
        .size:           4
        .value_kind:     by_value
      - .offset:         92
        .size:           12
        .value_kind:     by_value
      - .offset:         104
        .size:           4
        .value_kind:     by_value
      - .offset:         108
        .size:           4
        .value_kind:     by_value
      - .offset:         112
        .size:           4
        .value_kind:     by_value
      - .offset:         116
        .size:           4
        .value_kind:     by_value
      - .offset:         120
        .size:           4
        .value_kind:     by_value
      - .offset:         124
        .size:           4
        .value_kind:     by_value
      - .offset:         128
        .size:           4
        .value_kind:     by_value
      - .offset:         132
        .size:           4
        .value_kind:     by_value
      - .offset:         136
        .size:           4
        .value_kind:     by_value
      - .offset:         140
        .size:           4
        .value_kind:     by_value
      - .offset:         144
        .size:           4
        .value_kind:     by_value
      - .offset:         152
        .size:           8
        .value_kind:     by_value
      - .offset:         160
        .size:           4
        .value_kind:     by_value
      - .offset:         164
        .size:           4
        .value_kind:     by_value
      - .offset:         168
        .size:           8
        .value_kind:     by_value
      - .offset:         176
        .size:           4
        .value_kind:     by_value
      - .offset:         180
        .size:           4
        .value_kind:     by_value
      - .offset:         184
        .size:           4
        .value_kind:     by_value
      - .offset:         188
        .size:           4
        .value_kind:     by_value
      - .offset:         192
        .size:           4
        .value_kind:     by_value
      - .offset:         200
        .size:           8
        .value_kind:     by_value
      - .offset:         208
        .size:           4
        .value_kind:     hidden_block_count_x
      - .offset:         212
        .size:           4
        .value_kind:     hidden_block_count_y
      - .offset:         216
        .size:           4
        .value_kind:     hidden_block_count_z
      - .offset:         220
        .size:           2
        .value_kind:     hidden_group_size_x
      - .offset:         222
        .size:           2
        .value_kind:     hidden_group_size_y
      - .offset:         224
        .size:           2
        .value_kind:     hidden_group_size_z
      - .offset:         226
        .size:           2
        .value_kind:     hidden_remainder_x
      - .offset:         228
        .size:           2
        .value_kind:     hidden_remainder_y
      - .offset:         230
        .size:           2
        .value_kind:     hidden_remainder_z
      - .offset:         248
        .size:           8
        .value_kind:     hidden_global_offset_x
      - .offset:         256
        .size:           8
        .value_kind:     hidden_global_offset_y
      - .offset:         264
        .size:           8
        .value_kind:     hidden_global_offset_z
      - .offset:         272
        .size:           2
        .value_kind:     hidden_grid_dims
    .group_segment_fixed_size: 23552
    .kernarg_segment_align: 8
    .kernarg_segment_size: 464
    .language:       OpenCL C
    .language_version:
      - 2
      - 0
    .max_flat_workgroup_size: 256
    .name:           _ZL15flash_attn_tileILi128ELi128ELi2ELi8ELb1EEvPKcS1_S1_S1_S1_PKiPfP15HIP_vector_typeIfLj2EEffffjfiS5_IjLj3EEiiiiiiiiiiiliiliiiiil
    .private_segment_fixed_size: 0
    .sgpr_count:     44
    .sgpr_spill_count: 0
    .symbol:         _ZL15flash_attn_tileILi128ELi128ELi2ELi8ELb1EEvPKcS1_S1_S1_S1_PKiPfP15HIP_vector_typeIfLj2EEffffjfiS5_IjLj3EEiiiiiiiiiiiliiliiiiil.kd
    .uniform_work_group_size: 1
    .uses_dynamic_stack: false
    .vgpr_count:     82
    .vgpr_spill_count: 0
    .wavefront_size: 64
  - .agpr_count:     0
    .args:
      - .address_space:  global
        .offset:         0
        .size:           8
        .value_kind:     global_buffer
      - .address_space:  global
        .offset:         8
        .size:           8
        .value_kind:     global_buffer
      - .address_space:  global
        .offset:         16
        .size:           8
        .value_kind:     global_buffer
      - .address_space:  global
        .offset:         24
        .size:           8
        .value_kind:     global_buffer
      - .address_space:  global
        .offset:         32
        .size:           8
        .value_kind:     global_buffer
      - .address_space:  global
        .offset:         40
        .size:           8
        .value_kind:     global_buffer
      - .address_space:  global
        .offset:         48
        .size:           8
        .value_kind:     global_buffer
      - .address_space:  global
        .offset:         56
        .size:           8
        .value_kind:     global_buffer
      - .offset:         64
        .size:           4
        .value_kind:     by_value
      - .offset:         68
        .size:           4
        .value_kind:     by_value
      - .offset:         72
        .size:           4
        .value_kind:     by_value
      - .offset:         76
        .size:           4
        .value_kind:     by_value
      - .offset:         80
        .size:           4
        .value_kind:     by_value
      - .offset:         84
        .size:           4
        .value_kind:     by_value
      - .offset:         88
        .size:           4
        .value_kind:     by_value
      - .offset:         92
        .size:           12
        .value_kind:     by_value
      - .offset:         104
        .size:           4
        .value_kind:     by_value
      - .offset:         108
        .size:           4
        .value_kind:     by_value
      - .offset:         112
        .size:           4
        .value_kind:     by_value
      - .offset:         116
        .size:           4
        .value_kind:     by_value
      - .offset:         120
        .size:           4
        .value_kind:     by_value
      - .offset:         124
        .size:           4
        .value_kind:     by_value
      - .offset:         128
        .size:           4
        .value_kind:     by_value
      - .offset:         132
        .size:           4
        .value_kind:     by_value
      - .offset:         136
        .size:           4
        .value_kind:     by_value
      - .offset:         140
        .size:           4
        .value_kind:     by_value
      - .offset:         144
        .size:           4
        .value_kind:     by_value
      - .offset:         152
        .size:           8
        .value_kind:     by_value
      - .offset:         160
        .size:           4
        .value_kind:     by_value
      - .offset:         164
        .size:           4
        .value_kind:     by_value
      - .offset:         168
        .size:           8
        .value_kind:     by_value
      - .offset:         176
        .size:           4
        .value_kind:     by_value
      - .offset:         180
        .size:           4
        .value_kind:     by_value
      - .offset:         184
        .size:           4
        .value_kind:     by_value
      - .offset:         188
        .size:           4
        .value_kind:     by_value
      - .offset:         192
        .size:           4
        .value_kind:     by_value
      - .offset:         200
        .size:           8
        .value_kind:     by_value
      - .offset:         208
        .size:           4
        .value_kind:     hidden_block_count_x
      - .offset:         212
        .size:           4
        .value_kind:     hidden_block_count_y
      - .offset:         216
        .size:           4
        .value_kind:     hidden_block_count_z
      - .offset:         220
        .size:           2
        .value_kind:     hidden_group_size_x
      - .offset:         222
        .size:           2
        .value_kind:     hidden_group_size_y
      - .offset:         224
        .size:           2
        .value_kind:     hidden_group_size_z
      - .offset:         226
        .size:           2
        .value_kind:     hidden_remainder_x
      - .offset:         228
        .size:           2
        .value_kind:     hidden_remainder_y
      - .offset:         230
        .size:           2
        .value_kind:     hidden_remainder_z
      - .offset:         248
        .size:           8
        .value_kind:     hidden_global_offset_x
      - .offset:         256
        .size:           8
        .value_kind:     hidden_global_offset_y
      - .offset:         264
        .size:           8
        .value_kind:     hidden_global_offset_z
      - .offset:         272
        .size:           2
        .value_kind:     hidden_grid_dims
    .group_segment_fixed_size: 20480
    .kernarg_segment_align: 8
    .kernarg_segment_size: 464
    .language:       OpenCL C
    .language_version:
      - 2
      - 0
    .max_flat_workgroup_size: 256
    .name:           _ZL15flash_attn_tileILi128ELi128ELi1ELi8ELb1EEvPKcS1_S1_S1_S1_PKiPfP15HIP_vector_typeIfLj2EEffffjfiS5_IjLj3EEiiiiiiiiiiiliiliiiiil
    .private_segment_fixed_size: 0
    .sgpr_count:     48
    .sgpr_spill_count: 0
    .symbol:         _ZL15flash_attn_tileILi128ELi128ELi1ELi8ELb1EEvPKcS1_S1_S1_S1_PKiPfP15HIP_vector_typeIfLj2EEffffjfiS5_IjLj3EEiiiiiiiiiiiliiliiiiil.kd
    .uniform_work_group_size: 1
    .uses_dynamic_stack: false
    .vgpr_count:     78
    .vgpr_spill_count: 0
    .wavefront_size: 64
  - .agpr_count:     0
    .args:
      - .address_space:  global
        .offset:         0
        .size:           8
        .value_kind:     global_buffer
      - .address_space:  global
        .offset:         8
        .size:           8
        .value_kind:     global_buffer
      - .address_space:  global
        .offset:         16
        .size:           8
        .value_kind:     global_buffer
      - .address_space:  global
        .offset:         24
        .size:           8
        .value_kind:     global_buffer
      - .address_space:  global
        .offset:         32
        .size:           8
        .value_kind:     global_buffer
      - .address_space:  global
        .offset:         40
        .size:           8
        .value_kind:     global_buffer
      - .address_space:  global
        .offset:         48
        .size:           8
        .value_kind:     global_buffer
      - .address_space:  global
        .offset:         56
        .size:           8
        .value_kind:     global_buffer
      - .offset:         64
        .size:           4
        .value_kind:     by_value
      - .offset:         68
        .size:           4
        .value_kind:     by_value
      - .offset:         72
        .size:           4
        .value_kind:     by_value
      - .offset:         76
        .size:           4
        .value_kind:     by_value
      - .offset:         80
        .size:           4
        .value_kind:     by_value
      - .offset:         84
        .size:           4
        .value_kind:     by_value
      - .offset:         88
        .size:           4
        .value_kind:     by_value
      - .offset:         92
        .size:           12
        .value_kind:     by_value
      - .offset:         104
        .size:           4
        .value_kind:     by_value
      - .offset:         108
        .size:           4
        .value_kind:     by_value
      - .offset:         112
        .size:           4
        .value_kind:     by_value
      - .offset:         116
        .size:           4
        .value_kind:     by_value
      - .offset:         120
        .size:           4
        .value_kind:     by_value
      - .offset:         124
        .size:           4
        .value_kind:     by_value
      - .offset:         128
        .size:           4
        .value_kind:     by_value
      - .offset:         132
        .size:           4
        .value_kind:     by_value
      - .offset:         136
        .size:           4
        .value_kind:     by_value
      - .offset:         140
        .size:           4
        .value_kind:     by_value
      - .offset:         144
        .size:           4
        .value_kind:     by_value
      - .offset:         152
        .size:           8
        .value_kind:     by_value
      - .offset:         160
        .size:           4
        .value_kind:     by_value
      - .offset:         164
        .size:           4
        .value_kind:     by_value
      - .offset:         168
        .size:           8
        .value_kind:     by_value
      - .offset:         176
        .size:           4
        .value_kind:     by_value
      - .offset:         180
        .size:           4
        .value_kind:     by_value
      - .offset:         184
        .size:           4
        .value_kind:     by_value
      - .offset:         188
        .size:           4
        .value_kind:     by_value
      - .offset:         192
        .size:           4
        .value_kind:     by_value
      - .offset:         200
        .size:           8
        .value_kind:     by_value
      - .offset:         208
        .size:           4
        .value_kind:     hidden_block_count_x
      - .offset:         212
        .size:           4
        .value_kind:     hidden_block_count_y
      - .offset:         216
        .size:           4
        .value_kind:     hidden_block_count_z
      - .offset:         220
        .size:           2
        .value_kind:     hidden_group_size_x
      - .offset:         222
        .size:           2
        .value_kind:     hidden_group_size_y
      - .offset:         224
        .size:           2
        .value_kind:     hidden_group_size_z
      - .offset:         226
        .size:           2
        .value_kind:     hidden_remainder_x
      - .offset:         228
        .size:           2
        .value_kind:     hidden_remainder_y
      - .offset:         230
        .size:           2
        .value_kind:     hidden_remainder_z
      - .offset:         248
        .size:           8
        .value_kind:     hidden_global_offset_x
      - .offset:         256
        .size:           8
        .value_kind:     hidden_global_offset_y
      - .offset:         264
        .size:           8
        .value_kind:     hidden_global_offset_z
      - .offset:         272
        .size:           2
        .value_kind:     hidden_grid_dims
    .group_segment_fixed_size: 29696
    .kernarg_segment_align: 8
    .kernarg_segment_size: 464
    .language:       OpenCL C
    .language_version:
      - 2
      - 0
    .max_flat_workgroup_size: 256
    .name:           _ZL15flash_attn_tileILi128ELi128ELi16ELi4ELb1EEvPKcS1_S1_S1_S1_PKiPfP15HIP_vector_typeIfLj2EEffffjfiS5_IjLj3EEiiiiiiiiiiiliiliiiiil
    .private_segment_fixed_size: 0
    .sgpr_count:     46
    .sgpr_spill_count: 0
    .symbol:         _ZL15flash_attn_tileILi128ELi128ELi16ELi4ELb1EEvPKcS1_S1_S1_S1_PKiPfP15HIP_vector_typeIfLj2EEffffjfiS5_IjLj3EEiiiiiiiiiiiliiliiiiil.kd
    .uniform_work_group_size: 1
    .uses_dynamic_stack: false
    .vgpr_count:     120
    .vgpr_spill_count: 0
    .wavefront_size: 64
  - .agpr_count:     0
    .args:
      - .address_space:  global
        .offset:         0
        .size:           8
        .value_kind:     global_buffer
      - .address_space:  global
        .offset:         8
        .size:           8
        .value_kind:     global_buffer
      - .address_space:  global
        .offset:         16
        .size:           8
        .value_kind:     global_buffer
      - .address_space:  global
        .offset:         24
        .size:           8
        .value_kind:     global_buffer
      - .address_space:  global
        .offset:         32
        .size:           8
        .value_kind:     global_buffer
      - .address_space:  global
        .offset:         40
        .size:           8
        .value_kind:     global_buffer
      - .address_space:  global
        .offset:         48
        .size:           8
        .value_kind:     global_buffer
      - .address_space:  global
        .offset:         56
        .size:           8
        .value_kind:     global_buffer
      - .offset:         64
        .size:           4
        .value_kind:     by_value
      - .offset:         68
        .size:           4
        .value_kind:     by_value
      - .offset:         72
        .size:           4
        .value_kind:     by_value
      - .offset:         76
        .size:           4
        .value_kind:     by_value
      - .offset:         80
        .size:           4
        .value_kind:     by_value
      - .offset:         84
        .size:           4
        .value_kind:     by_value
      - .offset:         88
        .size:           4
        .value_kind:     by_value
      - .offset:         92
        .size:           12
        .value_kind:     by_value
      - .offset:         104
        .size:           4
        .value_kind:     by_value
      - .offset:         108
        .size:           4
        .value_kind:     by_value
      - .offset:         112
        .size:           4
        .value_kind:     by_value
      - .offset:         116
        .size:           4
        .value_kind:     by_value
      - .offset:         120
        .size:           4
        .value_kind:     by_value
      - .offset:         124
        .size:           4
        .value_kind:     by_value
      - .offset:         128
        .size:           4
        .value_kind:     by_value
      - .offset:         132
        .size:           4
        .value_kind:     by_value
      - .offset:         136
        .size:           4
        .value_kind:     by_value
      - .offset:         140
        .size:           4
        .value_kind:     by_value
      - .offset:         144
        .size:           4
        .value_kind:     by_value
      - .offset:         152
        .size:           8
        .value_kind:     by_value
      - .offset:         160
        .size:           4
        .value_kind:     by_value
      - .offset:         164
        .size:           4
        .value_kind:     by_value
      - .offset:         168
        .size:           8
        .value_kind:     by_value
      - .offset:         176
        .size:           4
        .value_kind:     by_value
      - .offset:         180
        .size:           4
        .value_kind:     by_value
      - .offset:         184
        .size:           4
        .value_kind:     by_value
      - .offset:         188
        .size:           4
        .value_kind:     by_value
      - .offset:         192
        .size:           4
        .value_kind:     by_value
      - .offset:         200
        .size:           8
        .value_kind:     by_value
      - .offset:         208
        .size:           4
        .value_kind:     hidden_block_count_x
      - .offset:         212
        .size:           4
        .value_kind:     hidden_block_count_y
      - .offset:         216
        .size:           4
        .value_kind:     hidden_block_count_z
      - .offset:         220
        .size:           2
        .value_kind:     hidden_group_size_x
      - .offset:         222
        .size:           2
        .value_kind:     hidden_group_size_y
      - .offset:         224
        .size:           2
        .value_kind:     hidden_group_size_z
      - .offset:         226
        .size:           2
        .value_kind:     hidden_remainder_x
      - .offset:         228
        .size:           2
        .value_kind:     hidden_remainder_y
      - .offset:         230
        .size:           2
        .value_kind:     hidden_remainder_z
      - .offset:         248
        .size:           8
        .value_kind:     hidden_global_offset_x
      - .offset:         256
        .size:           8
        .value_kind:     hidden_global_offset_y
      - .offset:         264
        .size:           8
        .value_kind:     hidden_global_offset_z
      - .offset:         272
        .size:           2
        .value_kind:     hidden_grid_dims
    .group_segment_fixed_size: 21504
    .kernarg_segment_align: 8
    .kernarg_segment_size: 464
    .language:       OpenCL C
    .language_version:
      - 2
      - 0
    .max_flat_workgroup_size: 256
    .name:           _ZL15flash_attn_tileILi128ELi128ELi8ELi4ELb1EEvPKcS1_S1_S1_S1_PKiPfP15HIP_vector_typeIfLj2EEffffjfiS5_IjLj3EEiiiiiiiiiiiliiliiiiil
    .private_segment_fixed_size: 0
    .sgpr_count:     44
    .sgpr_spill_count: 0
    .symbol:         _ZL15flash_attn_tileILi128ELi128ELi8ELi4ELb1EEvPKcS1_S1_S1_S1_PKiPfP15HIP_vector_typeIfLj2EEffffjfiS5_IjLj3EEiiiiiiiiiiiliiliiiiil.kd
    .uniform_work_group_size: 1
    .uses_dynamic_stack: false
    .vgpr_count:     104
    .vgpr_spill_count: 0
    .wavefront_size: 64
  - .agpr_count:     0
    .args:
      - .address_space:  global
        .offset:         0
        .size:           8
        .value_kind:     global_buffer
      - .address_space:  global
        .offset:         8
        .size:           8
        .value_kind:     global_buffer
      - .address_space:  global
        .offset:         16
        .size:           8
        .value_kind:     global_buffer
      - .address_space:  global
        .offset:         24
        .size:           8
        .value_kind:     global_buffer
      - .address_space:  global
        .offset:         32
        .size:           8
        .value_kind:     global_buffer
      - .address_space:  global
        .offset:         40
        .size:           8
        .value_kind:     global_buffer
      - .address_space:  global
        .offset:         48
        .size:           8
        .value_kind:     global_buffer
      - .address_space:  global
        .offset:         56
        .size:           8
        .value_kind:     global_buffer
      - .offset:         64
        .size:           4
        .value_kind:     by_value
      - .offset:         68
        .size:           4
        .value_kind:     by_value
      - .offset:         72
        .size:           4
        .value_kind:     by_value
      - .offset:         76
        .size:           4
        .value_kind:     by_value
      - .offset:         80
        .size:           4
        .value_kind:     by_value
      - .offset:         84
        .size:           4
        .value_kind:     by_value
      - .offset:         88
        .size:           4
        .value_kind:     by_value
      - .offset:         92
        .size:           12
        .value_kind:     by_value
      - .offset:         104
        .size:           4
        .value_kind:     by_value
      - .offset:         108
        .size:           4
        .value_kind:     by_value
      - .offset:         112
        .size:           4
        .value_kind:     by_value
      - .offset:         116
        .size:           4
        .value_kind:     by_value
      - .offset:         120
        .size:           4
        .value_kind:     by_value
      - .offset:         124
        .size:           4
        .value_kind:     by_value
      - .offset:         128
        .size:           4
        .value_kind:     by_value
      - .offset:         132
        .size:           4
        .value_kind:     by_value
      - .offset:         136
        .size:           4
        .value_kind:     by_value
      - .offset:         140
        .size:           4
        .value_kind:     by_value
      - .offset:         144
        .size:           4
        .value_kind:     by_value
      - .offset:         152
        .size:           8
        .value_kind:     by_value
      - .offset:         160
        .size:           4
        .value_kind:     by_value
      - .offset:         164
        .size:           4
        .value_kind:     by_value
      - .offset:         168
        .size:           8
        .value_kind:     by_value
      - .offset:         176
        .size:           4
        .value_kind:     by_value
      - .offset:         180
        .size:           4
        .value_kind:     by_value
      - .offset:         184
        .size:           4
        .value_kind:     by_value
      - .offset:         188
        .size:           4
        .value_kind:     by_value
      - .offset:         192
        .size:           4
        .value_kind:     by_value
      - .offset:         200
        .size:           8
        .value_kind:     by_value
      - .offset:         208
        .size:           4
        .value_kind:     hidden_block_count_x
      - .offset:         212
        .size:           4
        .value_kind:     hidden_block_count_y
      - .offset:         216
        .size:           4
        .value_kind:     hidden_block_count_z
      - .offset:         220
        .size:           2
        .value_kind:     hidden_group_size_x
      - .offset:         222
        .size:           2
        .value_kind:     hidden_group_size_y
      - .offset:         224
        .size:           2
        .value_kind:     hidden_group_size_z
      - .offset:         226
        .size:           2
        .value_kind:     hidden_remainder_x
      - .offset:         228
        .size:           2
        .value_kind:     hidden_remainder_y
      - .offset:         230
        .size:           2
        .value_kind:     hidden_remainder_z
      - .offset:         248
        .size:           8
        .value_kind:     hidden_global_offset_x
      - .offset:         256
        .size:           8
        .value_kind:     hidden_global_offset_y
      - .offset:         264
        .size:           8
        .value_kind:     hidden_global_offset_z
      - .offset:         272
        .size:           2
        .value_kind:     hidden_grid_dims
    .group_segment_fixed_size: 23552
    .kernarg_segment_align: 8
    .kernarg_segment_size: 464
    .language:       OpenCL C
    .language_version:
      - 2
      - 0
    .max_flat_workgroup_size: 256
    .name:           _ZL15flash_attn_tileILi128ELi128ELi4ELi4ELb1EEvPKcS1_S1_S1_S1_PKiPfP15HIP_vector_typeIfLj2EEffffjfiS5_IjLj3EEiiiiiiiiiiiliiliiiiil
    .private_segment_fixed_size: 0
    .sgpr_count:     44
    .sgpr_spill_count: 0
    .symbol:         _ZL15flash_attn_tileILi128ELi128ELi4ELi4ELb1EEvPKcS1_S1_S1_S1_PKiPfP15HIP_vector_typeIfLj2EEffffjfiS5_IjLj3EEiiiiiiiiiiiliiliiiiil.kd
    .uniform_work_group_size: 1
    .uses_dynamic_stack: false
    .vgpr_count:     82
    .vgpr_spill_count: 0
    .wavefront_size: 64
  - .agpr_count:     0
    .args:
      - .address_space:  global
        .offset:         0
        .size:           8
        .value_kind:     global_buffer
      - .address_space:  global
        .offset:         8
        .size:           8
        .value_kind:     global_buffer
      - .address_space:  global
        .offset:         16
        .size:           8
        .value_kind:     global_buffer
      - .address_space:  global
        .offset:         24
        .size:           8
        .value_kind:     global_buffer
      - .address_space:  global
        .offset:         32
        .size:           8
        .value_kind:     global_buffer
      - .address_space:  global
        .offset:         40
        .size:           8
        .value_kind:     global_buffer
      - .address_space:  global
        .offset:         48
        .size:           8
        .value_kind:     global_buffer
      - .address_space:  global
        .offset:         56
        .size:           8
        .value_kind:     global_buffer
      - .offset:         64
        .size:           4
        .value_kind:     by_value
      - .offset:         68
        .size:           4
        .value_kind:     by_value
      - .offset:         72
        .size:           4
        .value_kind:     by_value
      - .offset:         76
        .size:           4
        .value_kind:     by_value
      - .offset:         80
        .size:           4
        .value_kind:     by_value
      - .offset:         84
        .size:           4
        .value_kind:     by_value
      - .offset:         88
        .size:           4
        .value_kind:     by_value
      - .offset:         92
        .size:           12
        .value_kind:     by_value
      - .offset:         104
        .size:           4
        .value_kind:     by_value
      - .offset:         108
        .size:           4
        .value_kind:     by_value
      - .offset:         112
        .size:           4
        .value_kind:     by_value
      - .offset:         116
        .size:           4
        .value_kind:     by_value
      - .offset:         120
        .size:           4
        .value_kind:     by_value
      - .offset:         124
        .size:           4
        .value_kind:     by_value
      - .offset:         128
        .size:           4
        .value_kind:     by_value
      - .offset:         132
        .size:           4
        .value_kind:     by_value
      - .offset:         136
        .size:           4
        .value_kind:     by_value
      - .offset:         140
        .size:           4
        .value_kind:     by_value
      - .offset:         144
        .size:           4
        .value_kind:     by_value
      - .offset:         152
        .size:           8
        .value_kind:     by_value
      - .offset:         160
        .size:           4
        .value_kind:     by_value
      - .offset:         164
        .size:           4
        .value_kind:     by_value
      - .offset:         168
        .size:           8
        .value_kind:     by_value
      - .offset:         176
        .size:           4
        .value_kind:     by_value
      - .offset:         180
        .size:           4
        .value_kind:     by_value
      - .offset:         184
        .size:           4
        .value_kind:     by_value
      - .offset:         188
        .size:           4
        .value_kind:     by_value
      - .offset:         192
        .size:           4
        .value_kind:     by_value
      - .offset:         200
        .size:           8
        .value_kind:     by_value
      - .offset:         208
        .size:           4
        .value_kind:     hidden_block_count_x
      - .offset:         212
        .size:           4
        .value_kind:     hidden_block_count_y
      - .offset:         216
        .size:           4
        .value_kind:     hidden_block_count_z
      - .offset:         220
        .size:           2
        .value_kind:     hidden_group_size_x
      - .offset:         222
        .size:           2
        .value_kind:     hidden_group_size_y
      - .offset:         224
        .size:           2
        .value_kind:     hidden_group_size_z
      - .offset:         226
        .size:           2
        .value_kind:     hidden_remainder_x
      - .offset:         228
        .size:           2
        .value_kind:     hidden_remainder_y
      - .offset:         230
        .size:           2
        .value_kind:     hidden_remainder_z
      - .offset:         248
        .size:           8
        .value_kind:     hidden_global_offset_x
      - .offset:         256
        .size:           8
        .value_kind:     hidden_global_offset_y
      - .offset:         264
        .size:           8
        .value_kind:     hidden_global_offset_z
      - .offset:         272
        .size:           2
        .value_kind:     hidden_grid_dims
    .group_segment_fixed_size: 20480
    .kernarg_segment_align: 8
    .kernarg_segment_size: 464
    .language:       OpenCL C
    .language_version:
      - 2
      - 0
    .max_flat_workgroup_size: 256
    .name:           _ZL15flash_attn_tileILi128ELi128ELi2ELi4ELb1EEvPKcS1_S1_S1_S1_PKiPfP15HIP_vector_typeIfLj2EEffffjfiS5_IjLj3EEiiiiiiiiiiiliiliiiiil
    .private_segment_fixed_size: 0
    .sgpr_count:     48
    .sgpr_spill_count: 0
    .symbol:         _ZL15flash_attn_tileILi128ELi128ELi2ELi4ELb1EEvPKcS1_S1_S1_S1_PKiPfP15HIP_vector_typeIfLj2EEffffjfiS5_IjLj3EEiiiiiiiiiiiliiliiiiil.kd
    .uniform_work_group_size: 1
    .uses_dynamic_stack: false
    .vgpr_count:     78
    .vgpr_spill_count: 0
    .wavefront_size: 64
  - .agpr_count:     0
    .args:
      - .address_space:  global
        .offset:         0
        .size:           8
        .value_kind:     global_buffer
      - .address_space:  global
        .offset:         8
        .size:           8
        .value_kind:     global_buffer
      - .address_space:  global
        .offset:         16
        .size:           8
        .value_kind:     global_buffer
      - .address_space:  global
        .offset:         24
        .size:           8
        .value_kind:     global_buffer
      - .address_space:  global
        .offset:         32
        .size:           8
        .value_kind:     global_buffer
      - .address_space:  global
        .offset:         40
        .size:           8
        .value_kind:     global_buffer
      - .address_space:  global
        .offset:         48
        .size:           8
        .value_kind:     global_buffer
      - .address_space:  global
        .offset:         56
        .size:           8
        .value_kind:     global_buffer
      - .offset:         64
        .size:           4
        .value_kind:     by_value
      - .offset:         68
        .size:           4
        .value_kind:     by_value
      - .offset:         72
        .size:           4
        .value_kind:     by_value
      - .offset:         76
        .size:           4
        .value_kind:     by_value
      - .offset:         80
        .size:           4
        .value_kind:     by_value
      - .offset:         84
        .size:           4
        .value_kind:     by_value
      - .offset:         88
        .size:           4
        .value_kind:     by_value
      - .offset:         92
        .size:           12
        .value_kind:     by_value
      - .offset:         104
        .size:           4
        .value_kind:     by_value
      - .offset:         108
        .size:           4
        .value_kind:     by_value
      - .offset:         112
        .size:           4
        .value_kind:     by_value
      - .offset:         116
        .size:           4
        .value_kind:     by_value
      - .offset:         120
        .size:           4
        .value_kind:     by_value
      - .offset:         124
        .size:           4
        .value_kind:     by_value
      - .offset:         128
        .size:           4
        .value_kind:     by_value
      - .offset:         132
        .size:           4
        .value_kind:     by_value
      - .offset:         136
        .size:           4
        .value_kind:     by_value
      - .offset:         140
        .size:           4
        .value_kind:     by_value
      - .offset:         144
        .size:           4
        .value_kind:     by_value
      - .offset:         152
        .size:           8
        .value_kind:     by_value
      - .offset:         160
        .size:           4
        .value_kind:     by_value
      - .offset:         164
        .size:           4
        .value_kind:     by_value
      - .offset:         168
        .size:           8
        .value_kind:     by_value
      - .offset:         176
        .size:           4
        .value_kind:     by_value
      - .offset:         180
        .size:           4
        .value_kind:     by_value
      - .offset:         184
        .size:           4
        .value_kind:     by_value
      - .offset:         188
        .size:           4
        .value_kind:     by_value
      - .offset:         192
        .size:           4
        .value_kind:     by_value
      - .offset:         200
        .size:           8
        .value_kind:     by_value
      - .offset:         208
        .size:           4
        .value_kind:     hidden_block_count_x
      - .offset:         212
        .size:           4
        .value_kind:     hidden_block_count_y
      - .offset:         216
        .size:           4
        .value_kind:     hidden_block_count_z
      - .offset:         220
        .size:           2
        .value_kind:     hidden_group_size_x
      - .offset:         222
        .size:           2
        .value_kind:     hidden_group_size_y
      - .offset:         224
        .size:           2
        .value_kind:     hidden_group_size_z
      - .offset:         226
        .size:           2
        .value_kind:     hidden_remainder_x
      - .offset:         228
        .size:           2
        .value_kind:     hidden_remainder_y
      - .offset:         230
        .size:           2
        .value_kind:     hidden_remainder_z
      - .offset:         248
        .size:           8
        .value_kind:     hidden_global_offset_x
      - .offset:         256
        .size:           8
        .value_kind:     hidden_global_offset_y
      - .offset:         264
        .size:           8
        .value_kind:     hidden_global_offset_z
      - .offset:         272
        .size:           2
        .value_kind:     hidden_grid_dims
    .group_segment_fixed_size: 18944
    .kernarg_segment_align: 8
    .kernarg_segment_size: 464
    .language:       OpenCL C
    .language_version:
      - 2
      - 0
    .max_flat_workgroup_size: 128
    .name:           _ZL15flash_attn_tileILi128ELi128ELi1ELi4ELb1EEvPKcS1_S1_S1_S1_PKiPfP15HIP_vector_typeIfLj2EEffffjfiS5_IjLj3EEiiiiiiiiiiiliiliiiiil
    .private_segment_fixed_size: 0
    .sgpr_count:     48
    .sgpr_spill_count: 0
    .symbol:         _ZL15flash_attn_tileILi128ELi128ELi1ELi4ELb1EEvPKcS1_S1_S1_S1_PKiPfP15HIP_vector_typeIfLj2EEffffjfiS5_IjLj3EEiiiiiiiiiiiliiliiiiil.kd
    .uniform_work_group_size: 1
    .uses_dynamic_stack: false
    .vgpr_count:     114
    .vgpr_spill_count: 0
    .wavefront_size: 64
  - .agpr_count:     0
    .args:
      - .address_space:  global
        .offset:         0
        .size:           8
        .value_kind:     global_buffer
      - .address_space:  global
        .offset:         8
        .size:           8
        .value_kind:     global_buffer
      - .address_space:  global
        .offset:         16
        .size:           8
        .value_kind:     global_buffer
      - .address_space:  global
        .offset:         24
        .size:           8
        .value_kind:     global_buffer
      - .address_space:  global
        .offset:         32
        .size:           8
        .value_kind:     global_buffer
      - .address_space:  global
        .offset:         40
        .size:           8
        .value_kind:     global_buffer
      - .address_space:  global
        .offset:         48
        .size:           8
        .value_kind:     global_buffer
      - .address_space:  global
        .offset:         56
        .size:           8
        .value_kind:     global_buffer
      - .offset:         64
        .size:           4
        .value_kind:     by_value
      - .offset:         68
        .size:           4
        .value_kind:     by_value
      - .offset:         72
        .size:           4
        .value_kind:     by_value
      - .offset:         76
        .size:           4
        .value_kind:     by_value
      - .offset:         80
        .size:           4
        .value_kind:     by_value
      - .offset:         84
        .size:           4
        .value_kind:     by_value
      - .offset:         88
        .size:           4
        .value_kind:     by_value
      - .offset:         92
        .size:           12
        .value_kind:     by_value
      - .offset:         104
        .size:           4
        .value_kind:     by_value
      - .offset:         108
        .size:           4
        .value_kind:     by_value
      - .offset:         112
        .size:           4
        .value_kind:     by_value
      - .offset:         116
        .size:           4
        .value_kind:     by_value
      - .offset:         120
        .size:           4
        .value_kind:     by_value
      - .offset:         124
        .size:           4
        .value_kind:     by_value
      - .offset:         128
        .size:           4
        .value_kind:     by_value
      - .offset:         132
        .size:           4
        .value_kind:     by_value
      - .offset:         136
        .size:           4
        .value_kind:     by_value
      - .offset:         140
        .size:           4
        .value_kind:     by_value
      - .offset:         144
        .size:           4
        .value_kind:     by_value
      - .offset:         152
        .size:           8
        .value_kind:     by_value
      - .offset:         160
        .size:           4
        .value_kind:     by_value
      - .offset:         164
        .size:           4
        .value_kind:     by_value
      - .offset:         168
        .size:           8
        .value_kind:     by_value
      - .offset:         176
        .size:           4
        .value_kind:     by_value
      - .offset:         180
        .size:           4
        .value_kind:     by_value
      - .offset:         184
        .size:           4
        .value_kind:     by_value
      - .offset:         188
        .size:           4
        .value_kind:     by_value
      - .offset:         192
        .size:           4
        .value_kind:     by_value
      - .offset:         200
        .size:           8
        .value_kind:     by_value
      - .offset:         208
        .size:           4
        .value_kind:     hidden_block_count_x
      - .offset:         212
        .size:           4
        .value_kind:     hidden_block_count_y
      - .offset:         216
        .size:           4
        .value_kind:     hidden_block_count_z
      - .offset:         220
        .size:           2
        .value_kind:     hidden_group_size_x
      - .offset:         222
        .size:           2
        .value_kind:     hidden_group_size_y
      - .offset:         224
        .size:           2
        .value_kind:     hidden_group_size_z
      - .offset:         226
        .size:           2
        .value_kind:     hidden_remainder_x
      - .offset:         228
        .size:           2
        .value_kind:     hidden_remainder_y
      - .offset:         230
        .size:           2
        .value_kind:     hidden_remainder_z
      - .offset:         248
        .size:           8
        .value_kind:     hidden_global_offset_x
      - .offset:         256
        .size:           8
        .value_kind:     hidden_global_offset_y
      - .offset:         264
        .size:           8
        .value_kind:     hidden_global_offset_z
      - .offset:         272
        .size:           2
        .value_kind:     hidden_grid_dims
    .group_segment_fixed_size: 29696
    .kernarg_segment_align: 8
    .kernarg_segment_size: 464
    .language:       OpenCL C
    .language_version:
      - 2
      - 0
    .max_flat_workgroup_size: 256
    .name:           _ZL15flash_attn_tileILi128ELi128ELi32ELi2ELb1EEvPKcS1_S1_S1_S1_PKiPfP15HIP_vector_typeIfLj2EEffffjfiS5_IjLj3EEiiiiiiiiiiiliiliiiiil
    .private_segment_fixed_size: 0
    .sgpr_count:     46
    .sgpr_spill_count: 0
    .symbol:         _ZL15flash_attn_tileILi128ELi128ELi32ELi2ELb1EEvPKcS1_S1_S1_S1_PKiPfP15HIP_vector_typeIfLj2EEffffjfiS5_IjLj3EEiiiiiiiiiiiliiliiiiil.kd
    .uniform_work_group_size: 1
    .uses_dynamic_stack: false
    .vgpr_count:     128
    .vgpr_spill_count: 0
    .wavefront_size: 64
  - .agpr_count:     0
    .args:
      - .address_space:  global
        .offset:         0
        .size:           8
        .value_kind:     global_buffer
      - .address_space:  global
        .offset:         8
        .size:           8
        .value_kind:     global_buffer
      - .address_space:  global
        .offset:         16
        .size:           8
        .value_kind:     global_buffer
      - .address_space:  global
        .offset:         24
        .size:           8
        .value_kind:     global_buffer
      - .address_space:  global
        .offset:         32
        .size:           8
        .value_kind:     global_buffer
      - .address_space:  global
        .offset:         40
        .size:           8
        .value_kind:     global_buffer
      - .address_space:  global
        .offset:         48
        .size:           8
        .value_kind:     global_buffer
      - .address_space:  global
        .offset:         56
        .size:           8
        .value_kind:     global_buffer
      - .offset:         64
        .size:           4
        .value_kind:     by_value
      - .offset:         68
        .size:           4
        .value_kind:     by_value
      - .offset:         72
        .size:           4
        .value_kind:     by_value
      - .offset:         76
        .size:           4
        .value_kind:     by_value
      - .offset:         80
        .size:           4
        .value_kind:     by_value
      - .offset:         84
        .size:           4
        .value_kind:     by_value
      - .offset:         88
        .size:           4
        .value_kind:     by_value
      - .offset:         92
        .size:           12
        .value_kind:     by_value
      - .offset:         104
        .size:           4
        .value_kind:     by_value
      - .offset:         108
        .size:           4
        .value_kind:     by_value
      - .offset:         112
        .size:           4
        .value_kind:     by_value
      - .offset:         116
        .size:           4
        .value_kind:     by_value
      - .offset:         120
        .size:           4
        .value_kind:     by_value
      - .offset:         124
        .size:           4
        .value_kind:     by_value
      - .offset:         128
        .size:           4
        .value_kind:     by_value
      - .offset:         132
        .size:           4
        .value_kind:     by_value
      - .offset:         136
        .size:           4
        .value_kind:     by_value
      - .offset:         140
        .size:           4
        .value_kind:     by_value
      - .offset:         144
        .size:           4
        .value_kind:     by_value
      - .offset:         152
        .size:           8
        .value_kind:     by_value
      - .offset:         160
        .size:           4
        .value_kind:     by_value
      - .offset:         164
        .size:           4
        .value_kind:     by_value
      - .offset:         168
        .size:           8
        .value_kind:     by_value
      - .offset:         176
        .size:           4
        .value_kind:     by_value
      - .offset:         180
        .size:           4
        .value_kind:     by_value
      - .offset:         184
        .size:           4
        .value_kind:     by_value
      - .offset:         188
        .size:           4
        .value_kind:     by_value
      - .offset:         192
        .size:           4
        .value_kind:     by_value
      - .offset:         200
        .size:           8
        .value_kind:     by_value
      - .offset:         208
        .size:           4
        .value_kind:     hidden_block_count_x
      - .offset:         212
        .size:           4
        .value_kind:     hidden_block_count_y
      - .offset:         216
        .size:           4
        .value_kind:     hidden_block_count_z
      - .offset:         220
        .size:           2
        .value_kind:     hidden_group_size_x
      - .offset:         222
        .size:           2
        .value_kind:     hidden_group_size_y
      - .offset:         224
        .size:           2
        .value_kind:     hidden_group_size_z
      - .offset:         226
        .size:           2
        .value_kind:     hidden_remainder_x
      - .offset:         228
        .size:           2
        .value_kind:     hidden_remainder_y
      - .offset:         230
        .size:           2
        .value_kind:     hidden_remainder_z
      - .offset:         248
        .size:           8
        .value_kind:     hidden_global_offset_x
      - .offset:         256
        .size:           8
        .value_kind:     hidden_global_offset_y
      - .offset:         264
        .size:           8
        .value_kind:     hidden_global_offset_z
      - .offset:         272
        .size:           2
        .value_kind:     hidden_grid_dims
    .group_segment_fixed_size: 21504
    .kernarg_segment_align: 8
    .kernarg_segment_size: 464
    .language:       OpenCL C
    .language_version:
      - 2
      - 0
    .max_flat_workgroup_size: 256
    .name:           _ZL15flash_attn_tileILi128ELi128ELi16ELi2ELb1EEvPKcS1_S1_S1_S1_PKiPfP15HIP_vector_typeIfLj2EEffffjfiS5_IjLj3EEiiiiiiiiiiiliiliiiiil
    .private_segment_fixed_size: 0
    .sgpr_count:     46
    .sgpr_spill_count: 0
    .symbol:         _ZL15flash_attn_tileILi128ELi128ELi16ELi2ELb1EEvPKcS1_S1_S1_S1_PKiPfP15HIP_vector_typeIfLj2EEffffjfiS5_IjLj3EEiiiiiiiiiiiliiliiiiil.kd
    .uniform_work_group_size: 1
    .uses_dynamic_stack: false
    .vgpr_count:     110
    .vgpr_spill_count: 0
    .wavefront_size: 64
  - .agpr_count:     0
    .args:
      - .address_space:  global
        .offset:         0
        .size:           8
        .value_kind:     global_buffer
      - .address_space:  global
        .offset:         8
        .size:           8
        .value_kind:     global_buffer
      - .address_space:  global
        .offset:         16
        .size:           8
        .value_kind:     global_buffer
      - .address_space:  global
        .offset:         24
        .size:           8
        .value_kind:     global_buffer
      - .address_space:  global
        .offset:         32
        .size:           8
        .value_kind:     global_buffer
      - .address_space:  global
        .offset:         40
        .size:           8
        .value_kind:     global_buffer
      - .address_space:  global
        .offset:         48
        .size:           8
        .value_kind:     global_buffer
      - .address_space:  global
        .offset:         56
        .size:           8
        .value_kind:     global_buffer
      - .offset:         64
        .size:           4
        .value_kind:     by_value
      - .offset:         68
        .size:           4
        .value_kind:     by_value
      - .offset:         72
        .size:           4
        .value_kind:     by_value
      - .offset:         76
        .size:           4
        .value_kind:     by_value
      - .offset:         80
        .size:           4
        .value_kind:     by_value
      - .offset:         84
        .size:           4
        .value_kind:     by_value
      - .offset:         88
        .size:           4
        .value_kind:     by_value
      - .offset:         92
        .size:           12
        .value_kind:     by_value
      - .offset:         104
        .size:           4
        .value_kind:     by_value
      - .offset:         108
        .size:           4
        .value_kind:     by_value
      - .offset:         112
        .size:           4
        .value_kind:     by_value
      - .offset:         116
        .size:           4
        .value_kind:     by_value
      - .offset:         120
        .size:           4
        .value_kind:     by_value
      - .offset:         124
        .size:           4
        .value_kind:     by_value
      - .offset:         128
        .size:           4
        .value_kind:     by_value
      - .offset:         132
        .size:           4
        .value_kind:     by_value
      - .offset:         136
        .size:           4
        .value_kind:     by_value
      - .offset:         140
        .size:           4
        .value_kind:     by_value
      - .offset:         144
        .size:           4
        .value_kind:     by_value
      - .offset:         152
        .size:           8
        .value_kind:     by_value
      - .offset:         160
        .size:           4
        .value_kind:     by_value
      - .offset:         164
        .size:           4
        .value_kind:     by_value
      - .offset:         168
        .size:           8
        .value_kind:     by_value
      - .offset:         176
        .size:           4
        .value_kind:     by_value
      - .offset:         180
        .size:           4
        .value_kind:     by_value
      - .offset:         184
        .size:           4
        .value_kind:     by_value
      - .offset:         188
        .size:           4
        .value_kind:     by_value
      - .offset:         192
        .size:           4
        .value_kind:     by_value
      - .offset:         200
        .size:           8
        .value_kind:     by_value
      - .offset:         208
        .size:           4
        .value_kind:     hidden_block_count_x
      - .offset:         212
        .size:           4
        .value_kind:     hidden_block_count_y
      - .offset:         216
        .size:           4
        .value_kind:     hidden_block_count_z
      - .offset:         220
        .size:           2
        .value_kind:     hidden_group_size_x
      - .offset:         222
        .size:           2
        .value_kind:     hidden_group_size_y
      - .offset:         224
        .size:           2
        .value_kind:     hidden_group_size_z
      - .offset:         226
        .size:           2
        .value_kind:     hidden_remainder_x
      - .offset:         228
        .size:           2
        .value_kind:     hidden_remainder_y
      - .offset:         230
        .size:           2
        .value_kind:     hidden_remainder_z
      - .offset:         248
        .size:           8
        .value_kind:     hidden_global_offset_x
      - .offset:         256
        .size:           8
        .value_kind:     hidden_global_offset_y
      - .offset:         264
        .size:           8
        .value_kind:     hidden_global_offset_z
      - .offset:         272
        .size:           2
        .value_kind:     hidden_grid_dims
    .group_segment_fixed_size: 23552
    .kernarg_segment_align: 8
    .kernarg_segment_size: 464
    .language:       OpenCL C
    .language_version:
      - 2
      - 0
    .max_flat_workgroup_size: 256
    .name:           _ZL15flash_attn_tileILi128ELi128ELi8ELi2ELb1EEvPKcS1_S1_S1_S1_PKiPfP15HIP_vector_typeIfLj2EEffffjfiS5_IjLj3EEiiiiiiiiiiiliiliiiiil
    .private_segment_fixed_size: 0
    .sgpr_count:     44
    .sgpr_spill_count: 0
    .symbol:         _ZL15flash_attn_tileILi128ELi128ELi8ELi2ELb1EEvPKcS1_S1_S1_S1_PKiPfP15HIP_vector_typeIfLj2EEffffjfiS5_IjLj3EEiiiiiiiiiiiliiliiiiil.kd
    .uniform_work_group_size: 1
    .uses_dynamic_stack: false
    .vgpr_count:     81
    .vgpr_spill_count: 0
    .wavefront_size: 64
  - .agpr_count:     0
    .args:
      - .address_space:  global
        .offset:         0
        .size:           8
        .value_kind:     global_buffer
      - .address_space:  global
        .offset:         8
        .size:           8
        .value_kind:     global_buffer
      - .address_space:  global
        .offset:         16
        .size:           8
        .value_kind:     global_buffer
      - .address_space:  global
        .offset:         24
        .size:           8
        .value_kind:     global_buffer
      - .address_space:  global
        .offset:         32
        .size:           8
        .value_kind:     global_buffer
      - .address_space:  global
        .offset:         40
        .size:           8
        .value_kind:     global_buffer
      - .address_space:  global
        .offset:         48
        .size:           8
        .value_kind:     global_buffer
      - .address_space:  global
        .offset:         56
        .size:           8
        .value_kind:     global_buffer
      - .offset:         64
        .size:           4
        .value_kind:     by_value
      - .offset:         68
        .size:           4
        .value_kind:     by_value
      - .offset:         72
        .size:           4
        .value_kind:     by_value
      - .offset:         76
        .size:           4
        .value_kind:     by_value
      - .offset:         80
        .size:           4
        .value_kind:     by_value
      - .offset:         84
        .size:           4
        .value_kind:     by_value
      - .offset:         88
        .size:           4
        .value_kind:     by_value
      - .offset:         92
        .size:           12
        .value_kind:     by_value
      - .offset:         104
        .size:           4
        .value_kind:     by_value
      - .offset:         108
        .size:           4
        .value_kind:     by_value
      - .offset:         112
        .size:           4
        .value_kind:     by_value
      - .offset:         116
        .size:           4
        .value_kind:     by_value
      - .offset:         120
        .size:           4
        .value_kind:     by_value
      - .offset:         124
        .size:           4
        .value_kind:     by_value
      - .offset:         128
        .size:           4
        .value_kind:     by_value
      - .offset:         132
        .size:           4
        .value_kind:     by_value
      - .offset:         136
        .size:           4
        .value_kind:     by_value
      - .offset:         140
        .size:           4
        .value_kind:     by_value
      - .offset:         144
        .size:           4
        .value_kind:     by_value
      - .offset:         152
        .size:           8
        .value_kind:     by_value
      - .offset:         160
        .size:           4
        .value_kind:     by_value
      - .offset:         164
        .size:           4
        .value_kind:     by_value
      - .offset:         168
        .size:           8
        .value_kind:     by_value
      - .offset:         176
        .size:           4
        .value_kind:     by_value
      - .offset:         180
        .size:           4
        .value_kind:     by_value
      - .offset:         184
        .size:           4
        .value_kind:     by_value
      - .offset:         188
        .size:           4
        .value_kind:     by_value
      - .offset:         192
        .size:           4
        .value_kind:     by_value
      - .offset:         200
        .size:           8
        .value_kind:     by_value
      - .offset:         208
        .size:           4
        .value_kind:     hidden_block_count_x
      - .offset:         212
        .size:           4
        .value_kind:     hidden_block_count_y
      - .offset:         216
        .size:           4
        .value_kind:     hidden_block_count_z
      - .offset:         220
        .size:           2
        .value_kind:     hidden_group_size_x
      - .offset:         222
        .size:           2
        .value_kind:     hidden_group_size_y
      - .offset:         224
        .size:           2
        .value_kind:     hidden_group_size_z
      - .offset:         226
        .size:           2
        .value_kind:     hidden_remainder_x
      - .offset:         228
        .size:           2
        .value_kind:     hidden_remainder_y
      - .offset:         230
        .size:           2
        .value_kind:     hidden_remainder_z
      - .offset:         248
        .size:           8
        .value_kind:     hidden_global_offset_x
      - .offset:         256
        .size:           8
        .value_kind:     hidden_global_offset_y
      - .offset:         264
        .size:           8
        .value_kind:     hidden_global_offset_z
      - .offset:         272
        .size:           2
        .value_kind:     hidden_grid_dims
    .group_segment_fixed_size: 20480
    .kernarg_segment_align: 8
    .kernarg_segment_size: 464
    .language:       OpenCL C
    .language_version:
      - 2
      - 0
    .max_flat_workgroup_size: 256
    .name:           _ZL15flash_attn_tileILi128ELi128ELi4ELi2ELb1EEvPKcS1_S1_S1_S1_PKiPfP15HIP_vector_typeIfLj2EEffffjfiS5_IjLj3EEiiiiiiiiiiiliiliiiiil
    .private_segment_fixed_size: 0
    .sgpr_count:     48
    .sgpr_spill_count: 0
    .symbol:         _ZL15flash_attn_tileILi128ELi128ELi4ELi2ELb1EEvPKcS1_S1_S1_S1_PKiPfP15HIP_vector_typeIfLj2EEffffjfiS5_IjLj3EEiiiiiiiiiiiliiliiiiil.kd
    .uniform_work_group_size: 1
    .uses_dynamic_stack: false
    .vgpr_count:     78
    .vgpr_spill_count: 0
    .wavefront_size: 64
  - .agpr_count:     0
    .args:
      - .address_space:  global
        .offset:         0
        .size:           8
        .value_kind:     global_buffer
      - .address_space:  global
        .offset:         8
        .size:           8
        .value_kind:     global_buffer
      - .address_space:  global
        .offset:         16
        .size:           8
        .value_kind:     global_buffer
      - .address_space:  global
        .offset:         24
        .size:           8
        .value_kind:     global_buffer
      - .address_space:  global
        .offset:         32
        .size:           8
        .value_kind:     global_buffer
      - .address_space:  global
        .offset:         40
        .size:           8
        .value_kind:     global_buffer
      - .address_space:  global
        .offset:         48
        .size:           8
        .value_kind:     global_buffer
      - .address_space:  global
        .offset:         56
        .size:           8
        .value_kind:     global_buffer
      - .offset:         64
        .size:           4
        .value_kind:     by_value
      - .offset:         68
        .size:           4
        .value_kind:     by_value
      - .offset:         72
        .size:           4
        .value_kind:     by_value
      - .offset:         76
        .size:           4
        .value_kind:     by_value
      - .offset:         80
        .size:           4
        .value_kind:     by_value
      - .offset:         84
        .size:           4
        .value_kind:     by_value
      - .offset:         88
        .size:           4
        .value_kind:     by_value
      - .offset:         92
        .size:           12
        .value_kind:     by_value
      - .offset:         104
        .size:           4
        .value_kind:     by_value
      - .offset:         108
        .size:           4
        .value_kind:     by_value
      - .offset:         112
        .size:           4
        .value_kind:     by_value
      - .offset:         116
        .size:           4
        .value_kind:     by_value
      - .offset:         120
        .size:           4
        .value_kind:     by_value
      - .offset:         124
        .size:           4
        .value_kind:     by_value
      - .offset:         128
        .size:           4
        .value_kind:     by_value
      - .offset:         132
        .size:           4
        .value_kind:     by_value
      - .offset:         136
        .size:           4
        .value_kind:     by_value
      - .offset:         140
        .size:           4
        .value_kind:     by_value
      - .offset:         144
        .size:           4
        .value_kind:     by_value
      - .offset:         152
        .size:           8
        .value_kind:     by_value
      - .offset:         160
        .size:           4
        .value_kind:     by_value
      - .offset:         164
        .size:           4
        .value_kind:     by_value
      - .offset:         168
        .size:           8
        .value_kind:     by_value
      - .offset:         176
        .size:           4
        .value_kind:     by_value
      - .offset:         180
        .size:           4
        .value_kind:     by_value
      - .offset:         184
        .size:           4
        .value_kind:     by_value
      - .offset:         188
        .size:           4
        .value_kind:     by_value
      - .offset:         192
        .size:           4
        .value_kind:     by_value
      - .offset:         200
        .size:           8
        .value_kind:     by_value
      - .offset:         208
        .size:           4
        .value_kind:     hidden_block_count_x
      - .offset:         212
        .size:           4
        .value_kind:     hidden_block_count_y
      - .offset:         216
        .size:           4
        .value_kind:     hidden_block_count_z
      - .offset:         220
        .size:           2
        .value_kind:     hidden_group_size_x
      - .offset:         222
        .size:           2
        .value_kind:     hidden_group_size_y
      - .offset:         224
        .size:           2
        .value_kind:     hidden_group_size_z
      - .offset:         226
        .size:           2
        .value_kind:     hidden_remainder_x
      - .offset:         228
        .size:           2
        .value_kind:     hidden_remainder_y
      - .offset:         230
        .size:           2
        .value_kind:     hidden_remainder_z
      - .offset:         248
        .size:           8
        .value_kind:     hidden_global_offset_x
      - .offset:         256
        .size:           8
        .value_kind:     hidden_global_offset_y
      - .offset:         264
        .size:           8
        .value_kind:     hidden_global_offset_z
      - .offset:         272
        .size:           2
        .value_kind:     hidden_grid_dims
    .group_segment_fixed_size: 18944
    .kernarg_segment_align: 8
    .kernarg_segment_size: 464
    .language:       OpenCL C
    .language_version:
      - 2
      - 0
    .max_flat_workgroup_size: 128
    .name:           _ZL15flash_attn_tileILi128ELi128ELi2ELi2ELb1EEvPKcS1_S1_S1_S1_PKiPfP15HIP_vector_typeIfLj2EEffffjfiS5_IjLj3EEiiiiiiiiiiiliiliiiiil
    .private_segment_fixed_size: 0
    .sgpr_count:     48
    .sgpr_spill_count: 0
    .symbol:         _ZL15flash_attn_tileILi128ELi128ELi2ELi2ELb1EEvPKcS1_S1_S1_S1_PKiPfP15HIP_vector_typeIfLj2EEffffjfiS5_IjLj3EEiiiiiiiiiiiliiliiiiil.kd
    .uniform_work_group_size: 1
    .uses_dynamic_stack: false
    .vgpr_count:     114
    .vgpr_spill_count: 0
    .wavefront_size: 64
  - .agpr_count:     0
    .args:
      - .address_space:  global
        .offset:         0
        .size:           8
        .value_kind:     global_buffer
      - .address_space:  global
        .offset:         8
        .size:           8
        .value_kind:     global_buffer
      - .address_space:  global
        .offset:         16
        .size:           8
        .value_kind:     global_buffer
      - .address_space:  global
        .offset:         24
        .size:           8
        .value_kind:     global_buffer
      - .address_space:  global
        .offset:         32
        .size:           8
        .value_kind:     global_buffer
      - .address_space:  global
        .offset:         40
        .size:           8
        .value_kind:     global_buffer
      - .address_space:  global
        .offset:         48
        .size:           8
        .value_kind:     global_buffer
      - .address_space:  global
        .offset:         56
        .size:           8
        .value_kind:     global_buffer
      - .offset:         64
        .size:           4
        .value_kind:     by_value
      - .offset:         68
        .size:           4
        .value_kind:     by_value
      - .offset:         72
        .size:           4
        .value_kind:     by_value
      - .offset:         76
        .size:           4
        .value_kind:     by_value
      - .offset:         80
        .size:           4
        .value_kind:     by_value
      - .offset:         84
        .size:           4
        .value_kind:     by_value
      - .offset:         88
        .size:           4
        .value_kind:     by_value
      - .offset:         92
        .size:           12
        .value_kind:     by_value
      - .offset:         104
        .size:           4
        .value_kind:     by_value
      - .offset:         108
        .size:           4
        .value_kind:     by_value
      - .offset:         112
        .size:           4
        .value_kind:     by_value
      - .offset:         116
        .size:           4
        .value_kind:     by_value
      - .offset:         120
        .size:           4
        .value_kind:     by_value
      - .offset:         124
        .size:           4
        .value_kind:     by_value
      - .offset:         128
        .size:           4
        .value_kind:     by_value
      - .offset:         132
        .size:           4
        .value_kind:     by_value
      - .offset:         136
        .size:           4
        .value_kind:     by_value
      - .offset:         140
        .size:           4
        .value_kind:     by_value
      - .offset:         144
        .size:           4
        .value_kind:     by_value
      - .offset:         152
        .size:           8
        .value_kind:     by_value
      - .offset:         160
        .size:           4
        .value_kind:     by_value
      - .offset:         164
        .size:           4
        .value_kind:     by_value
      - .offset:         168
        .size:           8
        .value_kind:     by_value
      - .offset:         176
        .size:           4
        .value_kind:     by_value
      - .offset:         180
        .size:           4
        .value_kind:     by_value
      - .offset:         184
        .size:           4
        .value_kind:     by_value
      - .offset:         188
        .size:           4
        .value_kind:     by_value
      - .offset:         192
        .size:           4
        .value_kind:     by_value
      - .offset:         200
        .size:           8
        .value_kind:     by_value
      - .offset:         208
        .size:           4
        .value_kind:     hidden_block_count_x
      - .offset:         212
        .size:           4
        .value_kind:     hidden_block_count_y
      - .offset:         216
        .size:           4
        .value_kind:     hidden_block_count_z
      - .offset:         220
        .size:           2
        .value_kind:     hidden_group_size_x
      - .offset:         222
        .size:           2
        .value_kind:     hidden_group_size_y
      - .offset:         224
        .size:           2
        .value_kind:     hidden_group_size_z
      - .offset:         226
        .size:           2
        .value_kind:     hidden_remainder_x
      - .offset:         228
        .size:           2
        .value_kind:     hidden_remainder_y
      - .offset:         230
        .size:           2
        .value_kind:     hidden_remainder_z
      - .offset:         248
        .size:           8
        .value_kind:     hidden_global_offset_x
      - .offset:         256
        .size:           8
        .value_kind:     hidden_global_offset_y
      - .offset:         264
        .size:           8
        .value_kind:     hidden_global_offset_z
      - .offset:         272
        .size:           2
        .value_kind:     hidden_grid_dims
    .group_segment_fixed_size: 19488
    .kernarg_segment_align: 8
    .kernarg_segment_size: 464
    .language:       OpenCL C
    .language_version:
      - 2
      - 0
    .max_flat_workgroup_size: 256
    .name:           _ZL15flash_attn_tileILi128ELi128ELi1ELi2ELb1EEvPKcS1_S1_S1_S1_PKiPfP15HIP_vector_typeIfLj2EEffffjfiS5_IjLj3EEiiiiiiiiiiiliiliiiiil
    .private_segment_fixed_size: 0
    .sgpr_count:     48
    .sgpr_spill_count: 0
    .symbol:         _ZL15flash_attn_tileILi128ELi128ELi1ELi2ELb1EEvPKcS1_S1_S1_S1_PKiPfP15HIP_vector_typeIfLj2EEffffjfiS5_IjLj3EEiiiiiiiiiiiliiliiiiil.kd
    .uniform_work_group_size: 1
    .uses_dynamic_stack: false
    .vgpr_count:     142
    .vgpr_spill_count: 0
    .wavefront_size: 64
  - .agpr_count:     0
    .args:
      - .address_space:  global
        .offset:         0
        .size:           8
        .value_kind:     global_buffer
      - .address_space:  global
        .offset:         8
        .size:           8
        .value_kind:     global_buffer
      - .address_space:  global
        .offset:         16
        .size:           8
        .value_kind:     global_buffer
      - .address_space:  global
        .offset:         24
        .size:           8
        .value_kind:     global_buffer
      - .address_space:  global
        .offset:         32
        .size:           8
        .value_kind:     global_buffer
      - .address_space:  global
        .offset:         40
        .size:           8
        .value_kind:     global_buffer
      - .address_space:  global
        .offset:         48
        .size:           8
        .value_kind:     global_buffer
      - .address_space:  global
        .offset:         56
        .size:           8
        .value_kind:     global_buffer
      - .offset:         64
        .size:           4
        .value_kind:     by_value
      - .offset:         68
        .size:           4
        .value_kind:     by_value
      - .offset:         72
        .size:           4
        .value_kind:     by_value
      - .offset:         76
        .size:           4
        .value_kind:     by_value
      - .offset:         80
        .size:           4
        .value_kind:     by_value
      - .offset:         84
        .size:           4
        .value_kind:     by_value
      - .offset:         88
        .size:           4
        .value_kind:     by_value
      - .offset:         92
        .size:           12
        .value_kind:     by_value
      - .offset:         104
        .size:           4
        .value_kind:     by_value
      - .offset:         108
        .size:           4
        .value_kind:     by_value
      - .offset:         112
        .size:           4
        .value_kind:     by_value
      - .offset:         116
        .size:           4
        .value_kind:     by_value
      - .offset:         120
        .size:           4
        .value_kind:     by_value
      - .offset:         124
        .size:           4
        .value_kind:     by_value
      - .offset:         128
        .size:           4
        .value_kind:     by_value
      - .offset:         132
        .size:           4
        .value_kind:     by_value
      - .offset:         136
        .size:           4
        .value_kind:     by_value
      - .offset:         140
        .size:           4
        .value_kind:     by_value
      - .offset:         144
        .size:           4
        .value_kind:     by_value
      - .offset:         152
        .size:           8
        .value_kind:     by_value
      - .offset:         160
        .size:           4
        .value_kind:     by_value
      - .offset:         164
        .size:           4
        .value_kind:     by_value
      - .offset:         168
        .size:           8
        .value_kind:     by_value
      - .offset:         176
        .size:           4
        .value_kind:     by_value
      - .offset:         180
        .size:           4
        .value_kind:     by_value
      - .offset:         184
        .size:           4
        .value_kind:     by_value
      - .offset:         188
        .size:           4
        .value_kind:     by_value
      - .offset:         192
        .size:           4
        .value_kind:     by_value
      - .offset:         200
        .size:           8
        .value_kind:     by_value
      - .offset:         208
        .size:           4
        .value_kind:     hidden_block_count_x
      - .offset:         212
        .size:           4
        .value_kind:     hidden_block_count_y
      - .offset:         216
        .size:           4
        .value_kind:     hidden_block_count_z
      - .offset:         220
        .size:           2
        .value_kind:     hidden_group_size_x
      - .offset:         222
        .size:           2
        .value_kind:     hidden_group_size_y
      - .offset:         224
        .size:           2
        .value_kind:     hidden_group_size_z
      - .offset:         226
        .size:           2
        .value_kind:     hidden_remainder_x
      - .offset:         228
        .size:           2
        .value_kind:     hidden_remainder_y
      - .offset:         230
        .size:           2
        .value_kind:     hidden_remainder_z
      - .offset:         248
        .size:           8
        .value_kind:     hidden_global_offset_x
      - .offset:         256
        .size:           8
        .value_kind:     hidden_global_offset_y
      - .offset:         264
        .size:           8
        .value_kind:     hidden_global_offset_z
      - .offset:         272
        .size:           2
        .value_kind:     hidden_grid_dims
    .group_segment_fixed_size: 29696
    .kernarg_segment_align: 8
    .kernarg_segment_size: 464
    .language:       OpenCL C
    .language_version:
      - 2
      - 0
    .max_flat_workgroup_size: 256
    .name:           _ZL15flash_attn_tileILi128ELi128ELi64ELi1ELb1EEvPKcS1_S1_S1_S1_PKiPfP15HIP_vector_typeIfLj2EEffffjfiS5_IjLj3EEiiiiiiiiiiiliiliiiiil
    .private_segment_fixed_size: 32
    .sgpr_count:     62
    .sgpr_spill_count: 0
    .symbol:         _ZL15flash_attn_tileILi128ELi128ELi64ELi1ELb1EEvPKcS1_S1_S1_S1_PKiPfP15HIP_vector_typeIfLj2EEffffjfiS5_IjLj3EEiiiiiiiiiiiliiliiiiil.kd
    .uniform_work_group_size: 1
    .uses_dynamic_stack: false
    .vgpr_count:     148
    .vgpr_spill_count: 0
    .wavefront_size: 64
  - .agpr_count:     0
    .args:
      - .address_space:  global
        .offset:         0
        .size:           8
        .value_kind:     global_buffer
      - .address_space:  global
        .offset:         8
        .size:           8
        .value_kind:     global_buffer
      - .address_space:  global
        .offset:         16
        .size:           8
        .value_kind:     global_buffer
      - .address_space:  global
        .offset:         24
        .size:           8
        .value_kind:     global_buffer
      - .address_space:  global
        .offset:         32
        .size:           8
        .value_kind:     global_buffer
      - .address_space:  global
        .offset:         40
        .size:           8
        .value_kind:     global_buffer
      - .address_space:  global
        .offset:         48
        .size:           8
        .value_kind:     global_buffer
      - .address_space:  global
        .offset:         56
        .size:           8
        .value_kind:     global_buffer
      - .offset:         64
        .size:           4
        .value_kind:     by_value
      - .offset:         68
        .size:           4
        .value_kind:     by_value
      - .offset:         72
        .size:           4
        .value_kind:     by_value
      - .offset:         76
        .size:           4
        .value_kind:     by_value
      - .offset:         80
        .size:           4
        .value_kind:     by_value
      - .offset:         84
        .size:           4
        .value_kind:     by_value
      - .offset:         88
        .size:           4
        .value_kind:     by_value
      - .offset:         92
        .size:           12
        .value_kind:     by_value
      - .offset:         104
        .size:           4
        .value_kind:     by_value
      - .offset:         108
        .size:           4
        .value_kind:     by_value
      - .offset:         112
        .size:           4
        .value_kind:     by_value
      - .offset:         116
        .size:           4
        .value_kind:     by_value
      - .offset:         120
        .size:           4
        .value_kind:     by_value
      - .offset:         124
        .size:           4
        .value_kind:     by_value
      - .offset:         128
        .size:           4
        .value_kind:     by_value
      - .offset:         132
        .size:           4
        .value_kind:     by_value
      - .offset:         136
        .size:           4
        .value_kind:     by_value
      - .offset:         140
        .size:           4
        .value_kind:     by_value
      - .offset:         144
        .size:           4
        .value_kind:     by_value
      - .offset:         152
        .size:           8
        .value_kind:     by_value
      - .offset:         160
        .size:           4
        .value_kind:     by_value
      - .offset:         164
        .size:           4
        .value_kind:     by_value
      - .offset:         168
        .size:           8
        .value_kind:     by_value
      - .offset:         176
        .size:           4
        .value_kind:     by_value
      - .offset:         180
        .size:           4
        .value_kind:     by_value
      - .offset:         184
        .size:           4
        .value_kind:     by_value
      - .offset:         188
        .size:           4
        .value_kind:     by_value
      - .offset:         192
        .size:           4
        .value_kind:     by_value
      - .offset:         200
        .size:           8
        .value_kind:     by_value
      - .offset:         208
        .size:           4
        .value_kind:     hidden_block_count_x
      - .offset:         212
        .size:           4
        .value_kind:     hidden_block_count_y
      - .offset:         216
        .size:           4
        .value_kind:     hidden_block_count_z
      - .offset:         220
        .size:           2
        .value_kind:     hidden_group_size_x
      - .offset:         222
        .size:           2
        .value_kind:     hidden_group_size_y
      - .offset:         224
        .size:           2
        .value_kind:     hidden_group_size_z
      - .offset:         226
        .size:           2
        .value_kind:     hidden_remainder_x
      - .offset:         228
        .size:           2
        .value_kind:     hidden_remainder_y
      - .offset:         230
        .size:           2
        .value_kind:     hidden_remainder_z
      - .offset:         248
        .size:           8
        .value_kind:     hidden_global_offset_x
      - .offset:         256
        .size:           8
        .value_kind:     hidden_global_offset_y
      - .offset:         264
        .size:           8
        .value_kind:     hidden_global_offset_z
      - .offset:         272
        .size:           2
        .value_kind:     hidden_grid_dims
    .group_segment_fixed_size: 21504
    .kernarg_segment_align: 8
    .kernarg_segment_size: 464
    .language:       OpenCL C
    .language_version:
      - 2
      - 0
    .max_flat_workgroup_size: 256
    .name:           _ZL15flash_attn_tileILi128ELi128ELi32ELi1ELb1EEvPKcS1_S1_S1_S1_PKiPfP15HIP_vector_typeIfLj2EEffffjfiS5_IjLj3EEiiiiiiiiiiiliiliiiiil
    .private_segment_fixed_size: 32
    .sgpr_count:     62
    .sgpr_spill_count: 0
    .symbol:         _ZL15flash_attn_tileILi128ELi128ELi32ELi1ELb1EEvPKcS1_S1_S1_S1_PKiPfP15HIP_vector_typeIfLj2EEffffjfiS5_IjLj3EEiiiiiiiiiiiliiliiiiil.kd
    .uniform_work_group_size: 1
    .uses_dynamic_stack: false
    .vgpr_count:     134
    .vgpr_spill_count: 0
    .wavefront_size: 64
  - .agpr_count:     0
    .args:
      - .address_space:  global
        .offset:         0
        .size:           8
        .value_kind:     global_buffer
      - .address_space:  global
        .offset:         8
        .size:           8
        .value_kind:     global_buffer
      - .address_space:  global
        .offset:         16
        .size:           8
        .value_kind:     global_buffer
      - .address_space:  global
        .offset:         24
        .size:           8
        .value_kind:     global_buffer
      - .address_space:  global
        .offset:         32
        .size:           8
        .value_kind:     global_buffer
      - .address_space:  global
        .offset:         40
        .size:           8
        .value_kind:     global_buffer
      - .address_space:  global
        .offset:         48
        .size:           8
        .value_kind:     global_buffer
      - .address_space:  global
        .offset:         56
        .size:           8
        .value_kind:     global_buffer
      - .offset:         64
        .size:           4
        .value_kind:     by_value
      - .offset:         68
        .size:           4
        .value_kind:     by_value
      - .offset:         72
        .size:           4
        .value_kind:     by_value
      - .offset:         76
        .size:           4
        .value_kind:     by_value
      - .offset:         80
        .size:           4
        .value_kind:     by_value
      - .offset:         84
        .size:           4
        .value_kind:     by_value
      - .offset:         88
        .size:           4
        .value_kind:     by_value
      - .offset:         92
        .size:           12
        .value_kind:     by_value
      - .offset:         104
        .size:           4
        .value_kind:     by_value
      - .offset:         108
        .size:           4
        .value_kind:     by_value
      - .offset:         112
        .size:           4
        .value_kind:     by_value
      - .offset:         116
        .size:           4
        .value_kind:     by_value
      - .offset:         120
        .size:           4
        .value_kind:     by_value
      - .offset:         124
        .size:           4
        .value_kind:     by_value
      - .offset:         128
        .size:           4
        .value_kind:     by_value
      - .offset:         132
        .size:           4
        .value_kind:     by_value
      - .offset:         136
        .size:           4
        .value_kind:     by_value
      - .offset:         140
        .size:           4
        .value_kind:     by_value
      - .offset:         144
        .size:           4
        .value_kind:     by_value
      - .offset:         152
        .size:           8
        .value_kind:     by_value
      - .offset:         160
        .size:           4
        .value_kind:     by_value
      - .offset:         164
        .size:           4
        .value_kind:     by_value
      - .offset:         168
        .size:           8
        .value_kind:     by_value
      - .offset:         176
        .size:           4
        .value_kind:     by_value
      - .offset:         180
        .size:           4
        .value_kind:     by_value
      - .offset:         184
        .size:           4
        .value_kind:     by_value
      - .offset:         188
        .size:           4
        .value_kind:     by_value
      - .offset:         192
        .size:           4
        .value_kind:     by_value
      - .offset:         200
        .size:           8
        .value_kind:     by_value
      - .offset:         208
        .size:           4
        .value_kind:     hidden_block_count_x
      - .offset:         212
        .size:           4
        .value_kind:     hidden_block_count_y
      - .offset:         216
        .size:           4
        .value_kind:     hidden_block_count_z
      - .offset:         220
        .size:           2
        .value_kind:     hidden_group_size_x
      - .offset:         222
        .size:           2
        .value_kind:     hidden_group_size_y
      - .offset:         224
        .size:           2
        .value_kind:     hidden_group_size_z
      - .offset:         226
        .size:           2
        .value_kind:     hidden_remainder_x
      - .offset:         228
        .size:           2
        .value_kind:     hidden_remainder_y
      - .offset:         230
        .size:           2
        .value_kind:     hidden_remainder_z
      - .offset:         248
        .size:           8
        .value_kind:     hidden_global_offset_x
      - .offset:         256
        .size:           8
        .value_kind:     hidden_global_offset_y
      - .offset:         264
        .size:           8
        .value_kind:     hidden_global_offset_z
      - .offset:         272
        .size:           2
        .value_kind:     hidden_grid_dims
    .group_segment_fixed_size: 31744
    .kernarg_segment_align: 8
    .kernarg_segment_size: 464
    .language:       OpenCL C
    .language_version:
      - 2
      - 0
    .max_flat_workgroup_size: 256
    .name:           _ZL15flash_attn_tileILi128ELi128ELi16ELi1ELb1EEvPKcS1_S1_S1_S1_PKiPfP15HIP_vector_typeIfLj2EEffffjfiS5_IjLj3EEiiiiiiiiiiiliiliiiiil
    .private_segment_fixed_size: 0
    .sgpr_count:     56
    .sgpr_spill_count: 0
    .symbol:         _ZL15flash_attn_tileILi128ELi128ELi16ELi1ELb1EEvPKcS1_S1_S1_S1_PKiPfP15HIP_vector_typeIfLj2EEffffjfiS5_IjLj3EEiiiiiiiiiiiliiliiiiil.kd
    .uniform_work_group_size: 1
    .uses_dynamic_stack: false
    .vgpr_count:     152
    .vgpr_spill_count: 0
    .wavefront_size: 64
  - .agpr_count:     0
    .args:
      - .address_space:  global
        .offset:         0
        .size:           8
        .value_kind:     global_buffer
      - .address_space:  global
        .offset:         8
        .size:           8
        .value_kind:     global_buffer
      - .address_space:  global
        .offset:         16
        .size:           8
        .value_kind:     global_buffer
      - .address_space:  global
        .offset:         24
        .size:           8
        .value_kind:     global_buffer
      - .address_space:  global
        .offset:         32
        .size:           8
        .value_kind:     global_buffer
      - .address_space:  global
        .offset:         40
        .size:           8
        .value_kind:     global_buffer
      - .address_space:  global
        .offset:         48
        .size:           8
        .value_kind:     global_buffer
      - .address_space:  global
        .offset:         56
        .size:           8
        .value_kind:     global_buffer
      - .offset:         64
        .size:           4
        .value_kind:     by_value
      - .offset:         68
        .size:           4
        .value_kind:     by_value
      - .offset:         72
        .size:           4
        .value_kind:     by_value
      - .offset:         76
        .size:           4
        .value_kind:     by_value
      - .offset:         80
        .size:           4
        .value_kind:     by_value
      - .offset:         84
        .size:           4
        .value_kind:     by_value
      - .offset:         88
        .size:           4
        .value_kind:     by_value
      - .offset:         92
        .size:           12
        .value_kind:     by_value
      - .offset:         104
        .size:           4
        .value_kind:     by_value
      - .offset:         108
        .size:           4
        .value_kind:     by_value
      - .offset:         112
        .size:           4
        .value_kind:     by_value
      - .offset:         116
        .size:           4
        .value_kind:     by_value
      - .offset:         120
        .size:           4
        .value_kind:     by_value
      - .offset:         124
        .size:           4
        .value_kind:     by_value
      - .offset:         128
        .size:           4
        .value_kind:     by_value
      - .offset:         132
        .size:           4
        .value_kind:     by_value
      - .offset:         136
        .size:           4
        .value_kind:     by_value
      - .offset:         140
        .size:           4
        .value_kind:     by_value
      - .offset:         144
        .size:           4
        .value_kind:     by_value
      - .offset:         152
        .size:           8
        .value_kind:     by_value
      - .offset:         160
        .size:           4
        .value_kind:     by_value
      - .offset:         164
        .size:           4
        .value_kind:     by_value
      - .offset:         168
        .size:           8
        .value_kind:     by_value
      - .offset:         176
        .size:           4
        .value_kind:     by_value
      - .offset:         180
        .size:           4
        .value_kind:     by_value
      - .offset:         184
        .size:           4
        .value_kind:     by_value
      - .offset:         188
        .size:           4
        .value_kind:     by_value
      - .offset:         192
        .size:           4
        .value_kind:     by_value
      - .offset:         200
        .size:           8
        .value_kind:     by_value
      - .offset:         208
        .size:           4
        .value_kind:     hidden_block_count_x
      - .offset:         212
        .size:           4
        .value_kind:     hidden_block_count_y
      - .offset:         216
        .size:           4
        .value_kind:     hidden_block_count_z
      - .offset:         220
        .size:           2
        .value_kind:     hidden_group_size_x
      - .offset:         222
        .size:           2
        .value_kind:     hidden_group_size_y
      - .offset:         224
        .size:           2
        .value_kind:     hidden_group_size_z
      - .offset:         226
        .size:           2
        .value_kind:     hidden_remainder_x
      - .offset:         228
        .size:           2
        .value_kind:     hidden_remainder_y
      - .offset:         230
        .size:           2
        .value_kind:     hidden_remainder_z
      - .offset:         248
        .size:           8
        .value_kind:     hidden_global_offset_x
      - .offset:         256
        .size:           8
        .value_kind:     hidden_global_offset_y
      - .offset:         264
        .size:           8
        .value_kind:     hidden_global_offset_z
      - .offset:         272
        .size:           2
        .value_kind:     hidden_grid_dims
    .group_segment_fixed_size: 20480
    .kernarg_segment_align: 8
    .kernarg_segment_size: 464
    .language:       OpenCL C
    .language_version:
      - 2
      - 0
    .max_flat_workgroup_size: 256
    .name:           _ZL15flash_attn_tileILi128ELi128ELi8ELi1ELb1EEvPKcS1_S1_S1_S1_PKiPfP15HIP_vector_typeIfLj2EEffffjfiS5_IjLj3EEiiiiiiiiiiiliiliiiiil
    .private_segment_fixed_size: 32
    .sgpr_count:     62
    .sgpr_spill_count: 0
    .symbol:         _ZL15flash_attn_tileILi128ELi128ELi8ELi1ELb1EEvPKcS1_S1_S1_S1_PKiPfP15HIP_vector_typeIfLj2EEffffjfiS5_IjLj3EEiiiiiiiiiiiliiliiiiil.kd
    .uniform_work_group_size: 1
    .uses_dynamic_stack: false
    .vgpr_count:     163
    .vgpr_spill_count: 0
    .wavefront_size: 64
  - .agpr_count:     0
    .args:
      - .address_space:  global
        .offset:         0
        .size:           8
        .value_kind:     global_buffer
      - .address_space:  global
        .offset:         8
        .size:           8
        .value_kind:     global_buffer
      - .address_space:  global
        .offset:         16
        .size:           8
        .value_kind:     global_buffer
      - .address_space:  global
        .offset:         24
        .size:           8
        .value_kind:     global_buffer
      - .address_space:  global
        .offset:         32
        .size:           8
        .value_kind:     global_buffer
      - .address_space:  global
        .offset:         40
        .size:           8
        .value_kind:     global_buffer
      - .address_space:  global
        .offset:         48
        .size:           8
        .value_kind:     global_buffer
      - .address_space:  global
        .offset:         56
        .size:           8
        .value_kind:     global_buffer
      - .offset:         64
        .size:           4
        .value_kind:     by_value
      - .offset:         68
        .size:           4
        .value_kind:     by_value
      - .offset:         72
        .size:           4
        .value_kind:     by_value
      - .offset:         76
        .size:           4
        .value_kind:     by_value
      - .offset:         80
        .size:           4
        .value_kind:     by_value
      - .offset:         84
        .size:           4
        .value_kind:     by_value
      - .offset:         88
        .size:           4
        .value_kind:     by_value
      - .offset:         92
        .size:           12
        .value_kind:     by_value
      - .offset:         104
        .size:           4
        .value_kind:     by_value
      - .offset:         108
        .size:           4
        .value_kind:     by_value
      - .offset:         112
        .size:           4
        .value_kind:     by_value
      - .offset:         116
        .size:           4
        .value_kind:     by_value
      - .offset:         120
        .size:           4
        .value_kind:     by_value
      - .offset:         124
        .size:           4
        .value_kind:     by_value
      - .offset:         128
        .size:           4
        .value_kind:     by_value
      - .offset:         132
        .size:           4
        .value_kind:     by_value
      - .offset:         136
        .size:           4
        .value_kind:     by_value
      - .offset:         140
        .size:           4
        .value_kind:     by_value
      - .offset:         144
        .size:           4
        .value_kind:     by_value
      - .offset:         152
        .size:           8
        .value_kind:     by_value
      - .offset:         160
        .size:           4
        .value_kind:     by_value
      - .offset:         164
        .size:           4
        .value_kind:     by_value
      - .offset:         168
        .size:           8
        .value_kind:     by_value
      - .offset:         176
        .size:           4
        .value_kind:     by_value
      - .offset:         180
        .size:           4
        .value_kind:     by_value
      - .offset:         184
        .size:           4
        .value_kind:     by_value
      - .offset:         188
        .size:           4
        .value_kind:     by_value
      - .offset:         192
        .size:           4
        .value_kind:     by_value
      - .offset:         200
        .size:           8
        .value_kind:     by_value
      - .offset:         208
        .size:           4
        .value_kind:     hidden_block_count_x
      - .offset:         212
        .size:           4
        .value_kind:     hidden_block_count_y
      - .offset:         216
        .size:           4
        .value_kind:     hidden_block_count_z
      - .offset:         220
        .size:           2
        .value_kind:     hidden_group_size_x
      - .offset:         222
        .size:           2
        .value_kind:     hidden_group_size_y
      - .offset:         224
        .size:           2
        .value_kind:     hidden_group_size_z
      - .offset:         226
        .size:           2
        .value_kind:     hidden_remainder_x
      - .offset:         228
        .size:           2
        .value_kind:     hidden_remainder_y
      - .offset:         230
        .size:           2
        .value_kind:     hidden_remainder_z
      - .offset:         248
        .size:           8
        .value_kind:     hidden_global_offset_x
      - .offset:         256
        .size:           8
        .value_kind:     hidden_global_offset_y
      - .offset:         264
        .size:           8
        .value_kind:     hidden_global_offset_z
      - .offset:         272
        .size:           2
        .value_kind:     hidden_grid_dims
    .group_segment_fixed_size: 18944
    .kernarg_segment_align: 8
    .kernarg_segment_size: 464
    .language:       OpenCL C
    .language_version:
      - 2
      - 0
    .max_flat_workgroup_size: 128
    .name:           _ZL15flash_attn_tileILi128ELi128ELi4ELi1ELb1EEvPKcS1_S1_S1_S1_PKiPfP15HIP_vector_typeIfLj2EEffffjfiS5_IjLj3EEiiiiiiiiiiiliiliiiiil
    .private_segment_fixed_size: 32
    .sgpr_count:     62
    .sgpr_spill_count: 0
    .symbol:         _ZL15flash_attn_tileILi128ELi128ELi4ELi1ELb1EEvPKcS1_S1_S1_S1_PKiPfP15HIP_vector_typeIfLj2EEffffjfiS5_IjLj3EEiiiiiiiiiiiliiliiiiil.kd
    .uniform_work_group_size: 1
    .uses_dynamic_stack: false
    .vgpr_count:     184
    .vgpr_spill_count: 0
    .wavefront_size: 64
  - .agpr_count:     0
    .args:
      - .address_space:  global
        .offset:         0
        .size:           8
        .value_kind:     global_buffer
      - .address_space:  global
        .offset:         8
        .size:           8
        .value_kind:     global_buffer
      - .address_space:  global
        .offset:         16
        .size:           8
        .value_kind:     global_buffer
      - .address_space:  global
        .offset:         24
        .size:           8
        .value_kind:     global_buffer
      - .address_space:  global
        .offset:         32
        .size:           8
        .value_kind:     global_buffer
      - .address_space:  global
        .offset:         40
        .size:           8
        .value_kind:     global_buffer
      - .address_space:  global
        .offset:         48
        .size:           8
        .value_kind:     global_buffer
      - .address_space:  global
        .offset:         56
        .size:           8
        .value_kind:     global_buffer
      - .offset:         64
        .size:           4
        .value_kind:     by_value
      - .offset:         68
        .size:           4
        .value_kind:     by_value
      - .offset:         72
        .size:           4
        .value_kind:     by_value
      - .offset:         76
        .size:           4
        .value_kind:     by_value
      - .offset:         80
        .size:           4
        .value_kind:     by_value
      - .offset:         84
        .size:           4
        .value_kind:     by_value
      - .offset:         88
        .size:           4
        .value_kind:     by_value
      - .offset:         92
        .size:           12
        .value_kind:     by_value
      - .offset:         104
        .size:           4
        .value_kind:     by_value
      - .offset:         108
        .size:           4
        .value_kind:     by_value
      - .offset:         112
        .size:           4
        .value_kind:     by_value
      - .offset:         116
        .size:           4
        .value_kind:     by_value
      - .offset:         120
        .size:           4
        .value_kind:     by_value
      - .offset:         124
        .size:           4
        .value_kind:     by_value
      - .offset:         128
        .size:           4
        .value_kind:     by_value
      - .offset:         132
        .size:           4
        .value_kind:     by_value
      - .offset:         136
        .size:           4
        .value_kind:     by_value
      - .offset:         140
        .size:           4
        .value_kind:     by_value
      - .offset:         144
        .size:           4
        .value_kind:     by_value
      - .offset:         152
        .size:           8
        .value_kind:     by_value
      - .offset:         160
        .size:           4
        .value_kind:     by_value
      - .offset:         164
        .size:           4
        .value_kind:     by_value
      - .offset:         168
        .size:           8
        .value_kind:     by_value
      - .offset:         176
        .size:           4
        .value_kind:     by_value
      - .offset:         180
        .size:           4
        .value_kind:     by_value
      - .offset:         184
        .size:           4
        .value_kind:     by_value
      - .offset:         188
        .size:           4
        .value_kind:     by_value
      - .offset:         192
        .size:           4
        .value_kind:     by_value
      - .offset:         200
        .size:           8
        .value_kind:     by_value
      - .offset:         208
        .size:           4
        .value_kind:     hidden_block_count_x
      - .offset:         212
        .size:           4
        .value_kind:     hidden_block_count_y
      - .offset:         216
        .size:           4
        .value_kind:     hidden_block_count_z
      - .offset:         220
        .size:           2
        .value_kind:     hidden_group_size_x
      - .offset:         222
        .size:           2
        .value_kind:     hidden_group_size_y
      - .offset:         224
        .size:           2
        .value_kind:     hidden_group_size_z
      - .offset:         226
        .size:           2
        .value_kind:     hidden_remainder_x
      - .offset:         228
        .size:           2
        .value_kind:     hidden_remainder_y
      - .offset:         230
        .size:           2
        .value_kind:     hidden_remainder_z
      - .offset:         248
        .size:           8
        .value_kind:     hidden_global_offset_x
      - .offset:         256
        .size:           8
        .value_kind:     hidden_global_offset_y
      - .offset:         264
        .size:           8
        .value_kind:     hidden_global_offset_z
      - .offset:         272
        .size:           2
        .value_kind:     hidden_grid_dims
    .group_segment_fixed_size: 19520
    .kernarg_segment_align: 8
    .kernarg_segment_size: 464
    .language:       OpenCL C
    .language_version:
      - 2
      - 0
    .max_flat_workgroup_size: 256
    .name:           _ZL15flash_attn_tileILi128ELi128ELi2ELi1ELb1EEvPKcS1_S1_S1_S1_PKiPfP15HIP_vector_typeIfLj2EEffffjfiS5_IjLj3EEiiiiiiiiiiiliiliiiiil
    .private_segment_fixed_size: 32
    .sgpr_count:     62
    .sgpr_spill_count: 0
    .symbol:         _ZL15flash_attn_tileILi128ELi128ELi2ELi1ELb1EEvPKcS1_S1_S1_S1_PKiPfP15HIP_vector_typeIfLj2EEffffjfiS5_IjLj3EEiiiiiiiiiiiliiliiiiil.kd
    .uniform_work_group_size: 1
    .uses_dynamic_stack: false
    .vgpr_count:     144
    .vgpr_spill_count: 0
    .wavefront_size: 64
amdhsa.target:   amdgcn-amd-amdhsa--gfx90a
amdhsa.version:
  - 1
  - 2
...

	.end_amdgpu_metadata
